;; amdgpu-corpus repo=ROCm/rccl kind=compiled arch=gfx90a opt=O3
	.text
	.amdgcn_target "amdgcn-amd-amdhsa--gfx90a"
	.amdhsa_code_object_version 6
	.p2align	2                               ; -- Begin function __ockl_fprintf_append_string_n
	.type	__ockl_fprintf_append_string_n,@function
__ockl_fprintf_append_string_n:         ; @__ockl_fprintf_append_string_n
; %bb.0:
	s_waitcnt vmcnt(0) expcnt(0) lgkmcnt(0)
	v_mov_b32_e32 v9, v3
	v_mov_b32_e32 v8, v2
	v_or_b32_e32 v2, 2, v0
	v_cmp_eq_u32_e32 vcc, 0, v6
	s_mov_b32 s22, 0
	v_cndmask_b32_e32 v0, v2, v0, vcc
	s_mov_b64 s[6:7], 0
	v_cmp_ne_u64_e32 vcc, 0, v[8:9]
	v_mbcnt_lo_u32_b32 v2, -1, 0
	s_and_saveexec_b64 s[4:5], vcc
	s_xor_b64 s[10:11], exec, s[4:5]
	s_cbranch_execz .LBB0_86
; %bb.1:
	s_load_dwordx2 s[12:13], s[8:9], 0x50
	v_and_b32_e32 v6, 2, v0
	v_mov_b32_e32 v31, 0
	v_and_b32_e32 v0, -3, v0
	v_mbcnt_hi_u32_b32 v32, -1, v2
	s_movk_i32 s23, 0xff1f
	v_mov_b32_e32 v12, 2
	v_mov_b32_e32 v13, 1
	s_branch .LBB0_3
.LBB0_2:                                ;   in Loop: Header=BB0_3 Depth=1
	s_or_b64 exec, exec, s[16:17]
	v_sub_co_u32_e32 v4, vcc, v4, v34
	v_subb_co_u32_e32 v5, vcc, v5, v35, vcc
	v_cmp_eq_u64_e32 vcc, 0, v[4:5]
	s_or_b64 s[6:7], vcc, s[6:7]
	v_add_co_u32_e32 v8, vcc, v8, v34
	v_addc_co_u32_e32 v9, vcc, v9, v35, vcc
	s_andn2_b64 exec, exec, s[6:7]
	s_cbranch_execz .LBB0_85
.LBB0_3:                                ; =>This Loop Header: Depth=1
                                        ;     Child Loop BB0_6 Depth 2
                                        ;     Child Loop BB0_14 Depth 2
	;; [unrolled: 1-line block ×11, first 2 shown]
	v_cmp_gt_u64_e32 vcc, 56, v[4:5]
	v_cndmask_b32_e32 v35, 0, v5, vcc
	v_cndmask_b32_e32 v34, 56, v4, vcc
	v_cmp_gt_u64_e32 vcc, 8, v[4:5]
                                        ; implicit-def: $vgpr2_vgpr3
                                        ; implicit-def: $sgpr14
	s_and_saveexec_b64 s[4:5], vcc
	s_xor_b64 s[4:5], exec, s[4:5]
	s_cbranch_execz .LBB0_9
; %bb.4:                                ;   in Loop: Header=BB0_3 Depth=1
	s_mov_b64 s[16:17], 0
	v_cmp_ne_u64_e32 vcc, 0, v[4:5]
	s_waitcnt vmcnt(0)
	v_pk_mov_b32 v[2:3], 0, 0
	s_and_saveexec_b64 s[14:15], vcc
	s_cbranch_execz .LBB0_8
; %bb.5:                                ;   in Loop: Header=BB0_3 Depth=1
	v_lshlrev_b64 v[10:11], 3, v[34:35]
	v_pk_mov_b32 v[2:3], 0, 0
	v_pk_mov_b32 v[14:15], v[8:9], v[8:9] op_sel:[0,1]
	s_mov_b64 s[18:19], 0
.LBB0_6:                                ;   Parent Loop BB0_3 Depth=1
                                        ; =>  This Inner Loop Header: Depth=2
	flat_load_ubyte v7, v[14:15]
	v_mov_b32_e32 v17, s22
	v_add_co_u32_e32 v14, vcc, 1, v14
	v_addc_co_u32_e32 v15, vcc, 0, v15, vcc
	s_waitcnt vmcnt(0) lgkmcnt(0)
	v_and_b32_e32 v16, 0xffff, v7
	v_lshlrev_b64 v[16:17], s18, v[16:17]
	s_add_u32 s18, s18, 8
	s_addc_u32 s19, s19, 0
	v_cmp_eq_u32_e32 vcc, s18, v10
	v_or_b32_e32 v3, v17, v3
	s_or_b64 s[16:17], vcc, s[16:17]
	v_or_b32_e32 v2, v16, v2
	s_andn2_b64 exec, exec, s[16:17]
	s_cbranch_execnz .LBB0_6
; %bb.7:                                ;   in Loop: Header=BB0_3 Depth=1
	s_or_b64 exec, exec, s[16:17]
.LBB0_8:                                ;   in Loop: Header=BB0_3 Depth=1
	s_or_b64 exec, exec, s[14:15]
	s_mov_b32 s14, 0
.LBB0_9:                                ;   in Loop: Header=BB0_3 Depth=1
	s_or_saveexec_b64 s[4:5], s[4:5]
	v_mov_b32_e32 v7, s14
	v_pk_mov_b32 v[10:11], v[8:9], v[8:9] op_sel:[0,1]
	s_xor_b64 exec, exec, s[4:5]
	s_cbranch_execz .LBB0_11
; %bb.10:                               ;   in Loop: Header=BB0_3 Depth=1
	s_waitcnt vmcnt(0)
	flat_load_dwordx2 v[2:3], v[8:9]
	v_add_u32_e32 v7, -8, v34
	s_waitcnt vmcnt(0) lgkmcnt(0)
	v_and_b32_e32 v10, 0xff, v3
	v_and_b32_e32 v11, 0xff00, v3
	;; [unrolled: 1-line block ×4, first 2 shown]
	v_or_b32_e32 v10, v10, v11
	v_or3_b32 v3, v10, v14, v3
	v_add_co_u32_e32 v10, vcc, 8, v8
	v_or3_b32 v2, v2, 0, 0
	v_addc_co_u32_e32 v11, vcc, 0, v9, vcc
.LBB0_11:                               ;   in Loop: Header=BB0_3 Depth=1
	s_or_b64 exec, exec, s[4:5]
	v_cmp_gt_u32_e32 vcc, 8, v7
                                        ; implicit-def: $vgpr14_vgpr15
                                        ; implicit-def: $sgpr14
	s_and_saveexec_b64 s[4:5], vcc
	s_xor_b64 s[4:5], exec, s[4:5]
	s_cbranch_execz .LBB0_17
; %bb.12:                               ;   in Loop: Header=BB0_3 Depth=1
	v_cmp_ne_u32_e32 vcc, 0, v7
	v_pk_mov_b32 v[14:15], 0, 0
	s_and_saveexec_b64 s[14:15], vcc
	s_cbranch_execz .LBB0_16
; %bb.13:                               ;   in Loop: Header=BB0_3 Depth=1
	s_mov_b64 s[16:17], 0
	v_pk_mov_b32 v[14:15], 0, 0
	s_mov_b64 s[18:19], 0
	s_mov_b64 s[20:21], 0
.LBB0_14:                               ;   Parent Loop BB0_3 Depth=1
                                        ; =>  This Inner Loop Header: Depth=2
	v_mov_b32_e32 v17, s21
	v_add_co_u32_e32 v16, vcc, s20, v10
	v_addc_co_u32_e32 v17, vcc, v11, v17, vcc
	flat_load_ubyte v16, v[16:17]
	s_add_u32 s20, s20, 1
	v_mov_b32_e32 v17, s22
	s_addc_u32 s21, s21, 0
	v_cmp_eq_u32_e32 vcc, s20, v7
	s_waitcnt vmcnt(0) lgkmcnt(0)
	v_and_b32_e32 v16, 0xffff, v16
	v_lshlrev_b64 v[16:17], s18, v[16:17]
	s_add_u32 s18, s18, 8
	s_addc_u32 s19, s19, 0
	v_or_b32_e32 v15, v17, v15
	s_or_b64 s[16:17], vcc, s[16:17]
	v_or_b32_e32 v14, v16, v14
	s_andn2_b64 exec, exec, s[16:17]
	s_cbranch_execnz .LBB0_14
; %bb.15:                               ;   in Loop: Header=BB0_3 Depth=1
	s_or_b64 exec, exec, s[16:17]
.LBB0_16:                               ;   in Loop: Header=BB0_3 Depth=1
	s_or_b64 exec, exec, s[14:15]
	s_mov_b32 s14, 0
                                        ; implicit-def: $vgpr7
.LBB0_17:                               ;   in Loop: Header=BB0_3 Depth=1
	s_or_saveexec_b64 s[4:5], s[4:5]
	v_mov_b32_e32 v18, s14
	s_xor_b64 exec, exec, s[4:5]
	s_cbranch_execz .LBB0_19
; %bb.18:                               ;   in Loop: Header=BB0_3 Depth=1
	flat_load_dwordx2 v[14:15], v[10:11]
	v_add_u32_e32 v18, -8, v7
	v_add_co_u32_e32 v10, vcc, 8, v10
	v_addc_co_u32_e32 v11, vcc, 0, v11, vcc
	s_waitcnt vmcnt(0) lgkmcnt(0)
	v_and_b32_e32 v7, 0xff, v15
	v_and_b32_e32 v16, 0xff00, v15
	;; [unrolled: 1-line block ×4, first 2 shown]
	v_or_b32_e32 v7, v7, v16
	v_or3_b32 v14, v14, 0, 0
	v_or3_b32 v15, v7, v17, v15
.LBB0_19:                               ;   in Loop: Header=BB0_3 Depth=1
	s_or_b64 exec, exec, s[4:5]
	v_cmp_gt_u32_e32 vcc, 8, v18
                                        ; implicit-def: $sgpr14
	s_and_saveexec_b64 s[4:5], vcc
	s_xor_b64 s[4:5], exec, s[4:5]
	s_cbranch_execz .LBB0_25
; %bb.20:                               ;   in Loop: Header=BB0_3 Depth=1
	v_cmp_ne_u32_e32 vcc, 0, v18
	v_pk_mov_b32 v[16:17], 0, 0
	s_and_saveexec_b64 s[14:15], vcc
	s_cbranch_execz .LBB0_24
; %bb.21:                               ;   in Loop: Header=BB0_3 Depth=1
	s_mov_b64 s[16:17], 0
	v_pk_mov_b32 v[16:17], 0, 0
	s_mov_b64 s[18:19], 0
	s_mov_b64 s[20:21], 0
.LBB0_22:                               ;   Parent Loop BB0_3 Depth=1
                                        ; =>  This Inner Loop Header: Depth=2
	v_mov_b32_e32 v7, s21
	v_add_co_u32_e32 v20, vcc, s20, v10
	v_addc_co_u32_e32 v21, vcc, v11, v7, vcc
	flat_load_ubyte v7, v[20:21]
	s_add_u32 s20, s20, 1
	v_mov_b32_e32 v21, s22
	s_addc_u32 s21, s21, 0
	v_cmp_eq_u32_e32 vcc, s20, v18
	s_waitcnt vmcnt(0) lgkmcnt(0)
	v_and_b32_e32 v20, 0xffff, v7
	v_lshlrev_b64 v[20:21], s18, v[20:21]
	s_add_u32 s18, s18, 8
	s_addc_u32 s19, s19, 0
	v_or_b32_e32 v17, v21, v17
	s_or_b64 s[16:17], vcc, s[16:17]
	v_or_b32_e32 v16, v20, v16
	s_andn2_b64 exec, exec, s[16:17]
	s_cbranch_execnz .LBB0_22
; %bb.23:                               ;   in Loop: Header=BB0_3 Depth=1
	s_or_b64 exec, exec, s[16:17]
.LBB0_24:                               ;   in Loop: Header=BB0_3 Depth=1
	s_or_b64 exec, exec, s[14:15]
	s_mov_b32 s14, 0
                                        ; implicit-def: $vgpr18
.LBB0_25:                               ;   in Loop: Header=BB0_3 Depth=1
	s_or_saveexec_b64 s[4:5], s[4:5]
	v_mov_b32_e32 v7, s14
	s_xor_b64 exec, exec, s[4:5]
	s_cbranch_execz .LBB0_27
; %bb.26:                               ;   in Loop: Header=BB0_3 Depth=1
	flat_load_dwordx2 v[16:17], v[10:11]
	v_add_u32_e32 v7, -8, v18
	v_add_co_u32_e32 v10, vcc, 8, v10
	v_addc_co_u32_e32 v11, vcc, 0, v11, vcc
	s_waitcnt vmcnt(0) lgkmcnt(0)
	v_and_b32_e32 v18, 0xff, v17
	v_and_b32_e32 v19, 0xff00, v17
	;; [unrolled: 1-line block ×4, first 2 shown]
	v_or_b32_e32 v18, v18, v19
	v_or3_b32 v16, v16, 0, 0
	v_or3_b32 v17, v18, v20, v17
.LBB0_27:                               ;   in Loop: Header=BB0_3 Depth=1
	s_or_b64 exec, exec, s[4:5]
	v_cmp_gt_u32_e32 vcc, 8, v7
                                        ; implicit-def: $vgpr18_vgpr19
                                        ; implicit-def: $sgpr14
	s_and_saveexec_b64 s[4:5], vcc
	s_xor_b64 s[4:5], exec, s[4:5]
	s_cbranch_execz .LBB0_33
; %bb.28:                               ;   in Loop: Header=BB0_3 Depth=1
	v_cmp_ne_u32_e32 vcc, 0, v7
	v_pk_mov_b32 v[18:19], 0, 0
	s_and_saveexec_b64 s[14:15], vcc
	s_cbranch_execz .LBB0_32
; %bb.29:                               ;   in Loop: Header=BB0_3 Depth=1
	s_mov_b64 s[16:17], 0
	v_pk_mov_b32 v[18:19], 0, 0
	s_mov_b64 s[18:19], 0
	s_mov_b64 s[20:21], 0
.LBB0_30:                               ;   Parent Loop BB0_3 Depth=1
                                        ; =>  This Inner Loop Header: Depth=2
	v_mov_b32_e32 v21, s21
	v_add_co_u32_e32 v20, vcc, s20, v10
	v_addc_co_u32_e32 v21, vcc, v11, v21, vcc
	flat_load_ubyte v20, v[20:21]
	s_add_u32 s20, s20, 1
	v_mov_b32_e32 v21, s22
	s_addc_u32 s21, s21, 0
	v_cmp_eq_u32_e32 vcc, s20, v7
	s_waitcnt vmcnt(0) lgkmcnt(0)
	v_and_b32_e32 v20, 0xffff, v20
	v_lshlrev_b64 v[20:21], s18, v[20:21]
	s_add_u32 s18, s18, 8
	s_addc_u32 s19, s19, 0
	v_or_b32_e32 v19, v21, v19
	s_or_b64 s[16:17], vcc, s[16:17]
	v_or_b32_e32 v18, v20, v18
	s_andn2_b64 exec, exec, s[16:17]
	s_cbranch_execnz .LBB0_30
; %bb.31:                               ;   in Loop: Header=BB0_3 Depth=1
	s_or_b64 exec, exec, s[16:17]
.LBB0_32:                               ;   in Loop: Header=BB0_3 Depth=1
	s_or_b64 exec, exec, s[14:15]
	s_mov_b32 s14, 0
                                        ; implicit-def: $vgpr7
.LBB0_33:                               ;   in Loop: Header=BB0_3 Depth=1
	s_or_saveexec_b64 s[4:5], s[4:5]
	v_mov_b32_e32 v22, s14
	s_xor_b64 exec, exec, s[4:5]
	s_cbranch_execz .LBB0_35
; %bb.34:                               ;   in Loop: Header=BB0_3 Depth=1
	flat_load_dwordx2 v[18:19], v[10:11]
	v_add_u32_e32 v22, -8, v7
	v_add_co_u32_e32 v10, vcc, 8, v10
	v_addc_co_u32_e32 v11, vcc, 0, v11, vcc
	s_waitcnt vmcnt(0) lgkmcnt(0)
	v_and_b32_e32 v7, 0xff, v19
	v_and_b32_e32 v20, 0xff00, v19
	;; [unrolled: 1-line block ×4, first 2 shown]
	v_or_b32_e32 v7, v7, v20
	v_or3_b32 v18, v18, 0, 0
	v_or3_b32 v19, v7, v21, v19
.LBB0_35:                               ;   in Loop: Header=BB0_3 Depth=1
	s_or_b64 exec, exec, s[4:5]
	v_cmp_gt_u32_e32 vcc, 8, v22
                                        ; implicit-def: $sgpr14
	s_and_saveexec_b64 s[4:5], vcc
	s_xor_b64 s[4:5], exec, s[4:5]
	s_cbranch_execz .LBB0_41
; %bb.36:                               ;   in Loop: Header=BB0_3 Depth=1
	v_cmp_ne_u32_e32 vcc, 0, v22
	v_pk_mov_b32 v[20:21], 0, 0
	s_and_saveexec_b64 s[14:15], vcc
	s_cbranch_execz .LBB0_40
; %bb.37:                               ;   in Loop: Header=BB0_3 Depth=1
	s_mov_b64 s[16:17], 0
	v_pk_mov_b32 v[20:21], 0, 0
	s_mov_b64 s[18:19], 0
	s_mov_b64 s[20:21], 0
.LBB0_38:                               ;   Parent Loop BB0_3 Depth=1
                                        ; =>  This Inner Loop Header: Depth=2
	v_mov_b32_e32 v7, s21
	v_add_co_u32_e32 v24, vcc, s20, v10
	v_addc_co_u32_e32 v25, vcc, v11, v7, vcc
	flat_load_ubyte v7, v[24:25]
	s_add_u32 s20, s20, 1
	v_mov_b32_e32 v25, s22
	s_addc_u32 s21, s21, 0
	v_cmp_eq_u32_e32 vcc, s20, v22
	s_waitcnt vmcnt(0) lgkmcnt(0)
	v_and_b32_e32 v24, 0xffff, v7
	v_lshlrev_b64 v[24:25], s18, v[24:25]
	s_add_u32 s18, s18, 8
	s_addc_u32 s19, s19, 0
	v_or_b32_e32 v21, v25, v21
	s_or_b64 s[16:17], vcc, s[16:17]
	v_or_b32_e32 v20, v24, v20
	s_andn2_b64 exec, exec, s[16:17]
	s_cbranch_execnz .LBB0_38
; %bb.39:                               ;   in Loop: Header=BB0_3 Depth=1
	s_or_b64 exec, exec, s[16:17]
.LBB0_40:                               ;   in Loop: Header=BB0_3 Depth=1
	s_or_b64 exec, exec, s[14:15]
	s_mov_b32 s14, 0
                                        ; implicit-def: $vgpr22
.LBB0_41:                               ;   in Loop: Header=BB0_3 Depth=1
	s_or_saveexec_b64 s[4:5], s[4:5]
	v_mov_b32_e32 v7, s14
	s_xor_b64 exec, exec, s[4:5]
	s_cbranch_execz .LBB0_43
; %bb.42:                               ;   in Loop: Header=BB0_3 Depth=1
	flat_load_dwordx2 v[20:21], v[10:11]
	v_add_u32_e32 v7, -8, v22
	v_add_co_u32_e32 v10, vcc, 8, v10
	v_addc_co_u32_e32 v11, vcc, 0, v11, vcc
	s_waitcnt vmcnt(0) lgkmcnt(0)
	v_and_b32_e32 v22, 0xff, v21
	v_and_b32_e32 v23, 0xff00, v21
	;; [unrolled: 1-line block ×4, first 2 shown]
	v_or_b32_e32 v22, v22, v23
	v_or3_b32 v20, v20, 0, 0
	v_or3_b32 v21, v22, v24, v21
.LBB0_43:                               ;   in Loop: Header=BB0_3 Depth=1
	s_or_b64 exec, exec, s[4:5]
	v_cmp_gt_u32_e32 vcc, 8, v7
                                        ; implicit-def: $vgpr22_vgpr23
                                        ; implicit-def: $sgpr14
	s_and_saveexec_b64 s[4:5], vcc
	s_xor_b64 s[4:5], exec, s[4:5]
	s_cbranch_execz .LBB0_49
; %bb.44:                               ;   in Loop: Header=BB0_3 Depth=1
	v_cmp_ne_u32_e32 vcc, 0, v7
	v_pk_mov_b32 v[22:23], 0, 0
	s_and_saveexec_b64 s[14:15], vcc
	s_cbranch_execz .LBB0_48
; %bb.45:                               ;   in Loop: Header=BB0_3 Depth=1
	s_mov_b64 s[16:17], 0
	v_pk_mov_b32 v[22:23], 0, 0
	s_mov_b64 s[18:19], 0
	s_mov_b64 s[20:21], 0
.LBB0_46:                               ;   Parent Loop BB0_3 Depth=1
                                        ; =>  This Inner Loop Header: Depth=2
	v_mov_b32_e32 v25, s21
	v_add_co_u32_e32 v24, vcc, s20, v10
	v_addc_co_u32_e32 v25, vcc, v11, v25, vcc
	flat_load_ubyte v24, v[24:25]
	s_add_u32 s20, s20, 1
	v_mov_b32_e32 v25, s22
	s_addc_u32 s21, s21, 0
	v_cmp_eq_u32_e32 vcc, s20, v7
	s_waitcnt vmcnt(0) lgkmcnt(0)
	v_and_b32_e32 v24, 0xffff, v24
	v_lshlrev_b64 v[24:25], s18, v[24:25]
	s_add_u32 s18, s18, 8
	s_addc_u32 s19, s19, 0
	v_or_b32_e32 v23, v25, v23
	s_or_b64 s[16:17], vcc, s[16:17]
	v_or_b32_e32 v22, v24, v22
	s_andn2_b64 exec, exec, s[16:17]
	s_cbranch_execnz .LBB0_46
; %bb.47:                               ;   in Loop: Header=BB0_3 Depth=1
	s_or_b64 exec, exec, s[16:17]
.LBB0_48:                               ;   in Loop: Header=BB0_3 Depth=1
	s_or_b64 exec, exec, s[14:15]
	s_mov_b32 s14, 0
                                        ; implicit-def: $vgpr7
.LBB0_49:                               ;   in Loop: Header=BB0_3 Depth=1
	s_or_saveexec_b64 s[4:5], s[4:5]
	v_mov_b32_e32 v26, s14
	s_xor_b64 exec, exec, s[4:5]
	s_cbranch_execz .LBB0_51
; %bb.50:                               ;   in Loop: Header=BB0_3 Depth=1
	flat_load_dwordx2 v[22:23], v[10:11]
	v_add_u32_e32 v26, -8, v7
	v_add_co_u32_e32 v10, vcc, 8, v10
	v_addc_co_u32_e32 v11, vcc, 0, v11, vcc
	s_waitcnt vmcnt(0) lgkmcnt(0)
	v_and_b32_e32 v7, 0xff, v23
	v_and_b32_e32 v24, 0xff00, v23
	v_and_b32_e32 v25, 0xff0000, v23
	v_and_b32_e32 v23, 0xff000000, v23
	v_or_b32_e32 v7, v7, v24
	v_or3_b32 v22, v22, 0, 0
	v_or3_b32 v23, v7, v25, v23
.LBB0_51:                               ;   in Loop: Header=BB0_3 Depth=1
	s_or_b64 exec, exec, s[4:5]
	v_cmp_gt_u32_e32 vcc, 8, v26
	s_and_saveexec_b64 s[4:5], vcc
	s_xor_b64 s[4:5], exec, s[4:5]
	s_cbranch_execz .LBB0_57
; %bb.52:                               ;   in Loop: Header=BB0_3 Depth=1
	v_cmp_ne_u32_e32 vcc, 0, v26
	v_pk_mov_b32 v[24:25], 0, 0
	s_and_saveexec_b64 s[14:15], vcc
	s_cbranch_execz .LBB0_56
; %bb.53:                               ;   in Loop: Header=BB0_3 Depth=1
	s_mov_b64 s[16:17], 0
	v_pk_mov_b32 v[24:25], 0, 0
	s_mov_b64 s[18:19], 0
.LBB0_54:                               ;   Parent Loop BB0_3 Depth=1
                                        ; =>  This Inner Loop Header: Depth=2
	flat_load_ubyte v7, v[10:11]
	v_mov_b32_e32 v29, s22
	v_add_co_u32_e32 v10, vcc, 1, v10
	v_add_u32_e32 v26, -1, v26
	v_addc_co_u32_e32 v11, vcc, 0, v11, vcc
	v_cmp_eq_u32_e32 vcc, 0, v26
	s_waitcnt vmcnt(0) lgkmcnt(0)
	v_and_b32_e32 v28, 0xffff, v7
	v_lshlrev_b64 v[28:29], s18, v[28:29]
	s_add_u32 s18, s18, 8
	s_addc_u32 s19, s19, 0
	v_or_b32_e32 v25, v29, v25
	s_or_b64 s[16:17], vcc, s[16:17]
	v_or_b32_e32 v24, v28, v24
	s_andn2_b64 exec, exec, s[16:17]
	s_cbranch_execnz .LBB0_54
; %bb.55:                               ;   in Loop: Header=BB0_3 Depth=1
	s_or_b64 exec, exec, s[16:17]
.LBB0_56:                               ;   in Loop: Header=BB0_3 Depth=1
	s_or_b64 exec, exec, s[14:15]
                                        ; implicit-def: $vgpr10_vgpr11
.LBB0_57:                               ;   in Loop: Header=BB0_3 Depth=1
	s_andn2_saveexec_b64 s[4:5], s[4:5]
	s_cbranch_execz .LBB0_59
; %bb.58:                               ;   in Loop: Header=BB0_3 Depth=1
	flat_load_dwordx2 v[10:11], v[10:11]
	s_waitcnt vmcnt(0) lgkmcnt(0)
	v_and_b32_e32 v7, 0xff, v11
	v_and_b32_e32 v24, 0xff00, v11
	;; [unrolled: 1-line block ×4, first 2 shown]
	v_or_b32_e32 v7, v7, v24
	v_or3_b32 v25, v7, v25, v11
	v_or3_b32 v24, v10, 0, 0
.LBB0_59:                               ;   in Loop: Header=BB0_3 Depth=1
	s_or_b64 exec, exec, s[4:5]
	v_readfirstlane_b32 s4, v32
	v_cmp_eq_u32_e64 s[4:5], s4, v32
	v_pk_mov_b32 v[10:11], 0, 0
	s_and_saveexec_b64 s[14:15], s[4:5]
	s_cbranch_execz .LBB0_65
; %bb.60:                               ;   in Loop: Header=BB0_3 Depth=1
	s_waitcnt lgkmcnt(0)
	global_load_dwordx2 v[28:29], v31, s[12:13] offset:24 glc
	s_waitcnt vmcnt(0)
	buffer_invl2
	buffer_wbinvl1_vol
	global_load_dwordx2 v[10:11], v31, s[12:13] offset:40
	global_load_dwordx2 v[26:27], v31, s[12:13]
	s_waitcnt vmcnt(1)
	v_and_b32_e32 v7, v10, v28
	v_and_b32_e32 v10, v11, v29
	v_mul_lo_u32 v10, v10, 24
	v_mul_hi_u32 v11, v7, 24
	v_mul_lo_u32 v7, v7, 24
	v_add_u32_e32 v11, v11, v10
	s_waitcnt vmcnt(0)
	v_add_co_u32_e32 v10, vcc, v26, v7
	v_addc_co_u32_e32 v11, vcc, v27, v11, vcc
	global_load_dwordx2 v[26:27], v[10:11], off glc
	s_waitcnt vmcnt(0)
	global_atomic_cmpswap_x2 v[10:11], v31, v[26:29], s[12:13] offset:24 glc
	s_waitcnt vmcnt(0)
	buffer_invl2
	buffer_wbinvl1_vol
	v_cmp_ne_u64_e32 vcc, v[10:11], v[28:29]
	s_and_saveexec_b64 s[16:17], vcc
	s_cbranch_execz .LBB0_64
; %bb.61:                               ;   in Loop: Header=BB0_3 Depth=1
	s_mov_b64 s[18:19], 0
.LBB0_62:                               ;   Parent Loop BB0_3 Depth=1
                                        ; =>  This Inner Loop Header: Depth=2
	s_sleep 1
	global_load_dwordx2 v[26:27], v31, s[12:13] offset:40
	global_load_dwordx2 v[36:37], v31, s[12:13]
	v_pk_mov_b32 v[28:29], v[10:11], v[10:11] op_sel:[0,1]
	s_waitcnt vmcnt(1)
	v_and_b32_e32 v10, v26, v28
	s_waitcnt vmcnt(0)
	v_mad_u64_u32 v[10:11], s[20:21], v10, 24, v[36:37]
	v_and_b32_e32 v7, v27, v29
	v_mov_b32_e32 v26, v11
	v_mad_u64_u32 v[26:27], s[20:21], v7, 24, v[26:27]
	v_mov_b32_e32 v11, v26
	global_load_dwordx2 v[26:27], v[10:11], off glc
	s_waitcnt vmcnt(0)
	global_atomic_cmpswap_x2 v[10:11], v31, v[26:29], s[12:13] offset:24 glc
	s_waitcnt vmcnt(0)
	buffer_invl2
	buffer_wbinvl1_vol
	v_cmp_eq_u64_e32 vcc, v[10:11], v[28:29]
	s_or_b64 s[18:19], vcc, s[18:19]
	s_andn2_b64 exec, exec, s[18:19]
	s_cbranch_execnz .LBB0_62
; %bb.63:                               ;   in Loop: Header=BB0_3 Depth=1
	s_or_b64 exec, exec, s[18:19]
.LBB0_64:                               ;   in Loop: Header=BB0_3 Depth=1
	s_or_b64 exec, exec, s[16:17]
.LBB0_65:                               ;   in Loop: Header=BB0_3 Depth=1
	s_or_b64 exec, exec, s[14:15]
	s_waitcnt lgkmcnt(0)
	global_load_dwordx2 v[36:37], v31, s[12:13] offset:40
	global_load_dwordx4 v[26:29], v31, s[12:13]
	v_readfirstlane_b32 s14, v10
	v_readfirstlane_b32 s15, v11
	s_mov_b64 s[16:17], exec
	s_waitcnt vmcnt(1)
	v_readfirstlane_b32 s18, v36
	v_readfirstlane_b32 s19, v37
	s_and_b64 s[18:19], s[14:15], s[18:19]
	s_mul_i32 s20, s19, 24
	s_mul_hi_u32 s21, s18, 24
	s_mul_i32 s24, s18, 24
	s_add_i32 s20, s21, s20
	v_mov_b32_e32 v7, s20
	s_waitcnt vmcnt(0)
	v_add_co_u32_e32 v36, vcc, s24, v26
	v_addc_co_u32_e32 v37, vcc, v27, v7, vcc
	s_and_saveexec_b64 s[20:21], s[4:5]
	s_cbranch_execz .LBB0_67
; %bb.66:                               ;   in Loop: Header=BB0_3 Depth=1
	v_pk_mov_b32 v[10:11], s[16:17], s[16:17] op_sel:[0,1]
	global_store_dwordx4 v[36:37], v[10:13], off offset:8
.LBB0_67:                               ;   in Loop: Header=BB0_3 Depth=1
	s_or_b64 exec, exec, s[20:21]
	s_lshl_b64 s[16:17], s[18:19], 12
	v_mov_b32_e32 v7, s17
	v_add_co_u32_e32 v10, vcc, s16, v28
	v_addc_co_u32_e32 v7, vcc, v29, v7, vcc
	v_or_b32_e32 v11, 0, v1
	v_cmp_lt_u64_e32 vcc, 56, v[4:5]
	v_or_b32_e32 v28, v0, v6
	v_cndmask_b32_e32 v1, v11, v1, vcc
	v_lshl_add_u32 v11, v34, 2, 28
	v_cndmask_b32_e32 v0, v28, v0, vcc
	v_and_b32_e32 v11, 0x1e0, v11
	v_and_or_b32 v0, v0, s23, v11
	v_lshlrev_b32_e32 v11, 6, v32
	v_readfirstlane_b32 s16, v10
	v_readfirstlane_b32 s17, v7
	s_nop 4
	global_store_dwordx4 v11, v[0:3], s[16:17]
	global_store_dwordx4 v11, v[14:17], s[16:17] offset:16
	global_store_dwordx4 v11, v[18:21], s[16:17] offset:32
	;; [unrolled: 1-line block ×3, first 2 shown]
	s_and_saveexec_b64 s[16:17], s[4:5]
	s_cbranch_execz .LBB0_75
; %bb.68:                               ;   in Loop: Header=BB0_3 Depth=1
	global_load_dwordx2 v[18:19], v31, s[12:13] offset:32 glc
	global_load_dwordx2 v[0:1], v31, s[12:13] offset:40
	v_mov_b32_e32 v16, s14
	v_mov_b32_e32 v17, s15
	s_waitcnt vmcnt(0)
	v_readfirstlane_b32 s18, v0
	v_readfirstlane_b32 s19, v1
	s_and_b64 s[18:19], s[18:19], s[14:15]
	s_mul_i32 s19, s19, 24
	s_mul_hi_u32 s20, s18, 24
	s_mul_i32 s18, s18, 24
	s_add_i32 s19, s20, s19
	v_mov_b32_e32 v0, s19
	v_add_co_u32_e32 v14, vcc, s18, v26
	v_addc_co_u32_e32 v15, vcc, v27, v0, vcc
	global_store_dwordx2 v[14:15], v[18:19], off
	buffer_wbl2
	s_waitcnt vmcnt(0)
	global_atomic_cmpswap_x2 v[2:3], v31, v[16:19], s[12:13] offset:32 glc
	s_waitcnt vmcnt(0)
	v_cmp_ne_u64_e32 vcc, v[2:3], v[18:19]
	s_and_saveexec_b64 s[18:19], vcc
	s_cbranch_execz .LBB0_71
; %bb.69:                               ;   in Loop: Header=BB0_3 Depth=1
	s_mov_b64 s[20:21], 0
.LBB0_70:                               ;   Parent Loop BB0_3 Depth=1
                                        ; =>  This Inner Loop Header: Depth=2
	s_sleep 1
	global_store_dwordx2 v[14:15], v[2:3], off
	v_mov_b32_e32 v0, s14
	v_mov_b32_e32 v1, s15
	buffer_wbl2
	s_waitcnt vmcnt(0)
	global_atomic_cmpswap_x2 v[0:1], v31, v[0:3], s[12:13] offset:32 glc
	s_waitcnt vmcnt(0)
	v_cmp_eq_u64_e32 vcc, v[0:1], v[2:3]
	s_or_b64 s[20:21], vcc, s[20:21]
	v_pk_mov_b32 v[2:3], v[0:1], v[0:1] op_sel:[0,1]
	s_andn2_b64 exec, exec, s[20:21]
	s_cbranch_execnz .LBB0_70
.LBB0_71:                               ;   in Loop: Header=BB0_3 Depth=1
	s_or_b64 exec, exec, s[18:19]
	global_load_dwordx2 v[0:1], v31, s[12:13] offset:16
	s_mov_b64 s[20:21], exec
	v_mbcnt_lo_u32_b32 v2, s20, 0
	v_mbcnt_hi_u32_b32 v2, s21, v2
	v_cmp_eq_u32_e32 vcc, 0, v2
	s_and_saveexec_b64 s[18:19], vcc
	s_cbranch_execz .LBB0_73
; %bb.72:                               ;   in Loop: Header=BB0_3 Depth=1
	s_bcnt1_i32_b64 s20, s[20:21]
	v_mov_b32_e32 v30, s20
	buffer_wbl2
	s_waitcnt vmcnt(0)
	global_atomic_add_x2 v[0:1], v[30:31], off offset:8
.LBB0_73:                               ;   in Loop: Header=BB0_3 Depth=1
	s_or_b64 exec, exec, s[18:19]
	s_waitcnt vmcnt(0)
	global_load_dwordx2 v[2:3], v[0:1], off offset:16
	s_waitcnt vmcnt(0)
	v_cmp_eq_u64_e32 vcc, 0, v[2:3]
	s_cbranch_vccnz .LBB0_75
; %bb.74:                               ;   in Loop: Header=BB0_3 Depth=1
	global_load_dword v30, v[0:1], off offset:24
	s_waitcnt vmcnt(0)
	v_and_b32_e32 v0, 0xffffff, v30
	v_readfirstlane_b32 m0, v0
	buffer_wbl2
	global_store_dwordx2 v[2:3], v[30:31], off
	s_sendmsg sendmsg(MSG_INTERRUPT)
.LBB0_75:                               ;   in Loop: Header=BB0_3 Depth=1
	s_or_b64 exec, exec, s[16:17]
	v_add_co_u32_e32 v0, vcc, v10, v11
	v_addc_co_u32_e32 v1, vcc, 0, v7, vcc
	s_branch .LBB0_79
.LBB0_76:                               ;   in Loop: Header=BB0_79 Depth=2
	s_or_b64 exec, exec, s[16:17]
	v_readfirstlane_b32 s16, v2
	s_cmp_eq_u32 s16, 0
	s_cbranch_scc1 .LBB0_78
; %bb.77:                               ;   in Loop: Header=BB0_79 Depth=2
	s_sleep 1
	s_cbranch_execnz .LBB0_79
	s_branch .LBB0_81
.LBB0_78:                               ;   in Loop: Header=BB0_3 Depth=1
	s_branch .LBB0_81
.LBB0_79:                               ;   Parent Loop BB0_3 Depth=1
                                        ; =>  This Inner Loop Header: Depth=2
	v_mov_b32_e32 v2, 1
	s_and_saveexec_b64 s[16:17], s[4:5]
	s_cbranch_execz .LBB0_76
; %bb.80:                               ;   in Loop: Header=BB0_79 Depth=2
	global_load_dword v2, v[36:37], off offset:20 glc
	s_waitcnt vmcnt(0)
	buffer_invl2
	buffer_wbinvl1_vol
	v_and_b32_e32 v2, 1, v2
	s_branch .LBB0_76
.LBB0_81:                               ;   in Loop: Header=BB0_3 Depth=1
	global_load_dwordx4 v[0:3], v[0:1], off
	s_and_saveexec_b64 s[16:17], s[4:5]
	s_cbranch_execz .LBB0_2
; %bb.82:                               ;   in Loop: Header=BB0_3 Depth=1
	global_load_dwordx2 v[2:3], v31, s[12:13] offset:40
	global_load_dwordx2 v[10:11], v31, s[12:13] offset:24 glc
	global_load_dwordx2 v[18:19], v31, s[12:13]
	v_mov_b32_e32 v7, s15
	s_waitcnt vmcnt(2)
	v_add_co_u32_e32 v17, vcc, 1, v2
	v_addc_co_u32_e32 v20, vcc, 0, v3, vcc
	v_add_co_u32_e32 v14, vcc, s14, v17
	v_addc_co_u32_e32 v15, vcc, v20, v7, vcc
	v_cmp_eq_u64_e32 vcc, 0, v[14:15]
	v_cndmask_b32_e32 v15, v15, v20, vcc
	v_cndmask_b32_e32 v14, v14, v17, vcc
	v_and_b32_e32 v3, v15, v3
	v_and_b32_e32 v2, v14, v2
	v_mul_lo_u32 v3, v3, 24
	v_mul_hi_u32 v7, v2, 24
	v_mul_lo_u32 v2, v2, 24
	v_add_u32_e32 v3, v7, v3
	s_waitcnt vmcnt(0)
	v_add_co_u32_e32 v2, vcc, v18, v2
	v_addc_co_u32_e32 v3, vcc, v19, v3, vcc
	v_mov_b32_e32 v16, v10
	global_store_dwordx2 v[2:3], v[10:11], off
	v_mov_b32_e32 v17, v11
	buffer_wbl2
	s_waitcnt vmcnt(0)
	global_atomic_cmpswap_x2 v[16:17], v31, v[14:17], s[12:13] offset:24 glc
	s_waitcnt vmcnt(0)
	v_cmp_ne_u64_e32 vcc, v[16:17], v[10:11]
	s_and_b64 exec, exec, vcc
	s_cbranch_execz .LBB0_2
; %bb.83:                               ;   in Loop: Header=BB0_3 Depth=1
	s_mov_b64 s[4:5], 0
.LBB0_84:                               ;   Parent Loop BB0_3 Depth=1
                                        ; =>  This Inner Loop Header: Depth=2
	s_sleep 1
	global_store_dwordx2 v[2:3], v[16:17], off
	buffer_wbl2
	s_waitcnt vmcnt(0)
	global_atomic_cmpswap_x2 v[10:11], v31, v[14:17], s[12:13] offset:24 glc
	s_waitcnt vmcnt(0)
	v_cmp_eq_u64_e32 vcc, v[10:11], v[16:17]
	s_or_b64 s[4:5], vcc, s[4:5]
	v_pk_mov_b32 v[16:17], v[10:11], v[10:11] op_sel:[0,1]
	s_andn2_b64 exec, exec, s[4:5]
	s_cbranch_execnz .LBB0_84
	s_branch .LBB0_2
.LBB0_85:
	s_or_b64 exec, exec, s[6:7]
                                        ; implicit-def: $vgpr0
                                        ; implicit-def: $vgpr1
                                        ; implicit-def: $vgpr2
.LBB0_86:
	s_andn2_saveexec_b64 s[6:7], s[10:11]
	s_cbranch_execz .LBB0_109
; %bb.87:
	s_load_dwordx2 s[8:9], s[8:9], 0x50
	s_waitcnt vmcnt(0)
	v_mbcnt_hi_u32_b32 v3, -1, v2
	v_readfirstlane_b32 s4, v3
	v_cmp_eq_u32_e64 s[4:5], s4, v3
	v_pk_mov_b32 v[8:9], 0, 0
	s_and_saveexec_b64 s[10:11], s[4:5]
	s_cbranch_execz .LBB0_93
; %bb.88:
	v_mov_b32_e32 v2, 0
	s_waitcnt lgkmcnt(0)
	global_load_dwordx2 v[6:7], v2, s[8:9] offset:24 glc
	s_waitcnt vmcnt(0)
	buffer_invl2
	buffer_wbinvl1_vol
	global_load_dwordx2 v[4:5], v2, s[8:9] offset:40
	global_load_dwordx2 v[8:9], v2, s[8:9]
	s_waitcnt vmcnt(1)
	v_and_b32_e32 v4, v4, v6
	v_and_b32_e32 v5, v5, v7
	v_mul_lo_u32 v5, v5, 24
	v_mul_hi_u32 v10, v4, 24
	v_mul_lo_u32 v4, v4, 24
	v_add_u32_e32 v5, v10, v5
	s_waitcnt vmcnt(0)
	v_add_co_u32_e32 v4, vcc, v8, v4
	v_addc_co_u32_e32 v5, vcc, v9, v5, vcc
	global_load_dwordx2 v[4:5], v[4:5], off glc
	s_waitcnt vmcnt(0)
	global_atomic_cmpswap_x2 v[8:9], v2, v[4:7], s[8:9] offset:24 glc
	s_waitcnt vmcnt(0)
	buffer_invl2
	buffer_wbinvl1_vol
	v_cmp_ne_u64_e32 vcc, v[8:9], v[6:7]
	s_and_saveexec_b64 s[12:13], vcc
	s_cbranch_execz .LBB0_92
; %bb.89:
	s_mov_b64 s[14:15], 0
.LBB0_90:                               ; =>This Inner Loop Header: Depth=1
	s_sleep 1
	global_load_dwordx2 v[4:5], v2, s[8:9] offset:40
	global_load_dwordx2 v[10:11], v2, s[8:9]
	v_pk_mov_b32 v[6:7], v[8:9], v[8:9] op_sel:[0,1]
	s_waitcnt vmcnt(1)
	v_and_b32_e32 v4, v4, v6
	v_and_b32_e32 v9, v5, v7
	s_waitcnt vmcnt(0)
	v_mad_u64_u32 v[4:5], s[16:17], v4, 24, v[10:11]
	v_mov_b32_e32 v8, v5
	v_mad_u64_u32 v[8:9], s[16:17], v9, 24, v[8:9]
	v_mov_b32_e32 v5, v8
	global_load_dwordx2 v[4:5], v[4:5], off glc
	s_waitcnt vmcnt(0)
	global_atomic_cmpswap_x2 v[8:9], v2, v[4:7], s[8:9] offset:24 glc
	s_waitcnt vmcnt(0)
	buffer_invl2
	buffer_wbinvl1_vol
	v_cmp_eq_u64_e32 vcc, v[8:9], v[6:7]
	s_or_b64 s[14:15], vcc, s[14:15]
	s_andn2_b64 exec, exec, s[14:15]
	s_cbranch_execnz .LBB0_90
; %bb.91:
	s_or_b64 exec, exec, s[14:15]
.LBB0_92:
	s_or_b64 exec, exec, s[12:13]
.LBB0_93:
	s_or_b64 exec, exec, s[10:11]
	v_mov_b32_e32 v2, 0
	s_waitcnt lgkmcnt(0)
	global_load_dwordx2 v[10:11], v2, s[8:9] offset:40
	global_load_dwordx4 v[4:7], v2, s[8:9]
	v_readfirstlane_b32 s10, v8
	v_readfirstlane_b32 s11, v9
	s_mov_b64 s[12:13], exec
	s_waitcnt vmcnt(1)
	v_readfirstlane_b32 s14, v10
	v_readfirstlane_b32 s15, v11
	s_and_b64 s[14:15], s[10:11], s[14:15]
	s_mul_i32 s16, s15, 24
	s_mul_hi_u32 s17, s14, 24
	s_mul_i32 s18, s14, 24
	s_add_i32 s16, s17, s16
	v_mov_b32_e32 v9, s16
	s_waitcnt vmcnt(0)
	v_add_co_u32_e32 v8, vcc, s18, v4
	v_addc_co_u32_e32 v9, vcc, v5, v9, vcc
	s_and_saveexec_b64 s[16:17], s[4:5]
	s_cbranch_execz .LBB0_95
; %bb.94:
	v_pk_mov_b32 v[10:11], s[12:13], s[12:13] op_sel:[0,1]
	v_mov_b32_e32 v12, 2
	v_mov_b32_e32 v13, 1
	global_store_dwordx4 v[8:9], v[10:13], off offset:8
.LBB0_95:
	s_or_b64 exec, exec, s[16:17]
	s_lshl_b64 s[12:13], s[14:15], 12
	v_mov_b32_e32 v10, s13
	v_add_co_u32_e32 v6, vcc, s12, v6
	s_movk_i32 s12, 0xff1f
	v_addc_co_u32_e32 v7, vcc, v7, v10, vcc
	v_and_or_b32 v0, v0, s12, 32
	s_mov_b32 s12, 0
	v_lshlrev_b32_e32 v10, 6, v3
	v_mov_b32_e32 v3, v2
	v_readfirstlane_b32 s16, v6
	v_readfirstlane_b32 s17, v7
	s_mov_b32 s13, s12
	s_mov_b32 s14, s12
	;; [unrolled: 1-line block ×3, first 2 shown]
	s_nop 1
	global_store_dwordx4 v10, v[0:3], s[16:17]
	s_nop 0
	v_pk_mov_b32 v[0:1], s[12:13], s[12:13] op_sel:[0,1]
	v_pk_mov_b32 v[2:3], s[14:15], s[14:15] op_sel:[0,1]
	global_store_dwordx4 v10, v[0:3], s[16:17] offset:16
	global_store_dwordx4 v10, v[0:3], s[16:17] offset:32
	;; [unrolled: 1-line block ×3, first 2 shown]
	s_and_saveexec_b64 s[12:13], s[4:5]
	s_cbranch_execz .LBB0_103
; %bb.96:
	v_mov_b32_e32 v6, 0
	global_load_dwordx2 v[12:13], v6, s[8:9] offset:32 glc
	global_load_dwordx2 v[0:1], v6, s[8:9] offset:40
	v_mov_b32_e32 v10, s10
	v_mov_b32_e32 v11, s11
	s_waitcnt vmcnt(0)
	v_and_b32_e32 v0, s10, v0
	v_and_b32_e32 v1, s11, v1
	v_mul_lo_u32 v1, v1, 24
	v_mul_hi_u32 v2, v0, 24
	v_mul_lo_u32 v0, v0, 24
	v_add_u32_e32 v1, v2, v1
	v_add_co_u32_e32 v4, vcc, v4, v0
	v_addc_co_u32_e32 v5, vcc, v5, v1, vcc
	global_store_dwordx2 v[4:5], v[12:13], off
	buffer_wbl2
	s_waitcnt vmcnt(0)
	global_atomic_cmpswap_x2 v[2:3], v6, v[10:13], s[8:9] offset:32 glc
	s_waitcnt vmcnt(0)
	v_cmp_ne_u64_e32 vcc, v[2:3], v[12:13]
	s_and_saveexec_b64 s[14:15], vcc
	s_cbranch_execz .LBB0_99
; %bb.97:
	s_mov_b64 s[16:17], 0
.LBB0_98:                               ; =>This Inner Loop Header: Depth=1
	s_sleep 1
	global_store_dwordx2 v[4:5], v[2:3], off
	v_mov_b32_e32 v0, s10
	v_mov_b32_e32 v1, s11
	buffer_wbl2
	s_waitcnt vmcnt(0)
	global_atomic_cmpswap_x2 v[0:1], v6, v[0:3], s[8:9] offset:32 glc
	s_waitcnt vmcnt(0)
	v_cmp_eq_u64_e32 vcc, v[0:1], v[2:3]
	s_or_b64 s[16:17], vcc, s[16:17]
	v_pk_mov_b32 v[2:3], v[0:1], v[0:1] op_sel:[0,1]
	s_andn2_b64 exec, exec, s[16:17]
	s_cbranch_execnz .LBB0_98
.LBB0_99:
	s_or_b64 exec, exec, s[14:15]
	v_mov_b32_e32 v3, 0
	global_load_dwordx2 v[0:1], v3, s[8:9] offset:16
	s_mov_b64 s[14:15], exec
	v_mbcnt_lo_u32_b32 v2, s14, 0
	v_mbcnt_hi_u32_b32 v2, s15, v2
	v_cmp_eq_u32_e32 vcc, 0, v2
	s_and_saveexec_b64 s[16:17], vcc
	s_cbranch_execz .LBB0_101
; %bb.100:
	s_bcnt1_i32_b64 s14, s[14:15]
	v_mov_b32_e32 v2, s14
	buffer_wbl2
	s_waitcnt vmcnt(0)
	global_atomic_add_x2 v[0:1], v[2:3], off offset:8
.LBB0_101:
	s_or_b64 exec, exec, s[16:17]
	s_waitcnt vmcnt(0)
	global_load_dwordx2 v[2:3], v[0:1], off offset:16
	s_waitcnt vmcnt(0)
	v_cmp_eq_u64_e32 vcc, 0, v[2:3]
	s_cbranch_vccnz .LBB0_103
; %bb.102:
	global_load_dword v0, v[0:1], off offset:24
	v_mov_b32_e32 v1, 0
	buffer_wbl2
	s_waitcnt vmcnt(0)
	global_store_dwordx2 v[2:3], v[0:1], off
	v_and_b32_e32 v0, 0xffffff, v0
	v_readfirstlane_b32 m0, v0
	s_sendmsg sendmsg(MSG_INTERRUPT)
.LBB0_103:
	s_or_b64 exec, exec, s[12:13]
	s_branch .LBB0_107
.LBB0_104:                              ;   in Loop: Header=BB0_107 Depth=1
	s_or_b64 exec, exec, s[12:13]
	v_readfirstlane_b32 s12, v0
	s_cmp_eq_u32 s12, 0
	s_cbranch_scc1 .LBB0_106
; %bb.105:                              ;   in Loop: Header=BB0_107 Depth=1
	s_sleep 1
	s_cbranch_execnz .LBB0_107
	s_branch .LBB0_110
.LBB0_106:
	s_branch .LBB0_110
.LBB0_107:                              ; =>This Inner Loop Header: Depth=1
	v_mov_b32_e32 v0, 1
	s_and_saveexec_b64 s[12:13], s[4:5]
	s_cbranch_execz .LBB0_104
; %bb.108:                              ;   in Loop: Header=BB0_107 Depth=1
	global_load_dword v0, v[8:9], off offset:20 glc
	s_waitcnt vmcnt(0)
	buffer_invl2
	buffer_wbinvl1_vol
	v_and_b32_e32 v0, 1, v0
	s_branch .LBB0_104
.LBB0_109:
	s_or_b64 exec, exec, s[6:7]
	s_waitcnt vmcnt(0) lgkmcnt(0)
	s_setpc_b64 s[30:31]
.LBB0_110:
	s_and_saveexec_b64 s[12:13], s[4:5]
	s_cbranch_execz .LBB0_113
; %bb.111:
	v_mov_b32_e32 v6, 0
	global_load_dwordx2 v[4:5], v6, s[8:9] offset:40
	global_load_dwordx2 v[8:9], v6, s[8:9] offset:24 glc
	global_load_dwordx2 v[10:11], v6, s[8:9]
	v_mov_b32_e32 v1, s11
	s_mov_b64 s[4:5], 0
	s_waitcnt vmcnt(2)
	v_add_co_u32_e32 v3, vcc, 1, v4
	v_addc_co_u32_e32 v7, vcc, 0, v5, vcc
	v_add_co_u32_e32 v0, vcc, s10, v3
	v_addc_co_u32_e32 v1, vcc, v7, v1, vcc
	v_cmp_eq_u64_e32 vcc, 0, v[0:1]
	v_cndmask_b32_e32 v1, v1, v7, vcc
	v_cndmask_b32_e32 v0, v0, v3, vcc
	v_and_b32_e32 v3, v1, v5
	v_and_b32_e32 v4, v0, v4
	v_mul_lo_u32 v3, v3, 24
	v_mul_hi_u32 v5, v4, 24
	v_mul_lo_u32 v4, v4, 24
	v_add_u32_e32 v3, v5, v3
	s_waitcnt vmcnt(0)
	v_add_co_u32_e32 v4, vcc, v10, v4
	v_addc_co_u32_e32 v5, vcc, v11, v3, vcc
	v_mov_b32_e32 v2, v8
	global_store_dwordx2 v[4:5], v[8:9], off
	v_mov_b32_e32 v3, v9
	buffer_wbl2
	s_waitcnt vmcnt(0)
	global_atomic_cmpswap_x2 v[2:3], v6, v[0:3], s[8:9] offset:24 glc
	s_waitcnt vmcnt(0)
	v_cmp_ne_u64_e32 vcc, v[2:3], v[8:9]
	s_and_b64 exec, exec, vcc
	s_cbranch_execz .LBB0_113
.LBB0_112:                              ; =>This Inner Loop Header: Depth=1
	s_sleep 1
	global_store_dwordx2 v[4:5], v[2:3], off
	buffer_wbl2
	s_waitcnt vmcnt(0)
	global_atomic_cmpswap_x2 v[8:9], v6, v[0:3], s[8:9] offset:24 glc
	s_waitcnt vmcnt(0)
	v_cmp_eq_u64_e32 vcc, v[8:9], v[2:3]
	s_or_b64 s[4:5], vcc, s[4:5]
	v_pk_mov_b32 v[2:3], v[8:9], v[8:9] op_sel:[0,1]
	s_andn2_b64 exec, exec, s[4:5]
	s_cbranch_execnz .LBB0_112
.LBB0_113:
	s_or_b64 exec, exec, s[12:13]
	s_or_b64 exec, exec, s[6:7]
	s_waitcnt vmcnt(0) lgkmcnt(0)
	s_setpc_b64 s[30:31]
.Lfunc_end0:
	.size	__ockl_fprintf_append_string_n, .Lfunc_end0-__ockl_fprintf_append_string_n
                                        ; -- End function
	.section	.AMDGPU.csdata,"",@progbits
; Function info:
; codeLenInByte = 4372
; NumSgprs: 36
; NumVgprs: 38
; NumAgprs: 0
; TotalNumVgprs: 38
; ScratchSize: 0
; MemoryBound: 0
	.text
	.p2align	2                               ; -- Begin function __assert_fail
	.type	__assert_fail,@function
__assert_fail:                          ; @__assert_fail
; %bb.0:
	s_waitcnt vmcnt(0) expcnt(0) lgkmcnt(0)
	s_mov_b32 s25, s33
	s_mov_b32 s33, s32
	s_or_saveexec_b64 s[4:5], -1
	buffer_store_dword v40, off, s[0:3], s33 offset:48 ; 4-byte Folded Spill
	s_mov_b64 exec, s[4:5]
	v_writelane_b32 v40, s30, 0
	s_addk_i32 s32, 0x1000
	v_writelane_b32 v40, s31, 1
	s_getpc_b64 s[4:5]
	s_add_u32 s4, s4, __const.__assert_fail.fmt@rel32@lo+4
	s_addc_u32 s5, s5, __const.__assert_fail.fmt@rel32@hi+12
	s_load_dwordx4 s[4:7], s[4:5], 0x0
	v_mov_b32_e32 v4, v0
	v_mov_b32_e32 v0, 0xa2e
	buffer_store_short v0, off, s[0:3], s33 offset:44
	v_mov_b32_e32 v0, 0x64656c69
	buffer_store_dword v0, off, s[0:3], s33 offset:40
	v_mov_b32_e32 v0, 0x61662027
	s_getpc_b64 s[10:11]
	s_add_u32 s10, s10, __const.__assert_fail.fmt@rel32@lo+20
	s_addc_u32 s11, s11, __const.__assert_fail.fmt@rel32@hi+28
	buffer_store_dword v0, off, s[0:3], s33 offset:36
	v_mov_b32_e32 v0, 0x73256020
	s_load_dwordx4 s[12:15], s[10:11], 0x0
	buffer_store_dword v0, off, s[0:3], s33 offset:32
	s_waitcnt lgkmcnt(0)
	v_mov_b32_e32 v0, s7
	buffer_store_dword v0, off, s[0:3], s33 offset:12
	v_mov_b32_e32 v0, s6
	buffer_store_dword v0, off, s[0:3], s33 offset:8
	v_mov_b32_e32 v0, s5
	buffer_store_dword v0, off, s[0:3], s33 offset:4
	v_mov_b32_e32 v0, s4
	buffer_store_dword v0, off, s[0:3], s33
	v_mov_b32_e32 v0, s15
	buffer_store_dword v0, off, s[0:3], s33 offset:28
	v_mov_b32_e32 v0, s14
	buffer_store_dword v0, off, s[0:3], s33 offset:24
	;; [unrolled: 2-line block ×3, first 2 shown]
	v_mov_b32_e32 v0, s12
	s_load_dwordx2 s[10:11], s[8:9], 0x50
	buffer_store_dword v0, off, s[0:3], s33 offset:16
	v_mbcnt_lo_u32_b32 v0, -1, 0
	v_mbcnt_hi_u32_b32 v37, -1, v0
	v_readfirstlane_b32 s4, v37
	v_mov_b32_e32 v5, v1
	v_mov_b32_e32 v8, 0
	v_cmp_eq_u32_e64 s[4:5], s4, v37
	v_pk_mov_b32 v[6:7], 0, 0
	buffer_store_byte v8, off, s[0:3], s33 offset:46
	s_and_saveexec_b64 s[6:7], s[4:5]
	s_cbranch_execz .LBB1_6
; %bb.1:
	s_waitcnt lgkmcnt(0)
	global_load_dwordx2 v[2:3], v8, s[10:11] offset:24 glc
	s_waitcnt vmcnt(0)
	buffer_invl2
	buffer_wbinvl1_vol
	global_load_dwordx2 v[0:1], v8, s[10:11] offset:40
	global_load_dwordx2 v[6:7], v8, s[10:11]
	s_waitcnt vmcnt(1)
	v_and_b32_e32 v0, v0, v2
	v_and_b32_e32 v1, v1, v3
	v_mul_lo_u32 v1, v1, 24
	v_mul_hi_u32 v9, v0, 24
	v_mul_lo_u32 v0, v0, 24
	v_add_u32_e32 v1, v9, v1
	s_waitcnt vmcnt(0)
	v_add_co_u32_e32 v0, vcc, v6, v0
	v_addc_co_u32_e32 v1, vcc, v7, v1, vcc
	global_load_dwordx2 v[0:1], v[0:1], off glc
	s_waitcnt vmcnt(0)
	global_atomic_cmpswap_x2 v[6:7], v8, v[0:3], s[10:11] offset:24 glc
	s_waitcnt vmcnt(0)
	buffer_invl2
	buffer_wbinvl1_vol
	v_cmp_ne_u64_e32 vcc, v[6:7], v[2:3]
	s_and_saveexec_b64 s[12:13], vcc
	s_cbranch_execz .LBB1_5
; %bb.2:
	s_mov_b64 s[14:15], 0
.LBB1_3:                                ; =>This Inner Loop Header: Depth=1
	s_sleep 1
	global_load_dwordx2 v[0:1], v8, s[10:11] offset:40
	global_load_dwordx2 v[10:11], v8, s[10:11]
	v_pk_mov_b32 v[2:3], v[6:7], v[6:7] op_sel:[0,1]
	s_waitcnt vmcnt(1)
	v_and_b32_e32 v0, v0, v2
	v_and_b32_e32 v7, v1, v3
	s_waitcnt vmcnt(0)
	v_mad_u64_u32 v[0:1], s[16:17], v0, 24, v[10:11]
	v_mov_b32_e32 v6, v1
	v_mad_u64_u32 v[6:7], s[16:17], v7, 24, v[6:7]
	v_mov_b32_e32 v1, v6
	global_load_dwordx2 v[0:1], v[0:1], off glc
	s_waitcnt vmcnt(0)
	global_atomic_cmpswap_x2 v[6:7], v8, v[0:3], s[10:11] offset:24 glc
	s_waitcnt vmcnt(0)
	buffer_invl2
	buffer_wbinvl1_vol
	v_cmp_eq_u64_e32 vcc, v[6:7], v[2:3]
	s_or_b64 s[14:15], vcc, s[14:15]
	s_andn2_b64 exec, exec, s[14:15]
	s_cbranch_execnz .LBB1_3
; %bb.4:
	s_or_b64 exec, exec, s[14:15]
.LBB1_5:
	s_or_b64 exec, exec, s[12:13]
.LBB1_6:
	s_or_b64 exec, exec, s[6:7]
	s_waitcnt lgkmcnt(0)
	global_load_dwordx2 v[10:11], v8, s[10:11] offset:40
	global_load_dwordx4 v[0:3], v8, s[10:11]
	v_readfirstlane_b32 s6, v6
	v_readfirstlane_b32 s7, v7
	s_mov_b64 s[12:13], exec
	s_waitcnt vmcnt(1)
	v_readfirstlane_b32 s14, v10
	v_readfirstlane_b32 s15, v11
	s_and_b64 s[14:15], s[6:7], s[14:15]
	s_mul_i32 s16, s15, 24
	s_mul_hi_u32 s17, s14, 24
	s_mul_i32 s18, s14, 24
	s_add_i32 s16, s17, s16
	v_mov_b32_e32 v6, s16
	s_waitcnt vmcnt(0)
	v_add_co_u32_e32 v10, vcc, s18, v0
	v_addc_co_u32_e32 v11, vcc, v1, v6, vcc
	s_and_saveexec_b64 s[16:17], s[4:5]
	s_cbranch_execz .LBB1_8
; %bb.7:
	v_pk_mov_b32 v[6:7], s[12:13], s[12:13] op_sel:[0,1]
	v_mov_b32_e32 v8, 2
	v_mov_b32_e32 v9, 1
	global_store_dwordx4 v[10:11], v[6:9], off offset:8
.LBB1_8:
	s_or_b64 exec, exec, s[16:17]
	s_lshl_b64 s[12:13], s[14:15], 12
	v_mov_b32_e32 v6, s13
	v_add_co_u32_e32 v2, vcc, s12, v2
	s_mov_b32 s12, 0
	v_addc_co_u32_e32 v3, vcc, v3, v6, vcc
	v_lshlrev_b32_e32 v36, 6, v37
	s_mov_b32 s14, s12
	s_mov_b32 s15, s12
	v_mov_b32_e32 v7, 0
	v_add_co_u32_e32 v12, vcc, v2, v36
	s_mov_b32 s13, s12
	v_pk_mov_b32 v[16:17], s[14:15], s[14:15] op_sel:[0,1]
	v_addc_co_u32_e32 v13, vcc, 0, v3, vcc
	v_mov_b32_e32 v6, 33
	v_mov_b32_e32 v8, 1
	;; [unrolled: 1-line block ×3, first 2 shown]
	v_readfirstlane_b32 s16, v2
	v_readfirstlane_b32 s17, v3
	v_pk_mov_b32 v[14:15], s[12:13], s[12:13] op_sel:[0,1]
	s_nop 3
	global_store_dwordx4 v36, v[6:9], s[16:17]
	global_store_dwordx4 v36, v[14:17], s[16:17] offset:16
	global_store_dwordx4 v36, v[14:17], s[16:17] offset:32
	global_store_dwordx4 v36, v[14:17], s[16:17] offset:48
	s_and_saveexec_b64 s[12:13], s[4:5]
	s_cbranch_execz .LBB1_16
; %bb.9:
	global_load_dwordx2 v[16:17], v7, s[10:11] offset:32 glc
	global_load_dwordx2 v[2:3], v7, s[10:11] offset:40
	v_mov_b32_e32 v14, s6
	v_mov_b32_e32 v15, s7
	s_waitcnt vmcnt(0)
	v_and_b32_e32 v2, s6, v2
	v_and_b32_e32 v3, s7, v3
	v_mul_lo_u32 v3, v3, 24
	v_mul_hi_u32 v6, v2, 24
	v_mul_lo_u32 v2, v2, 24
	v_add_u32_e32 v3, v6, v3
	v_add_co_u32_e32 v8, vcc, v0, v2
	v_addc_co_u32_e32 v9, vcc, v1, v3, vcc
	global_store_dwordx2 v[8:9], v[16:17], off
	buffer_wbl2
	s_waitcnt vmcnt(0)
	global_atomic_cmpswap_x2 v[2:3], v7, v[14:17], s[10:11] offset:32 glc
	s_waitcnt vmcnt(0)
	v_cmp_ne_u64_e32 vcc, v[2:3], v[16:17]
	s_and_saveexec_b64 s[14:15], vcc
	s_cbranch_execz .LBB1_12
; %bb.10:
	s_mov_b64 s[16:17], 0
.LBB1_11:                               ; =>This Inner Loop Header: Depth=1
	s_sleep 1
	global_store_dwordx2 v[8:9], v[2:3], off
	v_mov_b32_e32 v0, s6
	v_mov_b32_e32 v1, s7
	buffer_wbl2
	s_waitcnt vmcnt(0)
	global_atomic_cmpswap_x2 v[0:1], v7, v[0:3], s[10:11] offset:32 glc
	s_waitcnt vmcnt(0)
	v_cmp_eq_u64_e32 vcc, v[0:1], v[2:3]
	s_or_b64 s[16:17], vcc, s[16:17]
	v_pk_mov_b32 v[2:3], v[0:1], v[0:1] op_sel:[0,1]
	s_andn2_b64 exec, exec, s[16:17]
	s_cbranch_execnz .LBB1_11
.LBB1_12:
	s_or_b64 exec, exec, s[14:15]
	v_mov_b32_e32 v3, 0
	global_load_dwordx2 v[0:1], v3, s[10:11] offset:16
	s_mov_b64 s[14:15], exec
	v_mbcnt_lo_u32_b32 v2, s14, 0
	v_mbcnt_hi_u32_b32 v2, s15, v2
	v_cmp_eq_u32_e32 vcc, 0, v2
	s_and_saveexec_b64 s[16:17], vcc
	s_cbranch_execz .LBB1_14
; %bb.13:
	s_bcnt1_i32_b64 s14, s[14:15]
	v_mov_b32_e32 v2, s14
	buffer_wbl2
	s_waitcnt vmcnt(0)
	global_atomic_add_x2 v[0:1], v[2:3], off offset:8
.LBB1_14:
	s_or_b64 exec, exec, s[16:17]
	s_waitcnt vmcnt(0)
	global_load_dwordx2 v[2:3], v[0:1], off offset:16
	s_waitcnt vmcnt(0)
	v_cmp_eq_u64_e32 vcc, 0, v[2:3]
	s_cbranch_vccnz .LBB1_16
; %bb.15:
	global_load_dword v0, v[0:1], off offset:24
	v_mov_b32_e32 v1, 0
	buffer_wbl2
	s_waitcnt vmcnt(0)
	global_store_dwordx2 v[2:3], v[0:1], off
	v_and_b32_e32 v0, 0xffffff, v0
	v_readfirstlane_b32 m0, v0
	s_sendmsg sendmsg(MSG_INTERRUPT)
.LBB1_16:
	s_or_b64 exec, exec, s[12:13]
	s_branch .LBB1_20
.LBB1_17:                               ;   in Loop: Header=BB1_20 Depth=1
	s_or_b64 exec, exec, s[12:13]
	v_readfirstlane_b32 s12, v0
	s_cmp_eq_u32 s12, 0
	s_cbranch_scc1 .LBB1_19
; %bb.18:                               ;   in Loop: Header=BB1_20 Depth=1
	s_sleep 1
	s_cbranch_execnz .LBB1_20
	s_branch .LBB1_22
.LBB1_19:
	s_branch .LBB1_22
.LBB1_20:                               ; =>This Inner Loop Header: Depth=1
	v_mov_b32_e32 v0, 1
	s_and_saveexec_b64 s[12:13], s[4:5]
	s_cbranch_execz .LBB1_17
; %bb.21:                               ;   in Loop: Header=BB1_20 Depth=1
	global_load_dword v0, v[10:11], off offset:20 glc
	s_waitcnt vmcnt(0)
	buffer_invl2
	buffer_wbinvl1_vol
	v_and_b32_e32 v0, 1, v0
	s_branch .LBB1_17
.LBB1_22:
	global_load_dwordx2 v[6:7], v[12:13], off
	s_and_saveexec_b64 s[12:13], s[4:5]
	s_cbranch_execz .LBB1_25
; %bb.23:
	v_mov_b32_e32 v10, 0
	global_load_dwordx2 v[8:9], v10, s[10:11] offset:40
	global_load_dwordx2 v[12:13], v10, s[10:11] offset:24 glc
	global_load_dwordx2 v[14:15], v10, s[10:11]
	v_mov_b32_e32 v1, s7
	s_mov_b64 s[4:5], 0
	s_waitcnt vmcnt(2)
	v_add_co_u32_e32 v3, vcc, 1, v8
	v_addc_co_u32_e32 v11, vcc, 0, v9, vcc
	v_add_co_u32_e32 v0, vcc, s6, v3
	v_addc_co_u32_e32 v1, vcc, v11, v1, vcc
	v_cmp_eq_u64_e32 vcc, 0, v[0:1]
	v_cndmask_b32_e32 v1, v1, v11, vcc
	v_cndmask_b32_e32 v0, v0, v3, vcc
	v_and_b32_e32 v3, v1, v9
	v_and_b32_e32 v8, v0, v8
	v_mul_lo_u32 v3, v3, 24
	v_mul_hi_u32 v9, v8, 24
	v_mul_lo_u32 v8, v8, 24
	v_add_u32_e32 v3, v9, v3
	s_waitcnt vmcnt(0)
	v_add_co_u32_e32 v8, vcc, v14, v8
	v_addc_co_u32_e32 v9, vcc, v15, v3, vcc
	v_mov_b32_e32 v2, v12
	global_store_dwordx2 v[8:9], v[12:13], off
	v_mov_b32_e32 v3, v13
	buffer_wbl2
	s_waitcnt vmcnt(0)
	global_atomic_cmpswap_x2 v[2:3], v10, v[0:3], s[10:11] offset:24 glc
	s_waitcnt vmcnt(0)
	v_cmp_ne_u64_e32 vcc, v[2:3], v[12:13]
	s_and_b64 exec, exec, vcc
	s_cbranch_execz .LBB1_25
.LBB1_24:                               ; =>This Inner Loop Header: Depth=1
	s_sleep 1
	global_store_dwordx2 v[8:9], v[2:3], off
	buffer_wbl2
	s_waitcnt vmcnt(0)
	global_atomic_cmpswap_x2 v[12:13], v10, v[0:3], s[10:11] offset:24 glc
	s_waitcnt vmcnt(0)
	v_cmp_eq_u64_e32 vcc, v[12:13], v[2:3]
	s_or_b64 s[4:5], vcc, s[4:5]
	v_pk_mov_b32 v[2:3], v[12:13], v[12:13] op_sel:[0,1]
	s_andn2_b64 exec, exec, s[4:5]
	s_cbranch_execnz .LBB1_24
.LBB1_25:
	s_or_b64 exec, exec, s[12:13]
	v_lshrrev_b32_e64 v1, 6, s33
	s_mov_b64 s[4:5], 0
.LBB1_26:                               ; =>This Inner Loop Header: Depth=1
	buffer_load_ubyte v2, v1, s[0:3], 0 offen
	v_add_u32_e32 v0, 1, v1
	v_mov_b32_e32 v1, v0
	s_waitcnt vmcnt(0)
	v_cmp_eq_u16_e32 vcc, 0, v2
	s_or_b64 s[4:5], vcc, s[4:5]
	s_andn2_b64 exec, exec, s[4:5]
	s_cbranch_execnz .LBB1_26
; %bb.27:
	s_or_b64 exec, exec, s[4:5]
	v_lshrrev_b32_e64 v31, 6, s33
	v_cmp_ne_u32_e32 vcc, -1, v31
	s_cbranch_vccz .LBB1_112
; %bb.28:
	v_lshrrev_b32_e64 v1, 6, s33
	v_subrev_u32_e32 v28, v1, v0
	v_ashrrev_i32_e32 v29, 31, v28
	v_and_b32_e32 v30, 2, v6
	v_mov_b32_e32 v33, 0
	v_and_b32_e32 v0, -3, v6
	v_mov_b32_e32 v1, v7
	s_mov_b64 s[12:13], 0
	s_mov_b32 s20, 0
	s_movk_i32 s21, 0xff1f
	v_mov_b32_e32 v10, 2
	v_mov_b32_e32 v11, 1
	s_branch .LBB1_30
.LBB1_29:                               ;   in Loop: Header=BB1_30 Depth=1
	s_or_b64 exec, exec, s[6:7]
	v_sub_co_u32_e32 v28, vcc, v28, v38
	v_subb_co_u32_e32 v29, vcc, v29, v39, vcc
	v_cmp_eq_u64_e32 vcc, 0, v[28:29]
	s_or_b64 s[12:13], vcc, s[12:13]
	v_add_u32_e32 v31, v31, v38
	s_andn2_b64 exec, exec, s[12:13]
	s_cbranch_execz .LBB1_113
.LBB1_30:                               ; =>This Loop Header: Depth=1
                                        ;     Child Loop BB1_33 Depth 2
                                        ;     Child Loop BB1_41 Depth 2
	;; [unrolled: 1-line block ×11, first 2 shown]
	v_cmp_gt_u64_e32 vcc, 56, v[28:29]
	v_cndmask_b32_e32 v38, 56, v28, vcc
	v_cmp_gt_u64_e64 s[4:5], 8, v[28:29]
                                        ; implicit-def: $vgpr2_vgpr3
                                        ; implicit-def: $sgpr14
	s_and_saveexec_b64 s[6:7], s[4:5]
	s_xor_b64 s[6:7], exec, s[6:7]
	s_cbranch_execz .LBB1_36
; %bb.31:                               ;   in Loop: Header=BB1_30 Depth=1
	s_mov_b64 s[16:17], 0
	v_cmp_ne_u64_e64 s[4:5], 0, v[28:29]
	s_waitcnt vmcnt(0)
	v_pk_mov_b32 v[2:3], 0, 0
	s_and_saveexec_b64 s[14:15], s[4:5]
	s_cbranch_execz .LBB1_35
; %bb.32:                               ;   in Loop: Header=BB1_30 Depth=1
	s_mov_b32 s22, 0
	v_pk_mov_b32 v[2:3], 0, 0
	s_mov_b64 s[18:19], 0
.LBB1_33:                               ;   Parent Loop BB1_30 Depth=1
                                        ; =>  This Inner Loop Header: Depth=2
	v_add_u32_e32 v8, s22, v31
	buffer_load_ubyte v8, v8, s[0:3], 0 offen
	v_mov_b32_e32 v9, s20
	s_add_i32 s22, s22, 1
	v_cmp_eq_u32_e64 s[4:5], s22, v38
	s_waitcnt vmcnt(0)
	v_and_b32_e32 v8, 0xffff, v8
	v_lshlrev_b64 v[8:9], s18, v[8:9]
	s_add_u32 s18, s18, 8
	s_addc_u32 s19, s19, 0
	v_or_b32_e32 v3, v9, v3
	s_or_b64 s[16:17], s[4:5], s[16:17]
	v_or_b32_e32 v2, v8, v2
	s_andn2_b64 exec, exec, s[16:17]
	s_cbranch_execnz .LBB1_33
; %bb.34:                               ;   in Loop: Header=BB1_30 Depth=1
	s_or_b64 exec, exec, s[16:17]
.LBB1_35:                               ;   in Loop: Header=BB1_30 Depth=1
	s_or_b64 exec, exec, s[14:15]
	s_mov_b32 s14, 0
.LBB1_36:                               ;   in Loop: Header=BB1_30 Depth=1
	s_or_saveexec_b64 s[4:5], s[6:7]
	v_mov_b32_e32 v9, s14
	v_mov_b32_e32 v8, v31
	s_xor_b64 exec, exec, s[4:5]
	s_cbranch_execz .LBB1_38
; %bb.37:                               ;   in Loop: Header=BB1_30 Depth=1
	buffer_load_dword v2, v31, s[0:3], 0 offen offset:4
	buffer_load_dword v3, v31, s[0:3], 0 offen
	v_add_u32_e32 v9, -8, v38
	s_waitcnt vmcnt(1)
	v_and_b32_e32 v8, 0xff, v2
	v_and_b32_e32 v12, 0xff00, v2
	s_waitcnt vmcnt(0)
	v_or3_b32 v3, v3, 0, 0
	v_and_b32_e32 v13, 0xff0000, v2
	v_and_b32_e32 v14, 0xff000000, v2
	v_or3_b32 v8, 0, v8, v12
	v_or3_b32 v2, v3, 0, 0
	;; [unrolled: 1-line block ×3, first 2 shown]
	v_add_u32_e32 v8, 8, v31
.LBB1_38:                               ;   in Loop: Header=BB1_30 Depth=1
	s_or_b64 exec, exec, s[4:5]
	v_cmp_gt_u32_e64 s[4:5], 8, v9
                                        ; implicit-def: $vgpr12_vgpr13
                                        ; implicit-def: $sgpr14
	s_and_saveexec_b64 s[6:7], s[4:5]
	s_xor_b64 s[6:7], exec, s[6:7]
	s_cbranch_execz .LBB1_44
; %bb.39:                               ;   in Loop: Header=BB1_30 Depth=1
	v_cmp_ne_u32_e64 s[4:5], 0, v9
	v_pk_mov_b32 v[12:13], 0, 0
	s_and_saveexec_b64 s[14:15], s[4:5]
	s_cbranch_execz .LBB1_43
; %bb.40:                               ;   in Loop: Header=BB1_30 Depth=1
	s_mov_b32 s22, 0
	s_mov_b64 s[16:17], 0
	v_pk_mov_b32 v[12:13], 0, 0
	s_mov_b64 s[18:19], 0
.LBB1_41:                               ;   Parent Loop BB1_30 Depth=1
                                        ; =>  This Inner Loop Header: Depth=2
	v_add_u32_e32 v14, s22, v8
	buffer_load_ubyte v14, v14, s[0:3], 0 offen
	v_mov_b32_e32 v15, s20
	s_add_i32 s22, s22, 1
	v_cmp_eq_u32_e64 s[4:5], s22, v9
	s_waitcnt vmcnt(0)
	v_and_b32_e32 v14, 0xffff, v14
	v_lshlrev_b64 v[14:15], s18, v[14:15]
	s_add_u32 s18, s18, 8
	s_addc_u32 s19, s19, 0
	v_or_b32_e32 v13, v15, v13
	s_or_b64 s[16:17], s[4:5], s[16:17]
	v_or_b32_e32 v12, v14, v12
	s_andn2_b64 exec, exec, s[16:17]
	s_cbranch_execnz .LBB1_41
; %bb.42:                               ;   in Loop: Header=BB1_30 Depth=1
	s_or_b64 exec, exec, s[16:17]
.LBB1_43:                               ;   in Loop: Header=BB1_30 Depth=1
	s_or_b64 exec, exec, s[14:15]
	s_mov_b32 s14, 0
                                        ; implicit-def: $vgpr9
.LBB1_44:                               ;   in Loop: Header=BB1_30 Depth=1
	s_or_saveexec_b64 s[4:5], s[6:7]
	v_mov_b32_e32 v16, s14
	s_xor_b64 exec, exec, s[4:5]
	s_cbranch_execz .LBB1_46
; %bb.45:                               ;   in Loop: Header=BB1_30 Depth=1
	buffer_load_dword v12, v8, s[0:3], 0 offen offset:4
	buffer_load_dword v13, v8, s[0:3], 0 offen
	v_add_u32_e32 v16, -8, v9
	v_add_u32_e32 v8, 8, v8
	s_waitcnt vmcnt(1)
	v_and_b32_e32 v9, 0xff, v12
	v_and_b32_e32 v14, 0xff00, v12
	s_waitcnt vmcnt(0)
	v_or3_b32 v13, v13, 0, 0
	v_and_b32_e32 v15, 0xff0000, v12
	v_and_b32_e32 v17, 0xff000000, v12
	v_or3_b32 v9, 0, v9, v14
	v_or3_b32 v12, v13, 0, 0
	;; [unrolled: 1-line block ×3, first 2 shown]
.LBB1_46:                               ;   in Loop: Header=BB1_30 Depth=1
	s_or_b64 exec, exec, s[4:5]
	v_cmp_gt_u32_e64 s[4:5], 8, v16
                                        ; implicit-def: $sgpr14
	s_and_saveexec_b64 s[6:7], s[4:5]
	s_xor_b64 s[6:7], exec, s[6:7]
	s_cbranch_execz .LBB1_52
; %bb.47:                               ;   in Loop: Header=BB1_30 Depth=1
	v_cmp_ne_u32_e64 s[4:5], 0, v16
	v_pk_mov_b32 v[14:15], 0, 0
	s_and_saveexec_b64 s[14:15], s[4:5]
	s_cbranch_execz .LBB1_51
; %bb.48:                               ;   in Loop: Header=BB1_30 Depth=1
	s_mov_b32 s22, 0
	s_mov_b64 s[16:17], 0
	v_pk_mov_b32 v[14:15], 0, 0
	s_mov_b64 s[18:19], 0
.LBB1_49:                               ;   Parent Loop BB1_30 Depth=1
                                        ; =>  This Inner Loop Header: Depth=2
	v_add_u32_e32 v9, s22, v8
	buffer_load_ubyte v9, v9, s[0:3], 0 offen
	v_mov_b32_e32 v19, s20
	s_add_i32 s22, s22, 1
	v_cmp_eq_u32_e64 s[4:5], s22, v16
	s_waitcnt vmcnt(0)
	v_and_b32_e32 v18, 0xffff, v9
	v_lshlrev_b64 v[18:19], s18, v[18:19]
	s_add_u32 s18, s18, 8
	s_addc_u32 s19, s19, 0
	v_or_b32_e32 v15, v19, v15
	s_or_b64 s[16:17], s[4:5], s[16:17]
	v_or_b32_e32 v14, v18, v14
	s_andn2_b64 exec, exec, s[16:17]
	s_cbranch_execnz .LBB1_49
; %bb.50:                               ;   in Loop: Header=BB1_30 Depth=1
	s_or_b64 exec, exec, s[16:17]
.LBB1_51:                               ;   in Loop: Header=BB1_30 Depth=1
	s_or_b64 exec, exec, s[14:15]
	s_mov_b32 s14, 0
                                        ; implicit-def: $vgpr16
.LBB1_52:                               ;   in Loop: Header=BB1_30 Depth=1
	s_or_saveexec_b64 s[4:5], s[6:7]
	v_mov_b32_e32 v9, s14
	s_xor_b64 exec, exec, s[4:5]
	s_cbranch_execz .LBB1_54
; %bb.53:                               ;   in Loop: Header=BB1_30 Depth=1
	buffer_load_dword v14, v8, s[0:3], 0 offen offset:4
	buffer_load_dword v15, v8, s[0:3], 0 offen
	v_add_u32_e32 v9, -8, v16
	v_add_u32_e32 v8, 8, v8
	s_waitcnt vmcnt(1)
	v_and_b32_e32 v16, 0xff, v14
	v_and_b32_e32 v17, 0xff00, v14
	s_waitcnt vmcnt(0)
	v_or3_b32 v15, v15, 0, 0
	v_and_b32_e32 v18, 0xff0000, v14
	v_and_b32_e32 v19, 0xff000000, v14
	v_or3_b32 v16, 0, v16, v17
	v_or3_b32 v14, v15, 0, 0
	;; [unrolled: 1-line block ×3, first 2 shown]
.LBB1_54:                               ;   in Loop: Header=BB1_30 Depth=1
	s_or_b64 exec, exec, s[4:5]
	v_cmp_gt_u32_e64 s[4:5], 8, v9
                                        ; implicit-def: $vgpr16_vgpr17
                                        ; implicit-def: $sgpr14
	s_and_saveexec_b64 s[6:7], s[4:5]
	s_xor_b64 s[6:7], exec, s[6:7]
	s_cbranch_execz .LBB1_60
; %bb.55:                               ;   in Loop: Header=BB1_30 Depth=1
	v_cmp_ne_u32_e64 s[4:5], 0, v9
	v_pk_mov_b32 v[16:17], 0, 0
	s_and_saveexec_b64 s[14:15], s[4:5]
	s_cbranch_execz .LBB1_59
; %bb.56:                               ;   in Loop: Header=BB1_30 Depth=1
	s_mov_b32 s22, 0
	s_mov_b64 s[16:17], 0
	v_pk_mov_b32 v[16:17], 0, 0
	s_mov_b64 s[18:19], 0
.LBB1_57:                               ;   Parent Loop BB1_30 Depth=1
                                        ; =>  This Inner Loop Header: Depth=2
	v_add_u32_e32 v18, s22, v8
	buffer_load_ubyte v18, v18, s[0:3], 0 offen
	v_mov_b32_e32 v19, s20
	s_add_i32 s22, s22, 1
	v_cmp_eq_u32_e64 s[4:5], s22, v9
	s_waitcnt vmcnt(0)
	v_and_b32_e32 v18, 0xffff, v18
	v_lshlrev_b64 v[18:19], s18, v[18:19]
	s_add_u32 s18, s18, 8
	s_addc_u32 s19, s19, 0
	v_or_b32_e32 v17, v19, v17
	s_or_b64 s[16:17], s[4:5], s[16:17]
	v_or_b32_e32 v16, v18, v16
	s_andn2_b64 exec, exec, s[16:17]
	s_cbranch_execnz .LBB1_57
; %bb.58:                               ;   in Loop: Header=BB1_30 Depth=1
	s_or_b64 exec, exec, s[16:17]
.LBB1_59:                               ;   in Loop: Header=BB1_30 Depth=1
	s_or_b64 exec, exec, s[14:15]
	s_mov_b32 s14, 0
                                        ; implicit-def: $vgpr9
.LBB1_60:                               ;   in Loop: Header=BB1_30 Depth=1
	s_or_saveexec_b64 s[4:5], s[6:7]
	v_mov_b32_e32 v20, s14
	s_xor_b64 exec, exec, s[4:5]
	s_cbranch_execz .LBB1_62
; %bb.61:                               ;   in Loop: Header=BB1_30 Depth=1
	buffer_load_dword v16, v8, s[0:3], 0 offen offset:4
	buffer_load_dword v17, v8, s[0:3], 0 offen
	v_add_u32_e32 v20, -8, v9
	v_add_u32_e32 v8, 8, v8
	s_waitcnt vmcnt(1)
	v_and_b32_e32 v9, 0xff, v16
	v_and_b32_e32 v18, 0xff00, v16
	s_waitcnt vmcnt(0)
	v_or3_b32 v17, v17, 0, 0
	v_and_b32_e32 v19, 0xff0000, v16
	v_and_b32_e32 v21, 0xff000000, v16
	v_or3_b32 v9, 0, v9, v18
	v_or3_b32 v16, v17, 0, 0
	v_or3_b32 v17, v9, v19, v21
.LBB1_62:                               ;   in Loop: Header=BB1_30 Depth=1
	s_or_b64 exec, exec, s[4:5]
	v_cmp_gt_u32_e64 s[4:5], 8, v20
                                        ; implicit-def: $sgpr14
	s_and_saveexec_b64 s[6:7], s[4:5]
	s_xor_b64 s[6:7], exec, s[6:7]
	s_cbranch_execz .LBB1_68
; %bb.63:                               ;   in Loop: Header=BB1_30 Depth=1
	v_cmp_ne_u32_e64 s[4:5], 0, v20
	v_pk_mov_b32 v[18:19], 0, 0
	s_and_saveexec_b64 s[14:15], s[4:5]
	s_cbranch_execz .LBB1_67
; %bb.64:                               ;   in Loop: Header=BB1_30 Depth=1
	s_mov_b32 s22, 0
	s_mov_b64 s[16:17], 0
	v_pk_mov_b32 v[18:19], 0, 0
	s_mov_b64 s[18:19], 0
.LBB1_65:                               ;   Parent Loop BB1_30 Depth=1
                                        ; =>  This Inner Loop Header: Depth=2
	v_add_u32_e32 v9, s22, v8
	buffer_load_ubyte v9, v9, s[0:3], 0 offen
	v_mov_b32_e32 v23, s20
	s_add_i32 s22, s22, 1
	v_cmp_eq_u32_e64 s[4:5], s22, v20
	s_waitcnt vmcnt(0)
	v_and_b32_e32 v22, 0xffff, v9
	v_lshlrev_b64 v[22:23], s18, v[22:23]
	s_add_u32 s18, s18, 8
	s_addc_u32 s19, s19, 0
	v_or_b32_e32 v19, v23, v19
	s_or_b64 s[16:17], s[4:5], s[16:17]
	v_or_b32_e32 v18, v22, v18
	s_andn2_b64 exec, exec, s[16:17]
	s_cbranch_execnz .LBB1_65
; %bb.66:                               ;   in Loop: Header=BB1_30 Depth=1
	s_or_b64 exec, exec, s[16:17]
.LBB1_67:                               ;   in Loop: Header=BB1_30 Depth=1
	s_or_b64 exec, exec, s[14:15]
	s_mov_b32 s14, 0
                                        ; implicit-def: $vgpr20
.LBB1_68:                               ;   in Loop: Header=BB1_30 Depth=1
	s_or_saveexec_b64 s[4:5], s[6:7]
	v_mov_b32_e32 v9, s14
	s_xor_b64 exec, exec, s[4:5]
	s_cbranch_execz .LBB1_70
; %bb.69:                               ;   in Loop: Header=BB1_30 Depth=1
	buffer_load_dword v18, v8, s[0:3], 0 offen offset:4
	buffer_load_dword v19, v8, s[0:3], 0 offen
	v_add_u32_e32 v9, -8, v20
	v_add_u32_e32 v8, 8, v8
	s_waitcnt vmcnt(1)
	v_and_b32_e32 v20, 0xff, v18
	v_and_b32_e32 v21, 0xff00, v18
	s_waitcnt vmcnt(0)
	v_or3_b32 v19, v19, 0, 0
	v_and_b32_e32 v22, 0xff0000, v18
	v_and_b32_e32 v23, 0xff000000, v18
	v_or3_b32 v20, 0, v20, v21
	v_or3_b32 v18, v19, 0, 0
	v_or3_b32 v19, v20, v22, v23
.LBB1_70:                               ;   in Loop: Header=BB1_30 Depth=1
	s_or_b64 exec, exec, s[4:5]
	v_cmp_gt_u32_e64 s[4:5], 8, v9
                                        ; implicit-def: $vgpr20_vgpr21
                                        ; implicit-def: $sgpr14
	s_and_saveexec_b64 s[6:7], s[4:5]
	s_xor_b64 s[6:7], exec, s[6:7]
	s_cbranch_execz .LBB1_76
; %bb.71:                               ;   in Loop: Header=BB1_30 Depth=1
	v_cmp_ne_u32_e64 s[4:5], 0, v9
	v_pk_mov_b32 v[20:21], 0, 0
	s_and_saveexec_b64 s[14:15], s[4:5]
	s_cbranch_execz .LBB1_75
; %bb.72:                               ;   in Loop: Header=BB1_30 Depth=1
	s_mov_b32 s22, 0
	s_mov_b64 s[16:17], 0
	v_pk_mov_b32 v[20:21], 0, 0
	s_mov_b64 s[18:19], 0
.LBB1_73:                               ;   Parent Loop BB1_30 Depth=1
                                        ; =>  This Inner Loop Header: Depth=2
	v_add_u32_e32 v22, s22, v8
	buffer_load_ubyte v22, v22, s[0:3], 0 offen
	v_mov_b32_e32 v23, s20
	s_add_i32 s22, s22, 1
	v_cmp_eq_u32_e64 s[4:5], s22, v9
	s_waitcnt vmcnt(0)
	v_and_b32_e32 v22, 0xffff, v22
	v_lshlrev_b64 v[22:23], s18, v[22:23]
	s_add_u32 s18, s18, 8
	s_addc_u32 s19, s19, 0
	v_or_b32_e32 v21, v23, v21
	s_or_b64 s[16:17], s[4:5], s[16:17]
	v_or_b32_e32 v20, v22, v20
	s_andn2_b64 exec, exec, s[16:17]
	s_cbranch_execnz .LBB1_73
; %bb.74:                               ;   in Loop: Header=BB1_30 Depth=1
	s_or_b64 exec, exec, s[16:17]
.LBB1_75:                               ;   in Loop: Header=BB1_30 Depth=1
	s_or_b64 exec, exec, s[14:15]
	s_mov_b32 s14, 0
                                        ; implicit-def: $vgpr9
.LBB1_76:                               ;   in Loop: Header=BB1_30 Depth=1
	s_or_saveexec_b64 s[4:5], s[6:7]
	v_mov_b32_e32 v24, s14
	s_xor_b64 exec, exec, s[4:5]
	s_cbranch_execz .LBB1_78
; %bb.77:                               ;   in Loop: Header=BB1_30 Depth=1
	buffer_load_dword v20, v8, s[0:3], 0 offen offset:4
	buffer_load_dword v21, v8, s[0:3], 0 offen
	v_add_u32_e32 v24, -8, v9
	v_add_u32_e32 v8, 8, v8
	s_waitcnt vmcnt(1)
	v_and_b32_e32 v9, 0xff, v20
	v_and_b32_e32 v22, 0xff00, v20
	s_waitcnt vmcnt(0)
	v_or3_b32 v21, v21, 0, 0
	v_and_b32_e32 v23, 0xff0000, v20
	v_and_b32_e32 v25, 0xff000000, v20
	v_or3_b32 v9, 0, v9, v22
	v_or3_b32 v20, v21, 0, 0
	;; [unrolled: 1-line block ×3, first 2 shown]
.LBB1_78:                               ;   in Loop: Header=BB1_30 Depth=1
	s_or_b64 exec, exec, s[4:5]
	v_cmp_gt_u32_e64 s[4:5], 8, v24
	s_and_saveexec_b64 s[6:7], s[4:5]
	s_xor_b64 s[6:7], exec, s[6:7]
	s_cbranch_execz .LBB1_84
; %bb.79:                               ;   in Loop: Header=BB1_30 Depth=1
	v_cmp_ne_u32_e64 s[4:5], 0, v24
	v_pk_mov_b32 v[22:23], 0, 0
	s_and_saveexec_b64 s[14:15], s[4:5]
	s_cbranch_execz .LBB1_83
; %bb.80:                               ;   in Loop: Header=BB1_30 Depth=1
	s_mov_b64 s[16:17], 0
	v_pk_mov_b32 v[22:23], 0, 0
	s_mov_b64 s[18:19], 0
.LBB1_81:                               ;   Parent Loop BB1_30 Depth=1
                                        ; =>  This Inner Loop Header: Depth=2
	buffer_load_ubyte v9, v8, s[0:3], 0 offen
	v_mov_b32_e32 v27, s20
	v_add_u32_e32 v24, -1, v24
	v_cmp_eq_u32_e64 s[4:5], 0, v24
	v_add_u32_e32 v8, 1, v8
	s_waitcnt vmcnt(0)
	v_and_b32_e32 v26, 0xffff, v9
	v_lshlrev_b64 v[26:27], s18, v[26:27]
	s_add_u32 s18, s18, 8
	s_addc_u32 s19, s19, 0
	v_or_b32_e32 v23, v27, v23
	s_or_b64 s[16:17], s[4:5], s[16:17]
	v_or_b32_e32 v22, v26, v22
	s_andn2_b64 exec, exec, s[16:17]
	s_cbranch_execnz .LBB1_81
; %bb.82:                               ;   in Loop: Header=BB1_30 Depth=1
	s_or_b64 exec, exec, s[16:17]
.LBB1_83:                               ;   in Loop: Header=BB1_30 Depth=1
	s_or_b64 exec, exec, s[14:15]
                                        ; implicit-def: $vgpr8
.LBB1_84:                               ;   in Loop: Header=BB1_30 Depth=1
	s_andn2_saveexec_b64 s[4:5], s[6:7]
	s_cbranch_execz .LBB1_86
; %bb.85:                               ;   in Loop: Header=BB1_30 Depth=1
	buffer_load_dword v9, v8, s[0:3], 0 offen offset:4
	buffer_load_dword v22, v8, s[0:3], 0 offen
	s_waitcnt vmcnt(1)
	v_and_b32_e32 v8, 0xff, v9
	v_and_b32_e32 v23, 0xff00, v9
	s_waitcnt vmcnt(0)
	v_or3_b32 v22, v22, 0, 0
	v_and_b32_e32 v24, 0xff0000, v9
	v_and_b32_e32 v9, 0xff000000, v9
	v_or3_b32 v8, 0, v8, v23
	v_or3_b32 v23, v8, v24, v9
	;; [unrolled: 1-line block ×3, first 2 shown]
.LBB1_86:                               ;   in Loop: Header=BB1_30 Depth=1
	s_or_b64 exec, exec, s[4:5]
	v_readfirstlane_b32 s4, v37
	v_cmp_eq_u32_e64 s[4:5], s4, v37
	v_pk_mov_b32 v[8:9], 0, 0
	s_and_saveexec_b64 s[14:15], s[4:5]
	s_cbranch_execz .LBB1_92
; %bb.87:                               ;   in Loop: Header=BB1_30 Depth=1
	global_load_dwordx2 v[26:27], v33, s[10:11] offset:24 glc
	s_waitcnt vmcnt(0)
	buffer_invl2
	buffer_wbinvl1_vol
	global_load_dwordx2 v[8:9], v33, s[10:11] offset:40
	global_load_dwordx2 v[24:25], v33, s[10:11]
	s_waitcnt vmcnt(1)
	v_and_b32_e32 v8, v8, v26
	v_and_b32_e32 v9, v9, v27
	v_mul_lo_u32 v9, v9, 24
	v_mul_hi_u32 v32, v8, 24
	v_mul_lo_u32 v8, v8, 24
	v_add_u32_e32 v9, v32, v9
	s_waitcnt vmcnt(0)
	v_add_co_u32_e64 v8, s[6:7], v24, v8
	v_addc_co_u32_e64 v9, s[6:7], v25, v9, s[6:7]
	global_load_dwordx2 v[24:25], v[8:9], off glc
	s_waitcnt vmcnt(0)
	global_atomic_cmpswap_x2 v[8:9], v33, v[24:27], s[10:11] offset:24 glc
	s_waitcnt vmcnt(0)
	buffer_invl2
	buffer_wbinvl1_vol
	v_cmp_ne_u64_e64 s[6:7], v[8:9], v[26:27]
	s_and_saveexec_b64 s[16:17], s[6:7]
	s_cbranch_execz .LBB1_91
; %bb.88:                               ;   in Loop: Header=BB1_30 Depth=1
	s_mov_b64 s[18:19], 0
.LBB1_89:                               ;   Parent Loop BB1_30 Depth=1
                                        ; =>  This Inner Loop Header: Depth=2
	s_sleep 1
	global_load_dwordx2 v[24:25], v33, s[10:11] offset:40
	global_load_dwordx2 v[34:35], v33, s[10:11]
	v_pk_mov_b32 v[26:27], v[8:9], v[8:9] op_sel:[0,1]
	s_waitcnt vmcnt(1)
	v_and_b32_e32 v8, v24, v26
	s_waitcnt vmcnt(0)
	v_mad_u64_u32 v[8:9], s[6:7], v8, 24, v[34:35]
	v_and_b32_e32 v25, v25, v27
	v_mov_b32_e32 v24, v9
	v_mad_u64_u32 v[24:25], s[6:7], v25, 24, v[24:25]
	v_mov_b32_e32 v9, v24
	global_load_dwordx2 v[24:25], v[8:9], off glc
	s_waitcnt vmcnt(0)
	global_atomic_cmpswap_x2 v[8:9], v33, v[24:27], s[10:11] offset:24 glc
	s_waitcnt vmcnt(0)
	buffer_invl2
	buffer_wbinvl1_vol
	v_cmp_eq_u64_e64 s[6:7], v[8:9], v[26:27]
	s_or_b64 s[18:19], s[6:7], s[18:19]
	s_andn2_b64 exec, exec, s[18:19]
	s_cbranch_execnz .LBB1_89
; %bb.90:                               ;   in Loop: Header=BB1_30 Depth=1
	s_or_b64 exec, exec, s[18:19]
.LBB1_91:                               ;   in Loop: Header=BB1_30 Depth=1
	s_or_b64 exec, exec, s[16:17]
.LBB1_92:                               ;   in Loop: Header=BB1_30 Depth=1
	s_or_b64 exec, exec, s[14:15]
	global_load_dwordx2 v[34:35], v33, s[10:11] offset:40
	global_load_dwordx4 v[24:27], v33, s[10:11]
	v_readfirstlane_b32 s14, v8
	v_readfirstlane_b32 s15, v9
	s_mov_b64 s[16:17], exec
	s_waitcnt vmcnt(1)
	v_readfirstlane_b32 s6, v34
	v_readfirstlane_b32 s7, v35
	s_and_b64 s[18:19], s[14:15], s[6:7]
	s_mul_i32 s6, s19, 24
	s_mul_hi_u32 s7, s18, 24
	s_mul_i32 s22, s18, 24
	s_add_i32 s6, s7, s6
	v_mov_b32_e32 v8, s6
	s_waitcnt vmcnt(0)
	v_add_co_u32_e64 v34, s[6:7], s22, v24
	v_addc_co_u32_e64 v35, s[6:7], v25, v8, s[6:7]
	s_and_saveexec_b64 s[6:7], s[4:5]
	s_cbranch_execz .LBB1_94
; %bb.93:                               ;   in Loop: Header=BB1_30 Depth=1
	v_pk_mov_b32 v[8:9], s[16:17], s[16:17] op_sel:[0,1]
	global_store_dwordx4 v[34:35], v[8:11], off offset:8
.LBB1_94:                               ;   in Loop: Header=BB1_30 Depth=1
	s_or_b64 exec, exec, s[6:7]
	s_lshl_b64 s[6:7], s[18:19], 12
	v_cndmask_b32_e32 v39, 0, v29, vcc
	v_mov_b32_e32 v9, s7
	v_add_co_u32_e32 v8, vcc, s6, v26
	v_addc_co_u32_e32 v9, vcc, v27, v9, vcc
	v_or_b32_e32 v26, 0, v1
	v_cmp_lt_u64_e32 vcc, 56, v[28:29]
	v_or_b32_e32 v27, v0, v30
	v_cndmask_b32_e32 v1, v26, v1, vcc
	v_lshl_add_u32 v26, v38, 2, 28
	v_cndmask_b32_e32 v0, v27, v0, vcc
	v_and_b32_e32 v26, 0x1e0, v26
	v_and_or_b32 v0, v0, s21, v26
	v_readfirstlane_b32 s6, v8
	v_readfirstlane_b32 s7, v9
	s_nop 4
	global_store_dwordx4 v36, v[0:3], s[6:7]
	global_store_dwordx4 v36, v[12:15], s[6:7] offset:16
	global_store_dwordx4 v36, v[16:19], s[6:7] offset:32
	;; [unrolled: 1-line block ×3, first 2 shown]
	s_and_saveexec_b64 s[6:7], s[4:5]
	s_cbranch_execz .LBB1_102
; %bb.95:                               ;   in Loop: Header=BB1_30 Depth=1
	global_load_dwordx2 v[16:17], v33, s[10:11] offset:32 glc
	global_load_dwordx2 v[0:1], v33, s[10:11] offset:40
	v_mov_b32_e32 v14, s14
	v_mov_b32_e32 v15, s15
	s_waitcnt vmcnt(0)
	v_readfirstlane_b32 s16, v0
	v_readfirstlane_b32 s17, v1
	s_and_b64 s[16:17], s[16:17], s[14:15]
	s_mul_i32 s17, s17, 24
	s_mul_hi_u32 s18, s16, 24
	s_mul_i32 s16, s16, 24
	s_add_i32 s17, s18, s17
	v_mov_b32_e32 v0, s17
	v_add_co_u32_e32 v12, vcc, s16, v24
	v_addc_co_u32_e32 v13, vcc, v25, v0, vcc
	global_store_dwordx2 v[12:13], v[16:17], off
	buffer_wbl2
	s_waitcnt vmcnt(0)
	global_atomic_cmpswap_x2 v[2:3], v33, v[14:17], s[10:11] offset:32 glc
	s_waitcnt vmcnt(0)
	v_cmp_ne_u64_e32 vcc, v[2:3], v[16:17]
	s_and_saveexec_b64 s[16:17], vcc
	s_cbranch_execz .LBB1_98
; %bb.96:                               ;   in Loop: Header=BB1_30 Depth=1
	s_mov_b64 s[18:19], 0
.LBB1_97:                               ;   Parent Loop BB1_30 Depth=1
                                        ; =>  This Inner Loop Header: Depth=2
	s_sleep 1
	global_store_dwordx2 v[12:13], v[2:3], off
	v_mov_b32_e32 v0, s14
	v_mov_b32_e32 v1, s15
	buffer_wbl2
	s_waitcnt vmcnt(0)
	global_atomic_cmpswap_x2 v[0:1], v33, v[0:3], s[10:11] offset:32 glc
	s_waitcnt vmcnt(0)
	v_cmp_eq_u64_e32 vcc, v[0:1], v[2:3]
	s_or_b64 s[18:19], vcc, s[18:19]
	v_pk_mov_b32 v[2:3], v[0:1], v[0:1] op_sel:[0,1]
	s_andn2_b64 exec, exec, s[18:19]
	s_cbranch_execnz .LBB1_97
.LBB1_98:                               ;   in Loop: Header=BB1_30 Depth=1
	s_or_b64 exec, exec, s[16:17]
	global_load_dwordx2 v[0:1], v33, s[10:11] offset:16
	s_mov_b64 s[18:19], exec
	v_mbcnt_lo_u32_b32 v2, s18, 0
	v_mbcnt_hi_u32_b32 v2, s19, v2
	v_cmp_eq_u32_e32 vcc, 0, v2
	s_and_saveexec_b64 s[16:17], vcc
	s_cbranch_execz .LBB1_100
; %bb.99:                               ;   in Loop: Header=BB1_30 Depth=1
	s_bcnt1_i32_b64 s18, s[18:19]
	v_mov_b32_e32 v32, s18
	buffer_wbl2
	s_waitcnt vmcnt(0)
	global_atomic_add_x2 v[0:1], v[32:33], off offset:8
.LBB1_100:                              ;   in Loop: Header=BB1_30 Depth=1
	s_or_b64 exec, exec, s[16:17]
	s_waitcnt vmcnt(0)
	global_load_dwordx2 v[2:3], v[0:1], off offset:16
	s_waitcnt vmcnt(0)
	v_cmp_eq_u64_e32 vcc, 0, v[2:3]
	s_cbranch_vccnz .LBB1_102
; %bb.101:                              ;   in Loop: Header=BB1_30 Depth=1
	global_load_dword v32, v[0:1], off offset:24
	s_waitcnt vmcnt(0)
	v_and_b32_e32 v0, 0xffffff, v32
	v_readfirstlane_b32 m0, v0
	buffer_wbl2
	global_store_dwordx2 v[2:3], v[32:33], off
	s_sendmsg sendmsg(MSG_INTERRUPT)
.LBB1_102:                              ;   in Loop: Header=BB1_30 Depth=1
	s_or_b64 exec, exec, s[6:7]
	v_add_co_u32_e32 v0, vcc, v8, v36
	v_addc_co_u32_e32 v1, vcc, 0, v9, vcc
	s_branch .LBB1_106
.LBB1_103:                              ;   in Loop: Header=BB1_106 Depth=2
	s_or_b64 exec, exec, s[6:7]
	v_readfirstlane_b32 s6, v2
	s_cmp_eq_u32 s6, 0
	s_cbranch_scc1 .LBB1_105
; %bb.104:                              ;   in Loop: Header=BB1_106 Depth=2
	s_sleep 1
	s_cbranch_execnz .LBB1_106
	s_branch .LBB1_108
.LBB1_105:                              ;   in Loop: Header=BB1_30 Depth=1
	s_branch .LBB1_108
.LBB1_106:                              ;   Parent Loop BB1_30 Depth=1
                                        ; =>  This Inner Loop Header: Depth=2
	v_mov_b32_e32 v2, 1
	s_and_saveexec_b64 s[6:7], s[4:5]
	s_cbranch_execz .LBB1_103
; %bb.107:                              ;   in Loop: Header=BB1_106 Depth=2
	global_load_dword v2, v[34:35], off offset:20 glc
	s_waitcnt vmcnt(0)
	buffer_invl2
	buffer_wbinvl1_vol
	v_and_b32_e32 v2, 1, v2
	s_branch .LBB1_103
.LBB1_108:                              ;   in Loop: Header=BB1_30 Depth=1
	global_load_dwordx4 v[0:3], v[0:1], off
	s_and_saveexec_b64 s[6:7], s[4:5]
	s_cbranch_execz .LBB1_29
; %bb.109:                              ;   in Loop: Header=BB1_30 Depth=1
	global_load_dwordx2 v[2:3], v33, s[10:11] offset:40
	global_load_dwordx2 v[8:9], v33, s[10:11] offset:24 glc
	global_load_dwordx2 v[16:17], v33, s[10:11]
	v_mov_b32_e32 v13, s15
	s_waitcnt vmcnt(2)
	v_add_co_u32_e32 v15, vcc, 1, v2
	v_addc_co_u32_e32 v18, vcc, 0, v3, vcc
	v_add_co_u32_e32 v12, vcc, s14, v15
	v_addc_co_u32_e32 v13, vcc, v18, v13, vcc
	v_cmp_eq_u64_e32 vcc, 0, v[12:13]
	v_cndmask_b32_e32 v13, v13, v18, vcc
	v_cndmask_b32_e32 v12, v12, v15, vcc
	v_and_b32_e32 v3, v13, v3
	v_and_b32_e32 v2, v12, v2
	v_mul_lo_u32 v3, v3, 24
	v_mul_hi_u32 v15, v2, 24
	v_mul_lo_u32 v2, v2, 24
	v_add_u32_e32 v3, v15, v3
	s_waitcnt vmcnt(0)
	v_add_co_u32_e32 v2, vcc, v16, v2
	v_addc_co_u32_e32 v3, vcc, v17, v3, vcc
	v_mov_b32_e32 v14, v8
	global_store_dwordx2 v[2:3], v[8:9], off
	v_mov_b32_e32 v15, v9
	buffer_wbl2
	s_waitcnt vmcnt(0)
	global_atomic_cmpswap_x2 v[14:15], v33, v[12:15], s[10:11] offset:24 glc
	s_waitcnt vmcnt(0)
	v_cmp_ne_u64_e32 vcc, v[14:15], v[8:9]
	s_and_b64 exec, exec, vcc
	s_cbranch_execz .LBB1_29
; %bb.110:                              ;   in Loop: Header=BB1_30 Depth=1
	s_mov_b64 s[4:5], 0
.LBB1_111:                              ;   Parent Loop BB1_30 Depth=1
                                        ; =>  This Inner Loop Header: Depth=2
	s_sleep 1
	global_store_dwordx2 v[2:3], v[14:15], off
	buffer_wbl2
	s_waitcnt vmcnt(0)
	global_atomic_cmpswap_x2 v[8:9], v33, v[12:15], s[10:11] offset:24 glc
	s_waitcnt vmcnt(0)
	v_cmp_eq_u64_e32 vcc, v[8:9], v[14:15]
	s_or_b64 s[4:5], vcc, s[4:5]
	v_pk_mov_b32 v[14:15], v[8:9], v[8:9] op_sel:[0,1]
	s_andn2_b64 exec, exec, s[4:5]
	s_cbranch_execnz .LBB1_111
	s_branch .LBB1_29
.LBB1_112:
                                        ; implicit-def: $vgpr0_vgpr1
	s_cbranch_execnz .LBB1_114
	s_branch .LBB1_140
.LBB1_113:
	s_or_b64 exec, exec, s[12:13]
	s_branch .LBB1_140
.LBB1_114:
	v_readfirstlane_b32 s4, v37
	v_cmp_eq_u32_e64 s[4:5], s4, v37
	v_pk_mov_b32 v[10:11], 0, 0
	s_and_saveexec_b64 s[6:7], s[4:5]
	s_cbranch_execz .LBB1_120
; %bb.115:
	s_waitcnt vmcnt(0)
	v_mov_b32_e32 v0, 0
	global_load_dwordx2 v[12:13], v0, s[10:11] offset:24 glc
	s_waitcnt vmcnt(0)
	buffer_invl2
	buffer_wbinvl1_vol
	global_load_dwordx2 v[2:3], v0, s[10:11] offset:40
	global_load_dwordx2 v[8:9], v0, s[10:11]
	s_waitcnt vmcnt(1)
	v_and_b32_e32 v1, v2, v12
	v_and_b32_e32 v2, v3, v13
	v_mul_lo_u32 v2, v2, 24
	v_mul_hi_u32 v3, v1, 24
	v_mul_lo_u32 v1, v1, 24
	v_add_u32_e32 v3, v3, v2
	s_waitcnt vmcnt(0)
	v_add_co_u32_e32 v2, vcc, v8, v1
	v_addc_co_u32_e32 v3, vcc, v9, v3, vcc
	global_load_dwordx2 v[10:11], v[2:3], off glc
	s_waitcnt vmcnt(0)
	global_atomic_cmpswap_x2 v[10:11], v0, v[10:13], s[10:11] offset:24 glc
	s_waitcnt vmcnt(0)
	buffer_invl2
	buffer_wbinvl1_vol
	v_cmp_ne_u64_e32 vcc, v[10:11], v[12:13]
	s_and_saveexec_b64 s[12:13], vcc
	s_cbranch_execz .LBB1_119
; %bb.116:
	s_mov_b64 s[14:15], 0
.LBB1_117:                              ; =>This Inner Loop Header: Depth=1
	s_sleep 1
	global_load_dwordx2 v[2:3], v0, s[10:11] offset:40
	global_load_dwordx2 v[8:9], v0, s[10:11]
	v_pk_mov_b32 v[12:13], v[10:11], v[10:11] op_sel:[0,1]
	s_waitcnt vmcnt(1)
	v_and_b32_e32 v2, v2, v12
	v_and_b32_e32 v1, v3, v13
	s_waitcnt vmcnt(0)
	v_mad_u64_u32 v[2:3], s[16:17], v2, 24, v[8:9]
	v_mov_b32_e32 v8, v3
	v_mad_u64_u32 v[8:9], s[16:17], v1, 24, v[8:9]
	v_mov_b32_e32 v3, v8
	global_load_dwordx2 v[10:11], v[2:3], off glc
	s_waitcnt vmcnt(0)
	global_atomic_cmpswap_x2 v[10:11], v0, v[10:13], s[10:11] offset:24 glc
	s_waitcnt vmcnt(0)
	buffer_invl2
	buffer_wbinvl1_vol
	v_cmp_eq_u64_e32 vcc, v[10:11], v[12:13]
	s_or_b64 s[14:15], vcc, s[14:15]
	s_andn2_b64 exec, exec, s[14:15]
	s_cbranch_execnz .LBB1_117
; %bb.118:
	s_or_b64 exec, exec, s[14:15]
.LBB1_119:
	s_or_b64 exec, exec, s[12:13]
.LBB1_120:
	s_or_b64 exec, exec, s[6:7]
	v_mov_b32_e32 v8, 0
	global_load_dwordx2 v[12:13], v8, s[10:11] offset:40
	global_load_dwordx4 v[0:3], v8, s[10:11]
	v_readfirstlane_b32 s6, v10
	v_readfirstlane_b32 s7, v11
	s_mov_b64 s[12:13], exec
	s_waitcnt vmcnt(1)
	v_readfirstlane_b32 s14, v12
	v_readfirstlane_b32 s15, v13
	s_and_b64 s[14:15], s[6:7], s[14:15]
	s_mul_i32 s16, s15, 24
	s_mul_hi_u32 s17, s14, 24
	s_mul_i32 s18, s14, 24
	s_add_i32 s16, s17, s16
	v_mov_b32_e32 v9, s16
	s_waitcnt vmcnt(0)
	v_add_co_u32_e32 v10, vcc, s18, v0
	v_addc_co_u32_e32 v11, vcc, v1, v9, vcc
	s_and_saveexec_b64 s[16:17], s[4:5]
	s_cbranch_execz .LBB1_122
; %bb.121:
	v_pk_mov_b32 v[12:13], s[12:13], s[12:13] op_sel:[0,1]
	v_mov_b32_e32 v14, 2
	v_mov_b32_e32 v15, 1
	global_store_dwordx4 v[10:11], v[12:15], off offset:8
.LBB1_122:
	s_or_b64 exec, exec, s[16:17]
	s_lshl_b64 s[12:13], s[14:15], 12
	v_mov_b32_e32 v9, s13
	v_add_co_u32_e32 v2, vcc, s12, v2
	s_movk_i32 s12, 0xff1f
	v_addc_co_u32_e32 v3, vcc, v3, v9, vcc
	v_and_or_b32 v6, v6, s12, 32
	s_mov_b32 s12, 0
	v_mov_b32_e32 v9, v8
	v_readfirstlane_b32 s16, v2
	v_readfirstlane_b32 s17, v3
	s_mov_b32 s13, s12
	v_add_co_u32_e32 v12, vcc, v2, v36
	s_mov_b32 s14, s12
	s_mov_b32 s15, s12
	s_nop 0
	global_store_dwordx4 v36, v[6:9], s[16:17]
	v_addc_co_u32_e32 v13, vcc, 0, v3, vcc
	v_pk_mov_b32 v[6:7], s[12:13], s[12:13] op_sel:[0,1]
	v_pk_mov_b32 v[8:9], s[14:15], s[14:15] op_sel:[0,1]
	global_store_dwordx4 v36, v[6:9], s[16:17] offset:16
	global_store_dwordx4 v36, v[6:9], s[16:17] offset:32
	;; [unrolled: 1-line block ×3, first 2 shown]
	s_and_saveexec_b64 s[12:13], s[4:5]
	s_cbranch_execz .LBB1_130
; %bb.123:
	v_mov_b32_e32 v8, 0
	global_load_dwordx2 v[16:17], v8, s[10:11] offset:32 glc
	global_load_dwordx2 v[2:3], v8, s[10:11] offset:40
	v_mov_b32_e32 v14, s6
	v_mov_b32_e32 v15, s7
	s_waitcnt vmcnt(0)
	v_readfirstlane_b32 s14, v2
	v_readfirstlane_b32 s15, v3
	s_and_b64 s[14:15], s[14:15], s[6:7]
	s_mul_i32 s15, s15, 24
	s_mul_hi_u32 s16, s14, 24
	s_mul_i32 s14, s14, 24
	s_add_i32 s15, s16, s15
	v_mov_b32_e32 v2, s15
	v_add_co_u32_e32 v6, vcc, s14, v0
	v_addc_co_u32_e32 v7, vcc, v1, v2, vcc
	global_store_dwordx2 v[6:7], v[16:17], off
	buffer_wbl2
	s_waitcnt vmcnt(0)
	global_atomic_cmpswap_x2 v[2:3], v8, v[14:17], s[10:11] offset:32 glc
	s_waitcnt vmcnt(0)
	v_cmp_ne_u64_e32 vcc, v[2:3], v[16:17]
	s_and_saveexec_b64 s[14:15], vcc
	s_cbranch_execz .LBB1_126
; %bb.124:
	s_mov_b64 s[16:17], 0
.LBB1_125:                              ; =>This Inner Loop Header: Depth=1
	s_sleep 1
	global_store_dwordx2 v[6:7], v[2:3], off
	v_mov_b32_e32 v0, s6
	v_mov_b32_e32 v1, s7
	buffer_wbl2
	s_waitcnt vmcnt(0)
	global_atomic_cmpswap_x2 v[0:1], v8, v[0:3], s[10:11] offset:32 glc
	s_waitcnt vmcnt(0)
	v_cmp_eq_u64_e32 vcc, v[0:1], v[2:3]
	s_or_b64 s[16:17], vcc, s[16:17]
	v_pk_mov_b32 v[2:3], v[0:1], v[0:1] op_sel:[0,1]
	s_andn2_b64 exec, exec, s[16:17]
	s_cbranch_execnz .LBB1_125
.LBB1_126:
	s_or_b64 exec, exec, s[14:15]
	v_mov_b32_e32 v3, 0
	global_load_dwordx2 v[0:1], v3, s[10:11] offset:16
	s_mov_b64 s[14:15], exec
	v_mbcnt_lo_u32_b32 v2, s14, 0
	v_mbcnt_hi_u32_b32 v2, s15, v2
	v_cmp_eq_u32_e32 vcc, 0, v2
	s_and_saveexec_b64 s[16:17], vcc
	s_cbranch_execz .LBB1_128
; %bb.127:
	s_bcnt1_i32_b64 s14, s[14:15]
	v_mov_b32_e32 v2, s14
	buffer_wbl2
	s_waitcnt vmcnt(0)
	global_atomic_add_x2 v[0:1], v[2:3], off offset:8
.LBB1_128:
	s_or_b64 exec, exec, s[16:17]
	s_waitcnt vmcnt(0)
	global_load_dwordx2 v[2:3], v[0:1], off offset:16
	s_waitcnt vmcnt(0)
	v_cmp_eq_u64_e32 vcc, 0, v[2:3]
	s_cbranch_vccnz .LBB1_130
; %bb.129:
	global_load_dword v0, v[0:1], off offset:24
	v_mov_b32_e32 v1, 0
	buffer_wbl2
	s_waitcnt vmcnt(0)
	global_store_dwordx2 v[2:3], v[0:1], off
	v_and_b32_e32 v0, 0xffffff, v0
	v_readfirstlane_b32 m0, v0
	s_sendmsg sendmsg(MSG_INTERRUPT)
.LBB1_130:
	s_or_b64 exec, exec, s[12:13]
	s_branch .LBB1_134
.LBB1_131:                              ;   in Loop: Header=BB1_134 Depth=1
	s_or_b64 exec, exec, s[12:13]
	v_readfirstlane_b32 s12, v0
	s_cmp_eq_u32 s12, 0
	s_cbranch_scc1 .LBB1_133
; %bb.132:                              ;   in Loop: Header=BB1_134 Depth=1
	s_sleep 1
	s_cbranch_execnz .LBB1_134
	s_branch .LBB1_136
.LBB1_133:
	s_branch .LBB1_136
.LBB1_134:                              ; =>This Inner Loop Header: Depth=1
	v_mov_b32_e32 v0, 1
	s_and_saveexec_b64 s[12:13], s[4:5]
	s_cbranch_execz .LBB1_131
; %bb.135:                              ;   in Loop: Header=BB1_134 Depth=1
	global_load_dword v0, v[10:11], off offset:20 glc
	s_waitcnt vmcnt(0)
	buffer_invl2
	buffer_wbinvl1_vol
	v_and_b32_e32 v0, 1, v0
	s_branch .LBB1_131
.LBB1_136:
	global_load_dwordx2 v[0:1], v[12:13], off
	s_and_saveexec_b64 s[12:13], s[4:5]
	s_cbranch_execz .LBB1_139
; %bb.137:
	v_mov_b32_e32 v10, 0
	global_load_dwordx2 v[2:3], v10, s[10:11] offset:40
	global_load_dwordx2 v[12:13], v10, s[10:11] offset:24 glc
	global_load_dwordx2 v[14:15], v10, s[10:11]
	v_mov_b32_e32 v7, s7
	s_mov_b64 s[4:5], 0
	s_waitcnt vmcnt(2)
	v_add_co_u32_e32 v9, vcc, 1, v2
	v_addc_co_u32_e32 v11, vcc, 0, v3, vcc
	v_add_co_u32_e32 v6, vcc, s6, v9
	v_addc_co_u32_e32 v7, vcc, v11, v7, vcc
	v_cmp_eq_u64_e32 vcc, 0, v[6:7]
	v_cndmask_b32_e32 v7, v7, v11, vcc
	v_cndmask_b32_e32 v6, v6, v9, vcc
	v_and_b32_e32 v3, v7, v3
	v_and_b32_e32 v2, v6, v2
	v_mul_lo_u32 v3, v3, 24
	v_mul_hi_u32 v9, v2, 24
	v_mul_lo_u32 v2, v2, 24
	v_add_u32_e32 v3, v9, v3
	s_waitcnt vmcnt(0)
	v_add_co_u32_e32 v2, vcc, v14, v2
	v_addc_co_u32_e32 v3, vcc, v15, v3, vcc
	v_mov_b32_e32 v8, v12
	global_store_dwordx2 v[2:3], v[12:13], off
	v_mov_b32_e32 v9, v13
	buffer_wbl2
	s_waitcnt vmcnt(0)
	global_atomic_cmpswap_x2 v[8:9], v10, v[6:9], s[10:11] offset:24 glc
	s_waitcnt vmcnt(0)
	v_cmp_ne_u64_e32 vcc, v[8:9], v[12:13]
	s_and_b64 exec, exec, vcc
	s_cbranch_execz .LBB1_139
.LBB1_138:                              ; =>This Inner Loop Header: Depth=1
	s_sleep 1
	global_store_dwordx2 v[2:3], v[8:9], off
	buffer_wbl2
	s_waitcnt vmcnt(0)
	global_atomic_cmpswap_x2 v[12:13], v10, v[6:9], s[10:11] offset:24 glc
	s_waitcnt vmcnt(0)
	v_cmp_eq_u64_e32 vcc, v[12:13], v[8:9]
	s_or_b64 s[4:5], vcc, s[4:5]
	v_pk_mov_b32 v[8:9], v[12:13], v[12:13] op_sel:[0,1]
	s_andn2_b64 exec, exec, s[4:5]
	s_cbranch_execnz .LBB1_138
.LBB1_139:
	s_or_b64 exec, exec, s[12:13]
.LBB1_140:
	s_getpc_b64 s[6:7]
	s_add_u32 s6, s6, .str.2@rel32@lo+4
	s_addc_u32 s7, s7, .str.2@rel32@hi+12
	s_cmp_lg_u64 s[6:7], 0
	s_cbranch_scc0 .LBB1_224
; %bb.141:
	s_getpc_b64 s[4:5]
	s_add_u32 s4, s4, .str.2@rel32@lo+80
	s_addc_u32 s5, s5, .str.2@rel32@hi+88
	s_sub_i32 s12, s4, s6
	s_ashr_i32 s13, s12, 31
	s_waitcnt vmcnt(0)
	v_and_b32_e32 v2, 2, v0
	v_mov_b32_e32 v33, 0
	v_and_b32_e32 v6, -3, v0
	v_mov_b32_e32 v7, v1
	v_mov_b32_e32 v10, 2
	;; [unrolled: 1-line block ×3, first 2 shown]
	s_branch .LBB1_143
.LBB1_142:                              ;   in Loop: Header=BB1_143 Depth=1
	s_or_b64 exec, exec, s[18:19]
	s_sub_u32 s12, s12, s14
	s_subb_u32 s13, s13, s15
	s_add_u32 s6, s6, s14
	s_addc_u32 s7, s7, s15
	s_cmp_lg_u64 s[12:13], 0
	s_cbranch_scc0 .LBB1_225
.LBB1_143:                              ; =>This Loop Header: Depth=1
                                        ;     Child Loop BB1_146 Depth 2
                                        ;     Child Loop BB1_153 Depth 2
	;; [unrolled: 1-line block ×11, first 2 shown]
	v_cmp_lt_u64_e64 s[4:5], s[12:13], 56
	s_and_b64 s[4:5], s[4:5], exec
	v_cmp_gt_u64_e64 s[4:5], s[12:13], 7
	s_cselect_b32 s15, s13, 0
	s_cselect_b32 s14, s12, 56
	s_and_b64 vcc, exec, s[4:5]
	s_cbranch_vccnz .LBB1_148
; %bb.144:                              ;   in Loop: Header=BB1_143 Depth=1
	s_mov_b64 s[4:5], 0
	s_cmp_eq_u64 s[12:13], 0
	v_pk_mov_b32 v[14:15], 0, 0
	s_cbranch_scc1 .LBB1_147
; %bb.145:                              ;   in Loop: Header=BB1_143 Depth=1
	s_lshl_b64 s[16:17], s[14:15], 3
	s_mov_b64 s[18:19], 0
	v_pk_mov_b32 v[14:15], 0, 0
	s_mov_b64 s[20:21], s[6:7]
.LBB1_146:                              ;   Parent Loop BB1_143 Depth=1
                                        ; =>  This Inner Loop Header: Depth=2
	global_load_ubyte v3, v33, s[20:21]
	s_waitcnt vmcnt(0)
	v_and_b32_e32 v32, 0xffff, v3
	v_lshlrev_b64 v[8:9], s18, v[32:33]
	s_add_u32 s18, s18, 8
	s_addc_u32 s19, s19, 0
	s_add_u32 s20, s20, 1
	s_addc_u32 s21, s21, 0
	v_or_b32_e32 v14, v8, v14
	s_cmp_lg_u32 s16, s18
	v_or_b32_e32 v15, v9, v15
	s_cbranch_scc1 .LBB1_146
.LBB1_147:                              ;   in Loop: Header=BB1_143 Depth=1
	s_mov_b32 s20, 0
	s_andn2_b64 vcc, exec, s[4:5]
	s_mov_b64 s[4:5], s[6:7]
	s_cbranch_vccz .LBB1_149
	s_branch .LBB1_150
.LBB1_148:                              ;   in Loop: Header=BB1_143 Depth=1
                                        ; implicit-def: $vgpr14_vgpr15
                                        ; implicit-def: $sgpr20
	s_mov_b64 s[4:5], s[6:7]
.LBB1_149:                              ;   in Loop: Header=BB1_143 Depth=1
	global_load_dwordx2 v[14:15], v33, s[6:7]
	s_add_i32 s20, s14, -8
	s_add_u32 s4, s6, 8
	s_addc_u32 s5, s7, 0
.LBB1_150:                              ;   in Loop: Header=BB1_143 Depth=1
	s_cmp_gt_u32 s20, 7
	s_cbranch_scc1 .LBB1_154
; %bb.151:                              ;   in Loop: Header=BB1_143 Depth=1
	s_cmp_eq_u32 s20, 0
	s_cbranch_scc1 .LBB1_155
; %bb.152:                              ;   in Loop: Header=BB1_143 Depth=1
	s_mov_b64 s[16:17], 0
	v_pk_mov_b32 v[16:17], 0, 0
	s_mov_b64 s[18:19], 0
.LBB1_153:                              ;   Parent Loop BB1_143 Depth=1
                                        ; =>  This Inner Loop Header: Depth=2
	s_add_u32 s22, s4, s18
	s_addc_u32 s23, s5, s19
	global_load_ubyte v3, v33, s[22:23]
	s_add_u32 s18, s18, 1
	s_addc_u32 s19, s19, 0
	s_waitcnt vmcnt(0)
	v_and_b32_e32 v32, 0xffff, v3
	v_lshlrev_b64 v[8:9], s16, v[32:33]
	s_add_u32 s16, s16, 8
	s_addc_u32 s17, s17, 0
	v_or_b32_e32 v16, v8, v16
	s_cmp_lg_u32 s20, s18
	v_or_b32_e32 v17, v9, v17
	s_cbranch_scc1 .LBB1_153
	s_branch .LBB1_156
.LBB1_154:                              ;   in Loop: Header=BB1_143 Depth=1
                                        ; implicit-def: $vgpr16_vgpr17
                                        ; implicit-def: $sgpr21
	s_branch .LBB1_157
.LBB1_155:                              ;   in Loop: Header=BB1_143 Depth=1
	v_pk_mov_b32 v[16:17], 0, 0
.LBB1_156:                              ;   in Loop: Header=BB1_143 Depth=1
	s_mov_b32 s21, 0
	s_cbranch_execnz .LBB1_158
.LBB1_157:                              ;   in Loop: Header=BB1_143 Depth=1
	global_load_dwordx2 v[16:17], v33, s[4:5]
	s_add_i32 s21, s20, -8
	s_add_u32 s4, s4, 8
	s_addc_u32 s5, s5, 0
.LBB1_158:                              ;   in Loop: Header=BB1_143 Depth=1
	s_cmp_gt_u32 s21, 7
	s_cbranch_scc1 .LBB1_162
; %bb.159:                              ;   in Loop: Header=BB1_143 Depth=1
	s_cmp_eq_u32 s21, 0
	s_cbranch_scc1 .LBB1_163
; %bb.160:                              ;   in Loop: Header=BB1_143 Depth=1
	s_mov_b64 s[16:17], 0
	v_pk_mov_b32 v[18:19], 0, 0
	s_mov_b64 s[18:19], 0
.LBB1_161:                              ;   Parent Loop BB1_143 Depth=1
                                        ; =>  This Inner Loop Header: Depth=2
	s_add_u32 s22, s4, s18
	s_addc_u32 s23, s5, s19
	global_load_ubyte v3, v33, s[22:23]
	s_add_u32 s18, s18, 1
	s_addc_u32 s19, s19, 0
	s_waitcnt vmcnt(0)
	v_and_b32_e32 v32, 0xffff, v3
	v_lshlrev_b64 v[8:9], s16, v[32:33]
	s_add_u32 s16, s16, 8
	s_addc_u32 s17, s17, 0
	v_or_b32_e32 v18, v8, v18
	s_cmp_lg_u32 s21, s18
	v_or_b32_e32 v19, v9, v19
	s_cbranch_scc1 .LBB1_161
	s_branch .LBB1_164
.LBB1_162:                              ;   in Loop: Header=BB1_143 Depth=1
                                        ; implicit-def: $sgpr20
	s_branch .LBB1_165
.LBB1_163:                              ;   in Loop: Header=BB1_143 Depth=1
	v_pk_mov_b32 v[18:19], 0, 0
.LBB1_164:                              ;   in Loop: Header=BB1_143 Depth=1
	s_mov_b32 s20, 0
	s_cbranch_execnz .LBB1_166
.LBB1_165:                              ;   in Loop: Header=BB1_143 Depth=1
	global_load_dwordx2 v[18:19], v33, s[4:5]
	s_add_i32 s20, s21, -8
	s_add_u32 s4, s4, 8
	s_addc_u32 s5, s5, 0
.LBB1_166:                              ;   in Loop: Header=BB1_143 Depth=1
	s_cmp_gt_u32 s20, 7
	s_cbranch_scc1 .LBB1_170
; %bb.167:                              ;   in Loop: Header=BB1_143 Depth=1
	s_cmp_eq_u32 s20, 0
	s_cbranch_scc1 .LBB1_171
; %bb.168:                              ;   in Loop: Header=BB1_143 Depth=1
	s_mov_b64 s[16:17], 0
	v_pk_mov_b32 v[20:21], 0, 0
	s_mov_b64 s[18:19], 0
.LBB1_169:                              ;   Parent Loop BB1_143 Depth=1
                                        ; =>  This Inner Loop Header: Depth=2
	s_add_u32 s22, s4, s18
	s_addc_u32 s23, s5, s19
	global_load_ubyte v3, v33, s[22:23]
	s_add_u32 s18, s18, 1
	s_addc_u32 s19, s19, 0
	s_waitcnt vmcnt(0)
	v_and_b32_e32 v32, 0xffff, v3
	v_lshlrev_b64 v[8:9], s16, v[32:33]
	s_add_u32 s16, s16, 8
	s_addc_u32 s17, s17, 0
	v_or_b32_e32 v20, v8, v20
	s_cmp_lg_u32 s20, s18
	v_or_b32_e32 v21, v9, v21
	s_cbranch_scc1 .LBB1_169
	s_branch .LBB1_172
.LBB1_170:                              ;   in Loop: Header=BB1_143 Depth=1
                                        ; implicit-def: $vgpr20_vgpr21
                                        ; implicit-def: $sgpr21
	s_branch .LBB1_173
.LBB1_171:                              ;   in Loop: Header=BB1_143 Depth=1
	v_pk_mov_b32 v[20:21], 0, 0
.LBB1_172:                              ;   in Loop: Header=BB1_143 Depth=1
	s_mov_b32 s21, 0
	s_cbranch_execnz .LBB1_174
.LBB1_173:                              ;   in Loop: Header=BB1_143 Depth=1
	global_load_dwordx2 v[20:21], v33, s[4:5]
	s_add_i32 s21, s20, -8
	s_add_u32 s4, s4, 8
	s_addc_u32 s5, s5, 0
.LBB1_174:                              ;   in Loop: Header=BB1_143 Depth=1
	s_cmp_gt_u32 s21, 7
	s_cbranch_scc1 .LBB1_178
; %bb.175:                              ;   in Loop: Header=BB1_143 Depth=1
	s_cmp_eq_u32 s21, 0
	s_cbranch_scc1 .LBB1_179
; %bb.176:                              ;   in Loop: Header=BB1_143 Depth=1
	s_mov_b64 s[16:17], 0
	v_pk_mov_b32 v[22:23], 0, 0
	s_mov_b64 s[18:19], 0
.LBB1_177:                              ;   Parent Loop BB1_143 Depth=1
                                        ; =>  This Inner Loop Header: Depth=2
	s_add_u32 s22, s4, s18
	s_addc_u32 s23, s5, s19
	global_load_ubyte v3, v33, s[22:23]
	s_add_u32 s18, s18, 1
	s_addc_u32 s19, s19, 0
	s_waitcnt vmcnt(0)
	v_and_b32_e32 v32, 0xffff, v3
	v_lshlrev_b64 v[8:9], s16, v[32:33]
	s_add_u32 s16, s16, 8
	s_addc_u32 s17, s17, 0
	v_or_b32_e32 v22, v8, v22
	s_cmp_lg_u32 s21, s18
	v_or_b32_e32 v23, v9, v23
	s_cbranch_scc1 .LBB1_177
	s_branch .LBB1_180
.LBB1_178:                              ;   in Loop: Header=BB1_143 Depth=1
                                        ; implicit-def: $sgpr20
	s_branch .LBB1_181
.LBB1_179:                              ;   in Loop: Header=BB1_143 Depth=1
	v_pk_mov_b32 v[22:23], 0, 0
.LBB1_180:                              ;   in Loop: Header=BB1_143 Depth=1
	s_mov_b32 s20, 0
	s_cbranch_execnz .LBB1_182
.LBB1_181:                              ;   in Loop: Header=BB1_143 Depth=1
	global_load_dwordx2 v[22:23], v33, s[4:5]
	s_add_i32 s20, s21, -8
	s_add_u32 s4, s4, 8
	s_addc_u32 s5, s5, 0
.LBB1_182:                              ;   in Loop: Header=BB1_143 Depth=1
	s_cmp_gt_u32 s20, 7
	s_cbranch_scc1 .LBB1_186
; %bb.183:                              ;   in Loop: Header=BB1_143 Depth=1
	s_cmp_eq_u32 s20, 0
	s_cbranch_scc1 .LBB1_187
; %bb.184:                              ;   in Loop: Header=BB1_143 Depth=1
	s_mov_b64 s[16:17], 0
	v_pk_mov_b32 v[24:25], 0, 0
	s_mov_b64 s[18:19], 0
.LBB1_185:                              ;   Parent Loop BB1_143 Depth=1
                                        ; =>  This Inner Loop Header: Depth=2
	s_add_u32 s22, s4, s18
	s_addc_u32 s23, s5, s19
	global_load_ubyte v3, v33, s[22:23]
	s_add_u32 s18, s18, 1
	s_addc_u32 s19, s19, 0
	s_waitcnt vmcnt(0)
	v_and_b32_e32 v32, 0xffff, v3
	v_lshlrev_b64 v[8:9], s16, v[32:33]
	s_add_u32 s16, s16, 8
	s_addc_u32 s17, s17, 0
	v_or_b32_e32 v24, v8, v24
	s_cmp_lg_u32 s20, s18
	v_or_b32_e32 v25, v9, v25
	s_cbranch_scc1 .LBB1_185
	s_branch .LBB1_188
.LBB1_186:                              ;   in Loop: Header=BB1_143 Depth=1
                                        ; implicit-def: $vgpr24_vgpr25
                                        ; implicit-def: $sgpr21
	s_branch .LBB1_189
.LBB1_187:                              ;   in Loop: Header=BB1_143 Depth=1
	v_pk_mov_b32 v[24:25], 0, 0
.LBB1_188:                              ;   in Loop: Header=BB1_143 Depth=1
	s_mov_b32 s21, 0
	s_cbranch_execnz .LBB1_190
.LBB1_189:                              ;   in Loop: Header=BB1_143 Depth=1
	global_load_dwordx2 v[24:25], v33, s[4:5]
	s_add_i32 s21, s20, -8
	s_add_u32 s4, s4, 8
	s_addc_u32 s5, s5, 0
.LBB1_190:                              ;   in Loop: Header=BB1_143 Depth=1
	s_cmp_gt_u32 s21, 7
	s_cbranch_scc1 .LBB1_194
; %bb.191:                              ;   in Loop: Header=BB1_143 Depth=1
	s_cmp_eq_u32 s21, 0
	s_cbranch_scc1 .LBB1_195
; %bb.192:                              ;   in Loop: Header=BB1_143 Depth=1
	s_mov_b64 s[16:17], 0
	v_pk_mov_b32 v[26:27], 0, 0
	s_mov_b64 s[18:19], s[4:5]
.LBB1_193:                              ;   Parent Loop BB1_143 Depth=1
                                        ; =>  This Inner Loop Header: Depth=2
	global_load_ubyte v3, v33, s[18:19]
	s_add_i32 s21, s21, -1
	s_waitcnt vmcnt(0)
	v_and_b32_e32 v32, 0xffff, v3
	v_lshlrev_b64 v[8:9], s16, v[32:33]
	s_add_u32 s16, s16, 8
	s_addc_u32 s17, s17, 0
	s_add_u32 s18, s18, 1
	s_addc_u32 s19, s19, 0
	v_or_b32_e32 v26, v8, v26
	s_cmp_lg_u32 s21, 0
	v_or_b32_e32 v27, v9, v27
	s_cbranch_scc1 .LBB1_193
	s_branch .LBB1_196
.LBB1_194:                              ;   in Loop: Header=BB1_143 Depth=1
	s_branch .LBB1_197
.LBB1_195:                              ;   in Loop: Header=BB1_143 Depth=1
	v_pk_mov_b32 v[26:27], 0, 0
.LBB1_196:                              ;   in Loop: Header=BB1_143 Depth=1
	s_cbranch_execnz .LBB1_198
.LBB1_197:                              ;   in Loop: Header=BB1_143 Depth=1
	global_load_dwordx2 v[26:27], v33, s[4:5]
.LBB1_198:                              ;   in Loop: Header=BB1_143 Depth=1
	v_readfirstlane_b32 s4, v37
	v_cmp_eq_u32_e64 s[4:5], s4, v37
	s_waitcnt vmcnt(0)
	v_pk_mov_b32 v[8:9], 0, 0
	s_and_saveexec_b64 s[16:17], s[4:5]
	s_cbranch_execz .LBB1_204
; %bb.199:                              ;   in Loop: Header=BB1_143 Depth=1
	global_load_dwordx2 v[30:31], v33, s[10:11] offset:24 glc
	s_waitcnt vmcnt(0)
	buffer_invl2
	buffer_wbinvl1_vol
	global_load_dwordx2 v[8:9], v33, s[10:11] offset:40
	global_load_dwordx2 v[12:13], v33, s[10:11]
	s_waitcnt vmcnt(1)
	v_and_b32_e32 v3, v8, v30
	v_and_b32_e32 v8, v9, v31
	v_mul_lo_u32 v8, v8, 24
	v_mul_hi_u32 v9, v3, 24
	v_mul_lo_u32 v3, v3, 24
	v_add_u32_e32 v9, v9, v8
	s_waitcnt vmcnt(0)
	v_add_co_u32_e32 v8, vcc, v12, v3
	v_addc_co_u32_e32 v9, vcc, v13, v9, vcc
	global_load_dwordx2 v[28:29], v[8:9], off glc
	s_waitcnt vmcnt(0)
	global_atomic_cmpswap_x2 v[8:9], v33, v[28:31], s[10:11] offset:24 glc
	s_waitcnt vmcnt(0)
	buffer_invl2
	buffer_wbinvl1_vol
	v_cmp_ne_u64_e32 vcc, v[8:9], v[30:31]
	s_and_saveexec_b64 s[18:19], vcc
	s_cbranch_execz .LBB1_203
; %bb.200:                              ;   in Loop: Header=BB1_143 Depth=1
	s_mov_b64 s[20:21], 0
.LBB1_201:                              ;   Parent Loop BB1_143 Depth=1
                                        ; =>  This Inner Loop Header: Depth=2
	s_sleep 1
	global_load_dwordx2 v[12:13], v33, s[10:11] offset:40
	global_load_dwordx2 v[28:29], v33, s[10:11]
	v_pk_mov_b32 v[30:31], v[8:9], v[8:9] op_sel:[0,1]
	s_waitcnt vmcnt(1)
	v_and_b32_e32 v8, v12, v30
	s_waitcnt vmcnt(0)
	v_mad_u64_u32 v[8:9], s[22:23], v8, 24, v[28:29]
	v_and_b32_e32 v3, v13, v31
	v_mov_b32_e32 v12, v9
	v_mad_u64_u32 v[12:13], s[22:23], v3, 24, v[12:13]
	v_mov_b32_e32 v9, v12
	global_load_dwordx2 v[28:29], v[8:9], off glc
	s_waitcnt vmcnt(0)
	global_atomic_cmpswap_x2 v[8:9], v33, v[28:31], s[10:11] offset:24 glc
	s_waitcnt vmcnt(0)
	buffer_invl2
	buffer_wbinvl1_vol
	v_cmp_eq_u64_e32 vcc, v[8:9], v[30:31]
	s_or_b64 s[20:21], vcc, s[20:21]
	s_andn2_b64 exec, exec, s[20:21]
	s_cbranch_execnz .LBB1_201
; %bb.202:                              ;   in Loop: Header=BB1_143 Depth=1
	s_or_b64 exec, exec, s[20:21]
.LBB1_203:                              ;   in Loop: Header=BB1_143 Depth=1
	s_or_b64 exec, exec, s[18:19]
.LBB1_204:                              ;   in Loop: Header=BB1_143 Depth=1
	s_or_b64 exec, exec, s[16:17]
	global_load_dwordx2 v[12:13], v33, s[10:11] offset:40
	global_load_dwordx4 v[28:31], v33, s[10:11]
	v_readfirstlane_b32 s16, v8
	v_readfirstlane_b32 s17, v9
	s_mov_b64 s[18:19], exec
	s_waitcnt vmcnt(1)
	v_readfirstlane_b32 s20, v12
	v_readfirstlane_b32 s21, v13
	s_and_b64 s[20:21], s[16:17], s[20:21]
	s_mul_i32 s22, s21, 24
	s_mul_hi_u32 s23, s20, 24
	s_mul_i32 s24, s20, 24
	s_add_i32 s22, s23, s22
	v_mov_b32_e32 v3, s22
	s_waitcnt vmcnt(0)
	v_add_co_u32_e32 v34, vcc, s24, v28
	v_addc_co_u32_e32 v35, vcc, v29, v3, vcc
	s_and_saveexec_b64 s[22:23], s[4:5]
	s_cbranch_execz .LBB1_206
; %bb.205:                              ;   in Loop: Header=BB1_143 Depth=1
	v_pk_mov_b32 v[8:9], s[18:19], s[18:19] op_sel:[0,1]
	global_store_dwordx4 v[34:35], v[8:11], off offset:8
.LBB1_206:                              ;   in Loop: Header=BB1_143 Depth=1
	s_or_b64 exec, exec, s[22:23]
	s_lshl_b64 s[18:19], s[20:21], 12
	v_mov_b32_e32 v3, s19
	v_add_co_u32_e32 v30, vcc, s18, v30
	v_addc_co_u32_e32 v3, vcc, v31, v3, vcc
	v_or_b32_e32 v9, v6, v2
	v_cmp_gt_u64_e64 vcc, s[12:13], 56
	s_lshl_b32 s18, s14, 2
	v_cndmask_b32_e32 v6, v9, v6, vcc
	s_add_i32 s18, s18, 28
	v_or_b32_e32 v8, 0, v7
	s_and_b32 s18, s18, 0x1e0
	v_and_b32_e32 v6, 0xffffff1f, v6
	v_cndmask_b32_e32 v13, v8, v7, vcc
	v_or_b32_e32 v12, s18, v6
	v_readfirstlane_b32 s18, v30
	v_readfirstlane_b32 s19, v3
	s_nop 4
	global_store_dwordx4 v36, v[12:15], s[18:19]
	global_store_dwordx4 v36, v[16:19], s[18:19] offset:16
	global_store_dwordx4 v36, v[20:23], s[18:19] offset:32
	global_store_dwordx4 v36, v[24:27], s[18:19] offset:48
	s_and_saveexec_b64 s[18:19], s[4:5]
	s_cbranch_execz .LBB1_214
; %bb.207:                              ;   in Loop: Header=BB1_143 Depth=1
	global_load_dwordx2 v[16:17], v33, s[10:11] offset:32 glc
	global_load_dwordx2 v[6:7], v33, s[10:11] offset:40
	v_mov_b32_e32 v14, s16
	v_mov_b32_e32 v15, s17
	s_waitcnt vmcnt(0)
	v_readfirstlane_b32 s20, v6
	v_readfirstlane_b32 s21, v7
	s_and_b64 s[20:21], s[20:21], s[16:17]
	s_mul_i32 s21, s21, 24
	s_mul_hi_u32 s22, s20, 24
	s_mul_i32 s20, s20, 24
	s_add_i32 s21, s22, s21
	v_mov_b32_e32 v6, s21
	v_add_co_u32_e32 v12, vcc, s20, v28
	v_addc_co_u32_e32 v13, vcc, v29, v6, vcc
	global_store_dwordx2 v[12:13], v[16:17], off
	buffer_wbl2
	s_waitcnt vmcnt(0)
	global_atomic_cmpswap_x2 v[8:9], v33, v[14:17], s[10:11] offset:32 glc
	s_waitcnt vmcnt(0)
	v_cmp_ne_u64_e32 vcc, v[8:9], v[16:17]
	s_and_saveexec_b64 s[20:21], vcc
	s_cbranch_execz .LBB1_210
; %bb.208:                              ;   in Loop: Header=BB1_143 Depth=1
	s_mov_b64 s[22:23], 0
.LBB1_209:                              ;   Parent Loop BB1_143 Depth=1
                                        ; =>  This Inner Loop Header: Depth=2
	s_sleep 1
	global_store_dwordx2 v[12:13], v[8:9], off
	v_mov_b32_e32 v6, s16
	v_mov_b32_e32 v7, s17
	buffer_wbl2
	s_waitcnt vmcnt(0)
	global_atomic_cmpswap_x2 v[6:7], v33, v[6:9], s[10:11] offset:32 glc
	s_waitcnt vmcnt(0)
	v_cmp_eq_u64_e32 vcc, v[6:7], v[8:9]
	s_or_b64 s[22:23], vcc, s[22:23]
	v_pk_mov_b32 v[8:9], v[6:7], v[6:7] op_sel:[0,1]
	s_andn2_b64 exec, exec, s[22:23]
	s_cbranch_execnz .LBB1_209
.LBB1_210:                              ;   in Loop: Header=BB1_143 Depth=1
	s_or_b64 exec, exec, s[20:21]
	global_load_dwordx2 v[6:7], v33, s[10:11] offset:16
	s_mov_b64 s[22:23], exec
	v_mbcnt_lo_u32_b32 v8, s22, 0
	v_mbcnt_hi_u32_b32 v8, s23, v8
	v_cmp_eq_u32_e32 vcc, 0, v8
	s_and_saveexec_b64 s[20:21], vcc
	s_cbranch_execz .LBB1_212
; %bb.211:                              ;   in Loop: Header=BB1_143 Depth=1
	s_bcnt1_i32_b64 s22, s[22:23]
	v_mov_b32_e32 v32, s22
	buffer_wbl2
	s_waitcnt vmcnt(0)
	global_atomic_add_x2 v[6:7], v[32:33], off offset:8
.LBB1_212:                              ;   in Loop: Header=BB1_143 Depth=1
	s_or_b64 exec, exec, s[20:21]
	s_waitcnt vmcnt(0)
	global_load_dwordx2 v[8:9], v[6:7], off offset:16
	s_waitcnt vmcnt(0)
	v_cmp_eq_u64_e32 vcc, 0, v[8:9]
	s_cbranch_vccnz .LBB1_214
; %bb.213:                              ;   in Loop: Header=BB1_143 Depth=1
	global_load_dword v32, v[6:7], off offset:24
	s_waitcnt vmcnt(0)
	v_and_b32_e32 v6, 0xffffff, v32
	v_readfirstlane_b32 m0, v6
	buffer_wbl2
	global_store_dwordx2 v[8:9], v[32:33], off
	s_sendmsg sendmsg(MSG_INTERRUPT)
.LBB1_214:                              ;   in Loop: Header=BB1_143 Depth=1
	s_or_b64 exec, exec, s[18:19]
	v_add_co_u32_e32 v6, vcc, v30, v36
	v_addc_co_u32_e32 v7, vcc, 0, v3, vcc
	s_branch .LBB1_218
.LBB1_215:                              ;   in Loop: Header=BB1_218 Depth=2
	s_or_b64 exec, exec, s[18:19]
	v_readfirstlane_b32 s18, v3
	s_cmp_eq_u32 s18, 0
	s_cbranch_scc1 .LBB1_217
; %bb.216:                              ;   in Loop: Header=BB1_218 Depth=2
	s_sleep 1
	s_cbranch_execnz .LBB1_218
	s_branch .LBB1_220
.LBB1_217:                              ;   in Loop: Header=BB1_143 Depth=1
	s_branch .LBB1_220
.LBB1_218:                              ;   Parent Loop BB1_143 Depth=1
                                        ; =>  This Inner Loop Header: Depth=2
	v_mov_b32_e32 v3, 1
	s_and_saveexec_b64 s[18:19], s[4:5]
	s_cbranch_execz .LBB1_215
; %bb.219:                              ;   in Loop: Header=BB1_218 Depth=2
	global_load_dword v3, v[34:35], off offset:20 glc
	s_waitcnt vmcnt(0)
	buffer_invl2
	buffer_wbinvl1_vol
	v_and_b32_e32 v3, 1, v3
	s_branch .LBB1_215
.LBB1_220:                              ;   in Loop: Header=BB1_143 Depth=1
	global_load_dwordx4 v[6:9], v[6:7], off
	s_and_saveexec_b64 s[18:19], s[4:5]
	s_cbranch_execz .LBB1_142
; %bb.221:                              ;   in Loop: Header=BB1_143 Depth=1
	global_load_dwordx2 v[8:9], v33, s[10:11] offset:40
	global_load_dwordx2 v[16:17], v33, s[10:11] offset:24 glc
	global_load_dwordx2 v[18:19], v33, s[10:11]
	v_mov_b32_e32 v3, s17
	s_waitcnt vmcnt(2)
	v_add_co_u32_e32 v15, vcc, 1, v8
	v_addc_co_u32_e32 v20, vcc, 0, v9, vcc
	v_add_co_u32_e32 v12, vcc, s16, v15
	v_addc_co_u32_e32 v13, vcc, v20, v3, vcc
	v_cmp_eq_u64_e32 vcc, 0, v[12:13]
	v_cndmask_b32_e32 v13, v13, v20, vcc
	v_cndmask_b32_e32 v12, v12, v15, vcc
	v_and_b32_e32 v3, v13, v9
	v_and_b32_e32 v8, v12, v8
	v_mul_lo_u32 v3, v3, 24
	v_mul_hi_u32 v9, v8, 24
	v_mul_lo_u32 v8, v8, 24
	v_add_u32_e32 v3, v9, v3
	s_waitcnt vmcnt(0)
	v_add_co_u32_e32 v8, vcc, v18, v8
	v_addc_co_u32_e32 v9, vcc, v19, v3, vcc
	v_mov_b32_e32 v14, v16
	global_store_dwordx2 v[8:9], v[16:17], off
	v_mov_b32_e32 v15, v17
	buffer_wbl2
	s_waitcnt vmcnt(0)
	global_atomic_cmpswap_x2 v[14:15], v33, v[12:15], s[10:11] offset:24 glc
	s_waitcnt vmcnt(0)
	v_cmp_ne_u64_e32 vcc, v[14:15], v[16:17]
	s_and_b64 exec, exec, vcc
	s_cbranch_execz .LBB1_142
; %bb.222:                              ;   in Loop: Header=BB1_143 Depth=1
	s_mov_b64 s[4:5], 0
.LBB1_223:                              ;   Parent Loop BB1_143 Depth=1
                                        ; =>  This Inner Loop Header: Depth=2
	s_sleep 1
	global_store_dwordx2 v[8:9], v[14:15], off
	buffer_wbl2
	s_waitcnt vmcnt(0)
	global_atomic_cmpswap_x2 v[16:17], v33, v[12:15], s[10:11] offset:24 glc
	s_waitcnt vmcnt(0)
	v_cmp_eq_u64_e32 vcc, v[16:17], v[14:15]
	s_or_b64 s[4:5], vcc, s[4:5]
	v_pk_mov_b32 v[14:15], v[16:17], v[16:17] op_sel:[0,1]
	s_andn2_b64 exec, exec, s[4:5]
	s_cbranch_execnz .LBB1_223
	s_branch .LBB1_142
.LBB1_224:
                                        ; implicit-def: $vgpr6_vgpr7
	s_cbranch_execnz .LBB1_226
	s_branch .LBB1_252
.LBB1_225:
	s_branch .LBB1_252
.LBB1_226:
	v_readfirstlane_b32 s4, v37
	v_cmp_eq_u32_e64 s[4:5], s4, v37
	v_pk_mov_b32 v[10:11], 0, 0
	s_and_saveexec_b64 s[6:7], s[4:5]
	s_cbranch_execz .LBB1_232
; %bb.227:
	s_waitcnt vmcnt(0)
	v_mov_b32_e32 v2, 0
	global_load_dwordx2 v[8:9], v2, s[10:11] offset:24 glc
	s_waitcnt vmcnt(0)
	buffer_invl2
	buffer_wbinvl1_vol
	global_load_dwordx2 v[6:7], v2, s[10:11] offset:40
	global_load_dwordx2 v[10:11], v2, s[10:11]
	s_waitcnt vmcnt(1)
	v_and_b32_e32 v3, v6, v8
	v_and_b32_e32 v6, v7, v9
	v_mul_lo_u32 v6, v6, 24
	v_mul_hi_u32 v7, v3, 24
	v_mul_lo_u32 v3, v3, 24
	v_add_u32_e32 v7, v7, v6
	s_waitcnt vmcnt(0)
	v_add_co_u32_e32 v6, vcc, v10, v3
	v_addc_co_u32_e32 v7, vcc, v11, v7, vcc
	global_load_dwordx2 v[6:7], v[6:7], off glc
	s_waitcnt vmcnt(0)
	global_atomic_cmpswap_x2 v[10:11], v2, v[6:9], s[10:11] offset:24 glc
	s_waitcnt vmcnt(0)
	buffer_invl2
	buffer_wbinvl1_vol
	v_cmp_ne_u64_e32 vcc, v[10:11], v[8:9]
	s_and_saveexec_b64 s[12:13], vcc
	s_cbranch_execz .LBB1_231
; %bb.228:
	s_mov_b64 s[14:15], 0
.LBB1_229:                              ; =>This Inner Loop Header: Depth=1
	s_sleep 1
	global_load_dwordx2 v[6:7], v2, s[10:11] offset:40
	global_load_dwordx2 v[12:13], v2, s[10:11]
	v_pk_mov_b32 v[8:9], v[10:11], v[10:11] op_sel:[0,1]
	s_waitcnt vmcnt(1)
	v_and_b32_e32 v6, v6, v8
	v_and_b32_e32 v3, v7, v9
	s_waitcnt vmcnt(0)
	v_mad_u64_u32 v[6:7], s[16:17], v6, 24, v[12:13]
	v_mov_b32_e32 v10, v7
	v_mad_u64_u32 v[10:11], s[16:17], v3, 24, v[10:11]
	v_mov_b32_e32 v7, v10
	global_load_dwordx2 v[6:7], v[6:7], off glc
	s_waitcnt vmcnt(0)
	global_atomic_cmpswap_x2 v[10:11], v2, v[6:9], s[10:11] offset:24 glc
	s_waitcnt vmcnt(0)
	buffer_invl2
	buffer_wbinvl1_vol
	v_cmp_eq_u64_e32 vcc, v[10:11], v[8:9]
	s_or_b64 s[14:15], vcc, s[14:15]
	s_andn2_b64 exec, exec, s[14:15]
	s_cbranch_execnz .LBB1_229
; %bb.230:
	s_or_b64 exec, exec, s[14:15]
.LBB1_231:
	s_or_b64 exec, exec, s[12:13]
.LBB1_232:
	s_or_b64 exec, exec, s[6:7]
	s_waitcnt vmcnt(0)
	v_mov_b32_e32 v2, 0
	global_load_dwordx2 v[12:13], v2, s[10:11] offset:40
	global_load_dwordx4 v[6:9], v2, s[10:11]
	v_readfirstlane_b32 s6, v10
	v_readfirstlane_b32 s7, v11
	s_mov_b64 s[12:13], exec
	s_waitcnt vmcnt(1)
	v_readfirstlane_b32 s14, v12
	v_readfirstlane_b32 s15, v13
	s_and_b64 s[14:15], s[6:7], s[14:15]
	s_mul_i32 s16, s15, 24
	s_mul_hi_u32 s17, s14, 24
	s_mul_i32 s18, s14, 24
	s_add_i32 s16, s17, s16
	v_mov_b32_e32 v3, s16
	s_waitcnt vmcnt(0)
	v_add_co_u32_e32 v10, vcc, s18, v6
	v_addc_co_u32_e32 v11, vcc, v7, v3, vcc
	s_and_saveexec_b64 s[16:17], s[4:5]
	s_cbranch_execz .LBB1_234
; %bb.233:
	v_pk_mov_b32 v[12:13], s[12:13], s[12:13] op_sel:[0,1]
	v_mov_b32_e32 v14, 2
	v_mov_b32_e32 v15, 1
	global_store_dwordx4 v[10:11], v[12:15], off offset:8
.LBB1_234:
	s_or_b64 exec, exec, s[16:17]
	s_lshl_b64 s[12:13], s[14:15], 12
	v_mov_b32_e32 v3, s13
	v_add_co_u32_e32 v12, vcc, s12, v8
	s_movk_i32 s12, 0xff1f
	v_addc_co_u32_e32 v13, vcc, v9, v3, vcc
	v_and_or_b32 v0, v0, s12, 32
	s_mov_b32 s12, 0
	v_mov_b32_e32 v3, v2
	v_readfirstlane_b32 s16, v12
	v_readfirstlane_b32 s17, v13
	s_mov_b32 s13, s12
	v_add_co_u32_e32 v8, vcc, v12, v36
	s_mov_b32 s14, s12
	s_mov_b32 s15, s12
	s_nop 0
	global_store_dwordx4 v36, v[0:3], s[16:17]
	v_addc_co_u32_e32 v9, vcc, 0, v13, vcc
	v_pk_mov_b32 v[0:1], s[12:13], s[12:13] op_sel:[0,1]
	v_pk_mov_b32 v[2:3], s[14:15], s[14:15] op_sel:[0,1]
	global_store_dwordx4 v36, v[0:3], s[16:17] offset:16
	global_store_dwordx4 v36, v[0:3], s[16:17] offset:32
	;; [unrolled: 1-line block ×3, first 2 shown]
	s_and_saveexec_b64 s[12:13], s[4:5]
	s_cbranch_execz .LBB1_242
; %bb.235:
	v_mov_b32_e32 v12, 0
	global_load_dwordx2 v[16:17], v12, s[10:11] offset:32 glc
	global_load_dwordx2 v[0:1], v12, s[10:11] offset:40
	v_mov_b32_e32 v14, s6
	v_mov_b32_e32 v15, s7
	s_waitcnt vmcnt(0)
	v_readfirstlane_b32 s14, v0
	v_readfirstlane_b32 s15, v1
	s_and_b64 s[14:15], s[14:15], s[6:7]
	s_mul_i32 s15, s15, 24
	s_mul_hi_u32 s16, s14, 24
	s_mul_i32 s14, s14, 24
	s_add_i32 s15, s16, s15
	v_mov_b32_e32 v0, s15
	v_add_co_u32_e32 v6, vcc, s14, v6
	v_addc_co_u32_e32 v7, vcc, v7, v0, vcc
	global_store_dwordx2 v[6:7], v[16:17], off
	buffer_wbl2
	s_waitcnt vmcnt(0)
	global_atomic_cmpswap_x2 v[2:3], v12, v[14:17], s[10:11] offset:32 glc
	s_waitcnt vmcnt(0)
	v_cmp_ne_u64_e32 vcc, v[2:3], v[16:17]
	s_and_saveexec_b64 s[14:15], vcc
	s_cbranch_execz .LBB1_238
; %bb.236:
	s_mov_b64 s[16:17], 0
.LBB1_237:                              ; =>This Inner Loop Header: Depth=1
	s_sleep 1
	global_store_dwordx2 v[6:7], v[2:3], off
	v_mov_b32_e32 v0, s6
	v_mov_b32_e32 v1, s7
	buffer_wbl2
	s_waitcnt vmcnt(0)
	global_atomic_cmpswap_x2 v[0:1], v12, v[0:3], s[10:11] offset:32 glc
	s_waitcnt vmcnt(0)
	v_cmp_eq_u64_e32 vcc, v[0:1], v[2:3]
	s_or_b64 s[16:17], vcc, s[16:17]
	v_pk_mov_b32 v[2:3], v[0:1], v[0:1] op_sel:[0,1]
	s_andn2_b64 exec, exec, s[16:17]
	s_cbranch_execnz .LBB1_237
.LBB1_238:
	s_or_b64 exec, exec, s[14:15]
	v_mov_b32_e32 v3, 0
	global_load_dwordx2 v[0:1], v3, s[10:11] offset:16
	s_mov_b64 s[14:15], exec
	v_mbcnt_lo_u32_b32 v2, s14, 0
	v_mbcnt_hi_u32_b32 v2, s15, v2
	v_cmp_eq_u32_e32 vcc, 0, v2
	s_and_saveexec_b64 s[16:17], vcc
	s_cbranch_execz .LBB1_240
; %bb.239:
	s_bcnt1_i32_b64 s14, s[14:15]
	v_mov_b32_e32 v2, s14
	buffer_wbl2
	s_waitcnt vmcnt(0)
	global_atomic_add_x2 v[0:1], v[2:3], off offset:8
.LBB1_240:
	s_or_b64 exec, exec, s[16:17]
	s_waitcnt vmcnt(0)
	global_load_dwordx2 v[2:3], v[0:1], off offset:16
	s_waitcnt vmcnt(0)
	v_cmp_eq_u64_e32 vcc, 0, v[2:3]
	s_cbranch_vccnz .LBB1_242
; %bb.241:
	global_load_dword v0, v[0:1], off offset:24
	v_mov_b32_e32 v1, 0
	buffer_wbl2
	s_waitcnt vmcnt(0)
	global_store_dwordx2 v[2:3], v[0:1], off
	v_and_b32_e32 v0, 0xffffff, v0
	v_readfirstlane_b32 m0, v0
	s_sendmsg sendmsg(MSG_INTERRUPT)
.LBB1_242:
	s_or_b64 exec, exec, s[12:13]
	s_branch .LBB1_246
.LBB1_243:                              ;   in Loop: Header=BB1_246 Depth=1
	s_or_b64 exec, exec, s[12:13]
	v_readfirstlane_b32 s12, v0
	s_cmp_eq_u32 s12, 0
	s_cbranch_scc1 .LBB1_245
; %bb.244:                              ;   in Loop: Header=BB1_246 Depth=1
	s_sleep 1
	s_cbranch_execnz .LBB1_246
	s_branch .LBB1_248
.LBB1_245:
	s_branch .LBB1_248
.LBB1_246:                              ; =>This Inner Loop Header: Depth=1
	v_mov_b32_e32 v0, 1
	s_and_saveexec_b64 s[12:13], s[4:5]
	s_cbranch_execz .LBB1_243
; %bb.247:                              ;   in Loop: Header=BB1_246 Depth=1
	global_load_dword v0, v[10:11], off offset:20 glc
	s_waitcnt vmcnt(0)
	buffer_invl2
	buffer_wbinvl1_vol
	v_and_b32_e32 v0, 1, v0
	s_branch .LBB1_243
.LBB1_248:
	global_load_dwordx2 v[6:7], v[8:9], off
	s_and_saveexec_b64 s[12:13], s[4:5]
	s_cbranch_execz .LBB1_251
; %bb.249:
	v_mov_b32_e32 v10, 0
	global_load_dwordx2 v[8:9], v10, s[10:11] offset:40
	global_load_dwordx2 v[12:13], v10, s[10:11] offset:24 glc
	global_load_dwordx2 v[14:15], v10, s[10:11]
	v_mov_b32_e32 v1, s7
	s_mov_b64 s[4:5], 0
	s_waitcnt vmcnt(2)
	v_add_co_u32_e32 v3, vcc, 1, v8
	v_addc_co_u32_e32 v11, vcc, 0, v9, vcc
	v_add_co_u32_e32 v0, vcc, s6, v3
	v_addc_co_u32_e32 v1, vcc, v11, v1, vcc
	v_cmp_eq_u64_e32 vcc, 0, v[0:1]
	v_cndmask_b32_e32 v1, v1, v11, vcc
	v_cndmask_b32_e32 v0, v0, v3, vcc
	v_and_b32_e32 v3, v1, v9
	v_and_b32_e32 v8, v0, v8
	v_mul_lo_u32 v3, v3, 24
	v_mul_hi_u32 v9, v8, 24
	v_mul_lo_u32 v8, v8, 24
	v_add_u32_e32 v3, v9, v3
	s_waitcnt vmcnt(0)
	v_add_co_u32_e32 v8, vcc, v14, v8
	v_addc_co_u32_e32 v9, vcc, v15, v3, vcc
	v_mov_b32_e32 v2, v12
	global_store_dwordx2 v[8:9], v[12:13], off
	v_mov_b32_e32 v3, v13
	buffer_wbl2
	s_waitcnt vmcnt(0)
	global_atomic_cmpswap_x2 v[2:3], v10, v[0:3], s[10:11] offset:24 glc
	s_waitcnt vmcnt(0)
	v_cmp_ne_u64_e32 vcc, v[2:3], v[12:13]
	s_and_b64 exec, exec, vcc
	s_cbranch_execz .LBB1_251
.LBB1_250:                              ; =>This Inner Loop Header: Depth=1
	s_sleep 1
	global_store_dwordx2 v[8:9], v[2:3], off
	buffer_wbl2
	s_waitcnt vmcnt(0)
	global_atomic_cmpswap_x2 v[12:13], v10, v[0:3], s[10:11] offset:24 glc
	s_waitcnt vmcnt(0)
	v_cmp_eq_u64_e32 vcc, v[12:13], v[2:3]
	s_or_b64 s[4:5], vcc, s[4:5]
	v_pk_mov_b32 v[2:3], v[12:13], v[12:13] op_sel:[0,1]
	s_andn2_b64 exec, exec, s[4:5]
	s_cbranch_execnz .LBB1_250
.LBB1_251:
	s_or_b64 exec, exec, s[12:13]
.LBB1_252:
	v_readfirstlane_b32 s4, v37
	v_cmp_eq_u32_e64 s[4:5], s4, v37
	v_pk_mov_b32 v[10:11], 0, 0
	s_and_saveexec_b64 s[6:7], s[4:5]
	s_cbranch_execz .LBB1_258
; %bb.253:
	s_waitcnt vmcnt(0)
	v_mov_b32_e32 v0, 0
	global_load_dwordx2 v[12:13], v0, s[10:11] offset:24 glc
	s_waitcnt vmcnt(0)
	buffer_invl2
	buffer_wbinvl1_vol
	global_load_dwordx2 v[2:3], v0, s[10:11] offset:40
	global_load_dwordx2 v[8:9], v0, s[10:11]
	s_waitcnt vmcnt(1)
	v_and_b32_e32 v1, v2, v12
	v_and_b32_e32 v2, v3, v13
	v_mul_lo_u32 v2, v2, 24
	v_mul_hi_u32 v3, v1, 24
	v_mul_lo_u32 v1, v1, 24
	v_add_u32_e32 v3, v3, v2
	s_waitcnt vmcnt(0)
	v_add_co_u32_e32 v2, vcc, v8, v1
	v_addc_co_u32_e32 v3, vcc, v9, v3, vcc
	global_load_dwordx2 v[10:11], v[2:3], off glc
	s_waitcnt vmcnt(0)
	global_atomic_cmpswap_x2 v[10:11], v0, v[10:13], s[10:11] offset:24 glc
	s_waitcnt vmcnt(0)
	buffer_invl2
	buffer_wbinvl1_vol
	v_cmp_ne_u64_e32 vcc, v[10:11], v[12:13]
	s_and_saveexec_b64 s[12:13], vcc
	s_cbranch_execz .LBB1_257
; %bb.254:
	s_mov_b64 s[14:15], 0
.LBB1_255:                              ; =>This Inner Loop Header: Depth=1
	s_sleep 1
	global_load_dwordx2 v[2:3], v0, s[10:11] offset:40
	global_load_dwordx2 v[8:9], v0, s[10:11]
	v_pk_mov_b32 v[12:13], v[10:11], v[10:11] op_sel:[0,1]
	s_waitcnt vmcnt(1)
	v_and_b32_e32 v2, v2, v12
	v_and_b32_e32 v1, v3, v13
	s_waitcnt vmcnt(0)
	v_mad_u64_u32 v[2:3], s[16:17], v2, 24, v[8:9]
	v_mov_b32_e32 v8, v3
	v_mad_u64_u32 v[8:9], s[16:17], v1, 24, v[8:9]
	v_mov_b32_e32 v3, v8
	global_load_dwordx2 v[10:11], v[2:3], off glc
	s_waitcnt vmcnt(0)
	global_atomic_cmpswap_x2 v[10:11], v0, v[10:13], s[10:11] offset:24 glc
	s_waitcnt vmcnt(0)
	buffer_invl2
	buffer_wbinvl1_vol
	v_cmp_eq_u64_e32 vcc, v[10:11], v[12:13]
	s_or_b64 s[14:15], vcc, s[14:15]
	s_andn2_b64 exec, exec, s[14:15]
	s_cbranch_execnz .LBB1_255
; %bb.256:
	s_or_b64 exec, exec, s[14:15]
.LBB1_257:
	s_or_b64 exec, exec, s[12:13]
.LBB1_258:
	s_or_b64 exec, exec, s[6:7]
	s_waitcnt vmcnt(0)
	v_mov_b32_e32 v9, 0
	global_load_dwordx2 v[12:13], v9, s[10:11] offset:40
	global_load_dwordx4 v[0:3], v9, s[10:11]
	v_readfirstlane_b32 s6, v10
	v_readfirstlane_b32 s7, v11
	s_mov_b64 s[12:13], exec
	s_waitcnt vmcnt(1)
	v_readfirstlane_b32 s14, v12
	v_readfirstlane_b32 s15, v13
	s_and_b64 s[14:15], s[6:7], s[14:15]
	s_mul_i32 s16, s15, 24
	s_mul_hi_u32 s17, s14, 24
	s_mul_i32 s18, s14, 24
	s_add_i32 s16, s17, s16
	v_mov_b32_e32 v8, s16
	s_waitcnt vmcnt(0)
	v_add_co_u32_e32 v10, vcc, s18, v0
	v_addc_co_u32_e32 v11, vcc, v1, v8, vcc
	s_and_saveexec_b64 s[16:17], s[4:5]
	s_cbranch_execz .LBB1_260
; %bb.259:
	v_pk_mov_b32 v[12:13], s[12:13], s[12:13] op_sel:[0,1]
	v_mov_b32_e32 v14, 2
	v_mov_b32_e32 v15, 1
	global_store_dwordx4 v[10:11], v[12:15], off offset:8
.LBB1_260:
	s_or_b64 exec, exec, s[16:17]
	s_lshl_b64 s[12:13], s[14:15], 12
	v_mov_b32_e32 v8, s13
	v_add_co_u32_e32 v2, vcc, s12, v2
	s_movk_i32 s12, 0xff1f
	v_addc_co_u32_e32 v3, vcc, v3, v8, vcc
	v_and_or_b32 v6, v6, s12, 32
	s_mov_b32 s12, 0
	v_mov_b32_e32 v8, 0x331
	v_readfirstlane_b32 s16, v2
	v_readfirstlane_b32 s17, v3
	s_mov_b32 s13, s12
	v_add_co_u32_e32 v12, vcc, v2, v36
	s_mov_b32 s14, s12
	s_mov_b32 s15, s12
	s_nop 0
	global_store_dwordx4 v36, v[6:9], s[16:17]
	v_addc_co_u32_e32 v13, vcc, 0, v3, vcc
	v_pk_mov_b32 v[6:7], s[12:13], s[12:13] op_sel:[0,1]
	v_pk_mov_b32 v[8:9], s[14:15], s[14:15] op_sel:[0,1]
	global_store_dwordx4 v36, v[6:9], s[16:17] offset:16
	global_store_dwordx4 v36, v[6:9], s[16:17] offset:32
	;; [unrolled: 1-line block ×3, first 2 shown]
	s_and_saveexec_b64 s[12:13], s[4:5]
	s_cbranch_execz .LBB1_268
; %bb.261:
	v_mov_b32_e32 v8, 0
	global_load_dwordx2 v[16:17], v8, s[10:11] offset:32 glc
	global_load_dwordx2 v[2:3], v8, s[10:11] offset:40
	v_mov_b32_e32 v14, s6
	v_mov_b32_e32 v15, s7
	s_waitcnt vmcnt(0)
	v_readfirstlane_b32 s14, v2
	v_readfirstlane_b32 s15, v3
	s_and_b64 s[14:15], s[14:15], s[6:7]
	s_mul_i32 s15, s15, 24
	s_mul_hi_u32 s16, s14, 24
	s_mul_i32 s14, s14, 24
	s_add_i32 s15, s16, s15
	v_mov_b32_e32 v2, s15
	v_add_co_u32_e32 v6, vcc, s14, v0
	v_addc_co_u32_e32 v7, vcc, v1, v2, vcc
	global_store_dwordx2 v[6:7], v[16:17], off
	buffer_wbl2
	s_waitcnt vmcnt(0)
	global_atomic_cmpswap_x2 v[2:3], v8, v[14:17], s[10:11] offset:32 glc
	s_waitcnt vmcnt(0)
	v_cmp_ne_u64_e32 vcc, v[2:3], v[16:17]
	s_and_saveexec_b64 s[14:15], vcc
	s_cbranch_execz .LBB1_264
; %bb.262:
	s_mov_b64 s[16:17], 0
.LBB1_263:                              ; =>This Inner Loop Header: Depth=1
	s_sleep 1
	global_store_dwordx2 v[6:7], v[2:3], off
	v_mov_b32_e32 v0, s6
	v_mov_b32_e32 v1, s7
	buffer_wbl2
	s_waitcnt vmcnt(0)
	global_atomic_cmpswap_x2 v[0:1], v8, v[0:3], s[10:11] offset:32 glc
	s_waitcnt vmcnt(0)
	v_cmp_eq_u64_e32 vcc, v[0:1], v[2:3]
	s_or_b64 s[16:17], vcc, s[16:17]
	v_pk_mov_b32 v[2:3], v[0:1], v[0:1] op_sel:[0,1]
	s_andn2_b64 exec, exec, s[16:17]
	s_cbranch_execnz .LBB1_263
.LBB1_264:
	s_or_b64 exec, exec, s[14:15]
	v_mov_b32_e32 v3, 0
	global_load_dwordx2 v[0:1], v3, s[10:11] offset:16
	s_mov_b64 s[14:15], exec
	v_mbcnt_lo_u32_b32 v2, s14, 0
	v_mbcnt_hi_u32_b32 v2, s15, v2
	v_cmp_eq_u32_e32 vcc, 0, v2
	s_and_saveexec_b64 s[16:17], vcc
	s_cbranch_execz .LBB1_266
; %bb.265:
	s_bcnt1_i32_b64 s14, s[14:15]
	v_mov_b32_e32 v2, s14
	buffer_wbl2
	s_waitcnt vmcnt(0)
	global_atomic_add_x2 v[0:1], v[2:3], off offset:8
.LBB1_266:
	s_or_b64 exec, exec, s[16:17]
	s_waitcnt vmcnt(0)
	global_load_dwordx2 v[2:3], v[0:1], off offset:16
	s_waitcnt vmcnt(0)
	v_cmp_eq_u64_e32 vcc, 0, v[2:3]
	s_cbranch_vccnz .LBB1_268
; %bb.267:
	global_load_dword v0, v[0:1], off offset:24
	v_mov_b32_e32 v1, 0
	buffer_wbl2
	s_waitcnt vmcnt(0)
	global_store_dwordx2 v[2:3], v[0:1], off
	v_and_b32_e32 v0, 0xffffff, v0
	v_readfirstlane_b32 m0, v0
	s_sendmsg sendmsg(MSG_INTERRUPT)
.LBB1_268:
	s_or_b64 exec, exec, s[12:13]
	s_branch .LBB1_272
.LBB1_269:                              ;   in Loop: Header=BB1_272 Depth=1
	s_or_b64 exec, exec, s[12:13]
	v_readfirstlane_b32 s12, v0
	s_cmp_eq_u32 s12, 0
	s_cbranch_scc1 .LBB1_271
; %bb.270:                              ;   in Loop: Header=BB1_272 Depth=1
	s_sleep 1
	s_cbranch_execnz .LBB1_272
	s_branch .LBB1_274
.LBB1_271:
	s_branch .LBB1_274
.LBB1_272:                              ; =>This Inner Loop Header: Depth=1
	v_mov_b32_e32 v0, 1
	s_and_saveexec_b64 s[12:13], s[4:5]
	s_cbranch_execz .LBB1_269
; %bb.273:                              ;   in Loop: Header=BB1_272 Depth=1
	global_load_dword v0, v[10:11], off offset:20 glc
	s_waitcnt vmcnt(0)
	buffer_invl2
	buffer_wbinvl1_vol
	v_and_b32_e32 v0, 1, v0
	s_branch .LBB1_269
.LBB1_274:
	global_load_dwordx2 v[0:1], v[12:13], off
	s_and_saveexec_b64 s[12:13], s[4:5]
	s_cbranch_execz .LBB1_277
; %bb.275:
	v_mov_b32_e32 v10, 0
	global_load_dwordx2 v[2:3], v10, s[10:11] offset:40
	global_load_dwordx2 v[12:13], v10, s[10:11] offset:24 glc
	global_load_dwordx2 v[14:15], v10, s[10:11]
	v_mov_b32_e32 v7, s7
	s_mov_b64 s[4:5], 0
	s_waitcnt vmcnt(2)
	v_add_co_u32_e32 v9, vcc, 1, v2
	v_addc_co_u32_e32 v11, vcc, 0, v3, vcc
	v_add_co_u32_e32 v6, vcc, s6, v9
	v_addc_co_u32_e32 v7, vcc, v11, v7, vcc
	v_cmp_eq_u64_e32 vcc, 0, v[6:7]
	v_cndmask_b32_e32 v7, v7, v11, vcc
	v_cndmask_b32_e32 v6, v6, v9, vcc
	v_and_b32_e32 v3, v7, v3
	v_and_b32_e32 v2, v6, v2
	v_mul_lo_u32 v3, v3, 24
	v_mul_hi_u32 v9, v2, 24
	v_mul_lo_u32 v2, v2, 24
	v_add_u32_e32 v3, v9, v3
	s_waitcnt vmcnt(0)
	v_add_co_u32_e32 v2, vcc, v14, v2
	v_addc_co_u32_e32 v3, vcc, v15, v3, vcc
	v_mov_b32_e32 v8, v12
	global_store_dwordx2 v[2:3], v[12:13], off
	v_mov_b32_e32 v9, v13
	buffer_wbl2
	s_waitcnt vmcnt(0)
	global_atomic_cmpswap_x2 v[8:9], v10, v[6:9], s[10:11] offset:24 glc
	s_waitcnt vmcnt(0)
	v_cmp_ne_u64_e32 vcc, v[8:9], v[12:13]
	s_and_b64 exec, exec, vcc
	s_cbranch_execz .LBB1_277
.LBB1_276:                              ; =>This Inner Loop Header: Depth=1
	s_sleep 1
	global_store_dwordx2 v[2:3], v[8:9], off
	buffer_wbl2
	s_waitcnt vmcnt(0)
	global_atomic_cmpswap_x2 v[12:13], v10, v[6:9], s[10:11] offset:24 glc
	s_waitcnt vmcnt(0)
	v_cmp_eq_u64_e32 vcc, v[12:13], v[8:9]
	s_or_b64 s[4:5], vcc, s[4:5]
	v_pk_mov_b32 v[8:9], v[12:13], v[12:13] op_sel:[0,1]
	s_andn2_b64 exec, exec, s[4:5]
	s_cbranch_execnz .LBB1_276
.LBB1_277:
	s_or_b64 exec, exec, s[12:13]
	s_mov_b64 s[4:5], 0
	v_pk_mov_b32 v[6:7], v[4:5], v[4:5] op_sel:[0,1]
.LBB1_278:                              ; =>This Inner Loop Header: Depth=1
	flat_load_ubyte v8, v[6:7]
	v_add_co_u32_e32 v2, vcc, 1, v6
	v_addc_co_u32_e32 v3, vcc, 0, v7, vcc
	v_pk_mov_b32 v[6:7], v[2:3], v[2:3] op_sel:[0,1]
	s_waitcnt vmcnt(0) lgkmcnt(0)
	v_cmp_eq_u16_e32 vcc, 0, v8
	s_or_b64 s[4:5], vcc, s[4:5]
	s_andn2_b64 exec, exec, s[4:5]
	s_cbranch_execnz .LBB1_278
; %bb.279:
	s_or_b64 exec, exec, s[4:5]
	s_mov_b64 s[6:7], 0
	v_cmp_ne_u64_e32 vcc, 0, v[4:5]
	s_and_saveexec_b64 s[4:5], vcc
	s_xor_b64 s[12:13], exec, s[4:5]
	s_cbranch_execz .LBB1_365
; %bb.280:
	v_sub_u32_e32 v26, v2, v4
	v_ashrrev_i32_e32 v27, 31, v26
	v_and_b32_e32 v28, 2, v0
	v_mov_b32_e32 v31, 0
	v_and_b32_e32 v0, -3, v0
	s_mov_b32 s22, 0
	s_movk_i32 s23, 0xff1f
	v_mov_b32_e32 v8, 2
	v_mov_b32_e32 v9, 1
	s_branch .LBB1_282
.LBB1_281:                              ;   in Loop: Header=BB1_282 Depth=1
	s_or_b64 exec, exec, s[16:17]
	v_sub_co_u32_e32 v26, vcc, v26, v32
	v_subb_co_u32_e32 v27, vcc, v27, v33, vcc
	v_cmp_eq_u64_e32 vcc, 0, v[26:27]
	s_or_b64 s[6:7], vcc, s[6:7]
	v_add_co_u32_e32 v4, vcc, v4, v32
	v_addc_co_u32_e32 v5, vcc, v5, v33, vcc
	s_andn2_b64 exec, exec, s[6:7]
	s_cbranch_execz .LBB1_364
.LBB1_282:                              ; =>This Loop Header: Depth=1
                                        ;     Child Loop BB1_285 Depth 2
                                        ;     Child Loop BB1_293 Depth 2
                                        ;     Child Loop BB1_301 Depth 2
                                        ;     Child Loop BB1_309 Depth 2
                                        ;     Child Loop BB1_317 Depth 2
                                        ;     Child Loop BB1_325 Depth 2
                                        ;     Child Loop BB1_333 Depth 2
                                        ;     Child Loop BB1_341 Depth 2
                                        ;     Child Loop BB1_349 Depth 2
                                        ;     Child Loop BB1_358 Depth 2
                                        ;     Child Loop BB1_363 Depth 2
	v_cmp_gt_u64_e32 vcc, 56, v[26:27]
	v_cndmask_b32_e32 v33, 0, v27, vcc
	v_cndmask_b32_e32 v32, 56, v26, vcc
	v_cmp_gt_u64_e32 vcc, 8, v[26:27]
                                        ; implicit-def: $vgpr2_vgpr3
                                        ; implicit-def: $sgpr14
	s_and_saveexec_b64 s[4:5], vcc
	s_xor_b64 s[4:5], exec, s[4:5]
	s_cbranch_execz .LBB1_288
; %bb.283:                              ;   in Loop: Header=BB1_282 Depth=1
	s_mov_b64 s[16:17], 0
	v_cmp_ne_u64_e32 vcc, 0, v[26:27]
	s_waitcnt vmcnt(0)
	v_pk_mov_b32 v[2:3], 0, 0
	s_and_saveexec_b64 s[14:15], vcc
	s_cbranch_execz .LBB1_287
; %bb.284:                              ;   in Loop: Header=BB1_282 Depth=1
	v_lshlrev_b64 v[6:7], 3, v[32:33]
	v_pk_mov_b32 v[2:3], 0, 0
	v_pk_mov_b32 v[10:11], v[4:5], v[4:5] op_sel:[0,1]
	s_mov_b64 s[18:19], 0
.LBB1_285:                              ;   Parent Loop BB1_282 Depth=1
                                        ; =>  This Inner Loop Header: Depth=2
	flat_load_ubyte v7, v[10:11]
	v_mov_b32_e32 v13, s22
	v_add_co_u32_e32 v10, vcc, 1, v10
	v_addc_co_u32_e32 v11, vcc, 0, v11, vcc
	s_waitcnt vmcnt(0) lgkmcnt(0)
	v_and_b32_e32 v12, 0xffff, v7
	v_lshlrev_b64 v[12:13], s18, v[12:13]
	s_add_u32 s18, s18, 8
	s_addc_u32 s19, s19, 0
	v_cmp_eq_u32_e32 vcc, s18, v6
	v_or_b32_e32 v3, v13, v3
	s_or_b64 s[16:17], vcc, s[16:17]
	v_or_b32_e32 v2, v12, v2
	s_andn2_b64 exec, exec, s[16:17]
	s_cbranch_execnz .LBB1_285
; %bb.286:                              ;   in Loop: Header=BB1_282 Depth=1
	s_or_b64 exec, exec, s[16:17]
.LBB1_287:                              ;   in Loop: Header=BB1_282 Depth=1
	s_or_b64 exec, exec, s[14:15]
	s_mov_b32 s14, 0
.LBB1_288:                              ;   in Loop: Header=BB1_282 Depth=1
	s_or_saveexec_b64 s[4:5], s[4:5]
	v_mov_b32_e32 v12, s14
	v_pk_mov_b32 v[6:7], v[4:5], v[4:5] op_sel:[0,1]
	s_xor_b64 exec, exec, s[4:5]
	s_cbranch_execz .LBB1_290
; %bb.289:                              ;   in Loop: Header=BB1_282 Depth=1
	s_waitcnt vmcnt(0)
	flat_load_dwordx2 v[2:3], v[4:5]
	v_add_u32_e32 v12, -8, v32
	s_waitcnt vmcnt(0) lgkmcnt(0)
	v_and_b32_e32 v6, 0xff, v3
	v_and_b32_e32 v7, 0xff00, v3
	;; [unrolled: 1-line block ×4, first 2 shown]
	v_or_b32_e32 v6, v6, v7
	v_or3_b32 v3, v6, v10, v3
	v_add_co_u32_e32 v6, vcc, 8, v4
	v_or3_b32 v2, v2, 0, 0
	v_addc_co_u32_e32 v7, vcc, 0, v5, vcc
.LBB1_290:                              ;   in Loop: Header=BB1_282 Depth=1
	s_or_b64 exec, exec, s[4:5]
	v_cmp_gt_u32_e32 vcc, 8, v12
                                        ; implicit-def: $vgpr10_vgpr11
                                        ; implicit-def: $sgpr14
	s_and_saveexec_b64 s[4:5], vcc
	s_xor_b64 s[4:5], exec, s[4:5]
	s_cbranch_execz .LBB1_296
; %bb.291:                              ;   in Loop: Header=BB1_282 Depth=1
	v_cmp_ne_u32_e32 vcc, 0, v12
	v_pk_mov_b32 v[10:11], 0, 0
	s_and_saveexec_b64 s[14:15], vcc
	s_cbranch_execz .LBB1_295
; %bb.292:                              ;   in Loop: Header=BB1_282 Depth=1
	s_mov_b64 s[16:17], 0
	v_pk_mov_b32 v[10:11], 0, 0
	s_mov_b64 s[18:19], 0
	s_mov_b64 s[20:21], 0
.LBB1_293:                              ;   Parent Loop BB1_282 Depth=1
                                        ; =>  This Inner Loop Header: Depth=2
	v_mov_b32_e32 v13, s21
	v_add_co_u32_e32 v14, vcc, s20, v6
	v_addc_co_u32_e32 v15, vcc, v7, v13, vcc
	flat_load_ubyte v13, v[14:15]
	s_add_u32 s20, s20, 1
	v_mov_b32_e32 v15, s22
	s_addc_u32 s21, s21, 0
	v_cmp_eq_u32_e32 vcc, s20, v12
	s_waitcnt vmcnt(0) lgkmcnt(0)
	v_and_b32_e32 v14, 0xffff, v13
	v_lshlrev_b64 v[14:15], s18, v[14:15]
	s_add_u32 s18, s18, 8
	s_addc_u32 s19, s19, 0
	v_or_b32_e32 v11, v15, v11
	s_or_b64 s[16:17], vcc, s[16:17]
	v_or_b32_e32 v10, v14, v10
	s_andn2_b64 exec, exec, s[16:17]
	s_cbranch_execnz .LBB1_293
; %bb.294:                              ;   in Loop: Header=BB1_282 Depth=1
	s_or_b64 exec, exec, s[16:17]
.LBB1_295:                              ;   in Loop: Header=BB1_282 Depth=1
	s_or_b64 exec, exec, s[14:15]
	s_mov_b32 s14, 0
                                        ; implicit-def: $vgpr12
.LBB1_296:                              ;   in Loop: Header=BB1_282 Depth=1
	s_or_saveexec_b64 s[4:5], s[4:5]
	v_mov_b32_e32 v14, s14
	s_xor_b64 exec, exec, s[4:5]
	s_cbranch_execz .LBB1_298
; %bb.297:                              ;   in Loop: Header=BB1_282 Depth=1
	flat_load_dwordx2 v[10:11], v[6:7]
	v_add_u32_e32 v14, -8, v12
	v_add_co_u32_e32 v6, vcc, 8, v6
	v_addc_co_u32_e32 v7, vcc, 0, v7, vcc
	s_waitcnt vmcnt(0) lgkmcnt(0)
	v_and_b32_e32 v12, 0xff, v11
	v_and_b32_e32 v13, 0xff00, v11
	;; [unrolled: 1-line block ×4, first 2 shown]
	v_or_b32_e32 v12, v12, v13
	v_or3_b32 v10, v10, 0, 0
	v_or3_b32 v11, v12, v15, v11
.LBB1_298:                              ;   in Loop: Header=BB1_282 Depth=1
	s_or_b64 exec, exec, s[4:5]
	v_cmp_gt_u32_e32 vcc, 8, v14
                                        ; implicit-def: $sgpr14
	s_and_saveexec_b64 s[4:5], vcc
	s_xor_b64 s[4:5], exec, s[4:5]
	s_cbranch_execz .LBB1_304
; %bb.299:                              ;   in Loop: Header=BB1_282 Depth=1
	v_cmp_ne_u32_e32 vcc, 0, v14
	v_pk_mov_b32 v[12:13], 0, 0
	s_and_saveexec_b64 s[14:15], vcc
	s_cbranch_execz .LBB1_303
; %bb.300:                              ;   in Loop: Header=BB1_282 Depth=1
	s_mov_b64 s[16:17], 0
	v_pk_mov_b32 v[12:13], 0, 0
	s_mov_b64 s[18:19], 0
	s_mov_b64 s[20:21], 0
.LBB1_301:                              ;   Parent Loop BB1_282 Depth=1
                                        ; =>  This Inner Loop Header: Depth=2
	v_mov_b32_e32 v15, s21
	v_add_co_u32_e32 v16, vcc, s20, v6
	v_addc_co_u32_e32 v17, vcc, v7, v15, vcc
	flat_load_ubyte v15, v[16:17]
	s_add_u32 s20, s20, 1
	v_mov_b32_e32 v17, s22
	s_addc_u32 s21, s21, 0
	v_cmp_eq_u32_e32 vcc, s20, v14
	s_waitcnt vmcnt(0) lgkmcnt(0)
	v_and_b32_e32 v16, 0xffff, v15
	v_lshlrev_b64 v[16:17], s18, v[16:17]
	s_add_u32 s18, s18, 8
	s_addc_u32 s19, s19, 0
	v_or_b32_e32 v13, v17, v13
	s_or_b64 s[16:17], vcc, s[16:17]
	v_or_b32_e32 v12, v16, v12
	s_andn2_b64 exec, exec, s[16:17]
	s_cbranch_execnz .LBB1_301
; %bb.302:                              ;   in Loop: Header=BB1_282 Depth=1
	s_or_b64 exec, exec, s[16:17]
.LBB1_303:                              ;   in Loop: Header=BB1_282 Depth=1
	s_or_b64 exec, exec, s[14:15]
	s_mov_b32 s14, 0
                                        ; implicit-def: $vgpr14
.LBB1_304:                              ;   in Loop: Header=BB1_282 Depth=1
	s_or_saveexec_b64 s[4:5], s[4:5]
	v_mov_b32_e32 v16, s14
	s_xor_b64 exec, exec, s[4:5]
	s_cbranch_execz .LBB1_306
; %bb.305:                              ;   in Loop: Header=BB1_282 Depth=1
	flat_load_dwordx2 v[12:13], v[6:7]
	v_add_u32_e32 v16, -8, v14
	v_add_co_u32_e32 v6, vcc, 8, v6
	v_addc_co_u32_e32 v7, vcc, 0, v7, vcc
	s_waitcnt vmcnt(0) lgkmcnt(0)
	v_and_b32_e32 v14, 0xff, v13
	v_and_b32_e32 v15, 0xff00, v13
	;; [unrolled: 1-line block ×4, first 2 shown]
	v_or_b32_e32 v14, v14, v15
	v_or3_b32 v12, v12, 0, 0
	v_or3_b32 v13, v14, v17, v13
.LBB1_306:                              ;   in Loop: Header=BB1_282 Depth=1
	s_or_b64 exec, exec, s[4:5]
	v_cmp_gt_u32_e32 vcc, 8, v16
                                        ; implicit-def: $vgpr14_vgpr15
                                        ; implicit-def: $sgpr14
	s_and_saveexec_b64 s[4:5], vcc
	s_xor_b64 s[4:5], exec, s[4:5]
	s_cbranch_execz .LBB1_312
; %bb.307:                              ;   in Loop: Header=BB1_282 Depth=1
	v_cmp_ne_u32_e32 vcc, 0, v16
	v_pk_mov_b32 v[14:15], 0, 0
	s_and_saveexec_b64 s[14:15], vcc
	s_cbranch_execz .LBB1_311
; %bb.308:                              ;   in Loop: Header=BB1_282 Depth=1
	s_mov_b64 s[16:17], 0
	v_pk_mov_b32 v[14:15], 0, 0
	s_mov_b64 s[18:19], 0
	s_mov_b64 s[20:21], 0
.LBB1_309:                              ;   Parent Loop BB1_282 Depth=1
                                        ; =>  This Inner Loop Header: Depth=2
	v_mov_b32_e32 v17, s21
	v_add_co_u32_e32 v18, vcc, s20, v6
	v_addc_co_u32_e32 v19, vcc, v7, v17, vcc
	flat_load_ubyte v17, v[18:19]
	s_add_u32 s20, s20, 1
	v_mov_b32_e32 v19, s22
	s_addc_u32 s21, s21, 0
	v_cmp_eq_u32_e32 vcc, s20, v16
	s_waitcnt vmcnt(0) lgkmcnt(0)
	v_and_b32_e32 v18, 0xffff, v17
	v_lshlrev_b64 v[18:19], s18, v[18:19]
	s_add_u32 s18, s18, 8
	s_addc_u32 s19, s19, 0
	v_or_b32_e32 v15, v19, v15
	s_or_b64 s[16:17], vcc, s[16:17]
	v_or_b32_e32 v14, v18, v14
	s_andn2_b64 exec, exec, s[16:17]
	s_cbranch_execnz .LBB1_309
; %bb.310:                              ;   in Loop: Header=BB1_282 Depth=1
	s_or_b64 exec, exec, s[16:17]
.LBB1_311:                              ;   in Loop: Header=BB1_282 Depth=1
	s_or_b64 exec, exec, s[14:15]
	s_mov_b32 s14, 0
                                        ; implicit-def: $vgpr16
.LBB1_312:                              ;   in Loop: Header=BB1_282 Depth=1
	s_or_saveexec_b64 s[4:5], s[4:5]
	v_mov_b32_e32 v18, s14
	s_xor_b64 exec, exec, s[4:5]
	s_cbranch_execz .LBB1_314
; %bb.313:                              ;   in Loop: Header=BB1_282 Depth=1
	flat_load_dwordx2 v[14:15], v[6:7]
	v_add_u32_e32 v18, -8, v16
	v_add_co_u32_e32 v6, vcc, 8, v6
	v_addc_co_u32_e32 v7, vcc, 0, v7, vcc
	s_waitcnt vmcnt(0) lgkmcnt(0)
	v_and_b32_e32 v16, 0xff, v15
	v_and_b32_e32 v17, 0xff00, v15
	;; [unrolled: 1-line block ×4, first 2 shown]
	v_or_b32_e32 v16, v16, v17
	v_or3_b32 v14, v14, 0, 0
	v_or3_b32 v15, v16, v19, v15
.LBB1_314:                              ;   in Loop: Header=BB1_282 Depth=1
	s_or_b64 exec, exec, s[4:5]
	v_cmp_gt_u32_e32 vcc, 8, v18
                                        ; implicit-def: $sgpr14
	s_and_saveexec_b64 s[4:5], vcc
	s_xor_b64 s[4:5], exec, s[4:5]
	s_cbranch_execz .LBB1_320
; %bb.315:                              ;   in Loop: Header=BB1_282 Depth=1
	v_cmp_ne_u32_e32 vcc, 0, v18
	v_pk_mov_b32 v[16:17], 0, 0
	s_and_saveexec_b64 s[14:15], vcc
	s_cbranch_execz .LBB1_319
; %bb.316:                              ;   in Loop: Header=BB1_282 Depth=1
	s_mov_b64 s[16:17], 0
	v_pk_mov_b32 v[16:17], 0, 0
	s_mov_b64 s[18:19], 0
	s_mov_b64 s[20:21], 0
.LBB1_317:                              ;   Parent Loop BB1_282 Depth=1
                                        ; =>  This Inner Loop Header: Depth=2
	v_mov_b32_e32 v19, s21
	v_add_co_u32_e32 v20, vcc, s20, v6
	v_addc_co_u32_e32 v21, vcc, v7, v19, vcc
	flat_load_ubyte v19, v[20:21]
	s_add_u32 s20, s20, 1
	v_mov_b32_e32 v21, s22
	s_addc_u32 s21, s21, 0
	v_cmp_eq_u32_e32 vcc, s20, v18
	s_waitcnt vmcnt(0) lgkmcnt(0)
	v_and_b32_e32 v20, 0xffff, v19
	v_lshlrev_b64 v[20:21], s18, v[20:21]
	s_add_u32 s18, s18, 8
	s_addc_u32 s19, s19, 0
	v_or_b32_e32 v17, v21, v17
	s_or_b64 s[16:17], vcc, s[16:17]
	v_or_b32_e32 v16, v20, v16
	s_andn2_b64 exec, exec, s[16:17]
	s_cbranch_execnz .LBB1_317
; %bb.318:                              ;   in Loop: Header=BB1_282 Depth=1
	s_or_b64 exec, exec, s[16:17]
.LBB1_319:                              ;   in Loop: Header=BB1_282 Depth=1
	s_or_b64 exec, exec, s[14:15]
	s_mov_b32 s14, 0
                                        ; implicit-def: $vgpr18
.LBB1_320:                              ;   in Loop: Header=BB1_282 Depth=1
	s_or_saveexec_b64 s[4:5], s[4:5]
	v_mov_b32_e32 v20, s14
	s_xor_b64 exec, exec, s[4:5]
	s_cbranch_execz .LBB1_322
; %bb.321:                              ;   in Loop: Header=BB1_282 Depth=1
	flat_load_dwordx2 v[16:17], v[6:7]
	v_add_u32_e32 v20, -8, v18
	v_add_co_u32_e32 v6, vcc, 8, v6
	v_addc_co_u32_e32 v7, vcc, 0, v7, vcc
	s_waitcnt vmcnt(0) lgkmcnt(0)
	v_and_b32_e32 v18, 0xff, v17
	v_and_b32_e32 v19, 0xff00, v17
	;; [unrolled: 1-line block ×4, first 2 shown]
	v_or_b32_e32 v18, v18, v19
	v_or3_b32 v16, v16, 0, 0
	v_or3_b32 v17, v18, v21, v17
.LBB1_322:                              ;   in Loop: Header=BB1_282 Depth=1
	s_or_b64 exec, exec, s[4:5]
	v_cmp_gt_u32_e32 vcc, 8, v20
                                        ; implicit-def: $vgpr18_vgpr19
                                        ; implicit-def: $sgpr14
	s_and_saveexec_b64 s[4:5], vcc
	s_xor_b64 s[4:5], exec, s[4:5]
	s_cbranch_execz .LBB1_328
; %bb.323:                              ;   in Loop: Header=BB1_282 Depth=1
	v_cmp_ne_u32_e32 vcc, 0, v20
	v_pk_mov_b32 v[18:19], 0, 0
	s_and_saveexec_b64 s[14:15], vcc
	s_cbranch_execz .LBB1_327
; %bb.324:                              ;   in Loop: Header=BB1_282 Depth=1
	s_mov_b64 s[16:17], 0
	v_pk_mov_b32 v[18:19], 0, 0
	s_mov_b64 s[18:19], 0
	s_mov_b64 s[20:21], 0
.LBB1_325:                              ;   Parent Loop BB1_282 Depth=1
                                        ; =>  This Inner Loop Header: Depth=2
	v_mov_b32_e32 v21, s21
	v_add_co_u32_e32 v22, vcc, s20, v6
	v_addc_co_u32_e32 v23, vcc, v7, v21, vcc
	flat_load_ubyte v21, v[22:23]
	s_add_u32 s20, s20, 1
	v_mov_b32_e32 v23, s22
	s_addc_u32 s21, s21, 0
	v_cmp_eq_u32_e32 vcc, s20, v20
	s_waitcnt vmcnt(0) lgkmcnt(0)
	v_and_b32_e32 v22, 0xffff, v21
	v_lshlrev_b64 v[22:23], s18, v[22:23]
	s_add_u32 s18, s18, 8
	s_addc_u32 s19, s19, 0
	v_or_b32_e32 v19, v23, v19
	s_or_b64 s[16:17], vcc, s[16:17]
	v_or_b32_e32 v18, v22, v18
	s_andn2_b64 exec, exec, s[16:17]
	s_cbranch_execnz .LBB1_325
; %bb.326:                              ;   in Loop: Header=BB1_282 Depth=1
	s_or_b64 exec, exec, s[16:17]
.LBB1_327:                              ;   in Loop: Header=BB1_282 Depth=1
	s_or_b64 exec, exec, s[14:15]
	s_mov_b32 s14, 0
                                        ; implicit-def: $vgpr20
.LBB1_328:                              ;   in Loop: Header=BB1_282 Depth=1
	s_or_saveexec_b64 s[4:5], s[4:5]
	v_mov_b32_e32 v22, s14
	s_xor_b64 exec, exec, s[4:5]
	s_cbranch_execz .LBB1_330
; %bb.329:                              ;   in Loop: Header=BB1_282 Depth=1
	flat_load_dwordx2 v[18:19], v[6:7]
	v_add_u32_e32 v22, -8, v20
	v_add_co_u32_e32 v6, vcc, 8, v6
	v_addc_co_u32_e32 v7, vcc, 0, v7, vcc
	s_waitcnt vmcnt(0) lgkmcnt(0)
	v_and_b32_e32 v20, 0xff, v19
	v_and_b32_e32 v21, 0xff00, v19
	;; [unrolled: 1-line block ×4, first 2 shown]
	v_or_b32_e32 v20, v20, v21
	v_or3_b32 v18, v18, 0, 0
	v_or3_b32 v19, v20, v23, v19
.LBB1_330:                              ;   in Loop: Header=BB1_282 Depth=1
	s_or_b64 exec, exec, s[4:5]
	v_cmp_gt_u32_e32 vcc, 8, v22
	s_and_saveexec_b64 s[4:5], vcc
	s_xor_b64 s[4:5], exec, s[4:5]
	s_cbranch_execz .LBB1_336
; %bb.331:                              ;   in Loop: Header=BB1_282 Depth=1
	v_cmp_ne_u32_e32 vcc, 0, v22
	v_pk_mov_b32 v[20:21], 0, 0
	s_and_saveexec_b64 s[14:15], vcc
	s_cbranch_execz .LBB1_335
; %bb.332:                              ;   in Loop: Header=BB1_282 Depth=1
	s_mov_b64 s[16:17], 0
	v_pk_mov_b32 v[20:21], 0, 0
	s_mov_b64 s[18:19], 0
.LBB1_333:                              ;   Parent Loop BB1_282 Depth=1
                                        ; =>  This Inner Loop Header: Depth=2
	flat_load_ubyte v23, v[6:7]
	v_mov_b32_e32 v25, s22
	v_add_co_u32_e32 v6, vcc, 1, v6
	v_add_u32_e32 v22, -1, v22
	v_addc_co_u32_e32 v7, vcc, 0, v7, vcc
	v_cmp_eq_u32_e32 vcc, 0, v22
	s_waitcnt vmcnt(0) lgkmcnt(0)
	v_and_b32_e32 v24, 0xffff, v23
	v_lshlrev_b64 v[24:25], s18, v[24:25]
	s_add_u32 s18, s18, 8
	s_addc_u32 s19, s19, 0
	v_or_b32_e32 v21, v25, v21
	s_or_b64 s[16:17], vcc, s[16:17]
	v_or_b32_e32 v20, v24, v20
	s_andn2_b64 exec, exec, s[16:17]
	s_cbranch_execnz .LBB1_333
; %bb.334:                              ;   in Loop: Header=BB1_282 Depth=1
	s_or_b64 exec, exec, s[16:17]
.LBB1_335:                              ;   in Loop: Header=BB1_282 Depth=1
	s_or_b64 exec, exec, s[14:15]
                                        ; implicit-def: $vgpr6_vgpr7
.LBB1_336:                              ;   in Loop: Header=BB1_282 Depth=1
	s_andn2_saveexec_b64 s[4:5], s[4:5]
	s_cbranch_execz .LBB1_338
; %bb.337:                              ;   in Loop: Header=BB1_282 Depth=1
	flat_load_dwordx2 v[6:7], v[6:7]
	s_waitcnt vmcnt(0) lgkmcnt(0)
	v_and_b32_e32 v20, 0xff, v7
	v_and_b32_e32 v21, 0xff00, v7
	;; [unrolled: 1-line block ×4, first 2 shown]
	v_or_b32_e32 v20, v20, v21
	v_or3_b32 v21, v20, v22, v7
	v_or3_b32 v20, v6, 0, 0
.LBB1_338:                              ;   in Loop: Header=BB1_282 Depth=1
	s_or_b64 exec, exec, s[4:5]
	v_readfirstlane_b32 s4, v37
	v_cmp_eq_u32_e64 s[4:5], s4, v37
	v_pk_mov_b32 v[6:7], 0, 0
	s_and_saveexec_b64 s[14:15], s[4:5]
	s_cbranch_execz .LBB1_344
; %bb.339:                              ;   in Loop: Header=BB1_282 Depth=1
	global_load_dwordx2 v[24:25], v31, s[10:11] offset:24 glc
	s_waitcnt vmcnt(0)
	buffer_invl2
	buffer_wbinvl1_vol
	global_load_dwordx2 v[6:7], v31, s[10:11] offset:40
	global_load_dwordx2 v[22:23], v31, s[10:11]
	s_waitcnt vmcnt(1)
	v_and_b32_e32 v6, v6, v24
	v_and_b32_e32 v7, v7, v25
	v_mul_lo_u32 v7, v7, 24
	v_mul_hi_u32 v29, v6, 24
	v_mul_lo_u32 v6, v6, 24
	v_add_u32_e32 v7, v29, v7
	s_waitcnt vmcnt(0)
	v_add_co_u32_e32 v6, vcc, v22, v6
	v_addc_co_u32_e32 v7, vcc, v23, v7, vcc
	global_load_dwordx2 v[22:23], v[6:7], off glc
	s_waitcnt vmcnt(0)
	global_atomic_cmpswap_x2 v[6:7], v31, v[22:25], s[10:11] offset:24 glc
	s_waitcnt vmcnt(0)
	buffer_invl2
	buffer_wbinvl1_vol
	v_cmp_ne_u64_e32 vcc, v[6:7], v[24:25]
	s_and_saveexec_b64 s[16:17], vcc
	s_cbranch_execz .LBB1_343
; %bb.340:                              ;   in Loop: Header=BB1_282 Depth=1
	s_mov_b64 s[18:19], 0
.LBB1_341:                              ;   Parent Loop BB1_282 Depth=1
                                        ; =>  This Inner Loop Header: Depth=2
	s_sleep 1
	global_load_dwordx2 v[22:23], v31, s[10:11] offset:40
	global_load_dwordx2 v[34:35], v31, s[10:11]
	v_pk_mov_b32 v[24:25], v[6:7], v[6:7] op_sel:[0,1]
	s_waitcnt vmcnt(1)
	v_and_b32_e32 v6, v22, v24
	s_waitcnt vmcnt(0)
	v_mad_u64_u32 v[6:7], s[20:21], v6, 24, v[34:35]
	v_and_b32_e32 v23, v23, v25
	v_mov_b32_e32 v22, v7
	v_mad_u64_u32 v[22:23], s[20:21], v23, 24, v[22:23]
	v_mov_b32_e32 v7, v22
	global_load_dwordx2 v[22:23], v[6:7], off glc
	s_waitcnt vmcnt(0)
	global_atomic_cmpswap_x2 v[6:7], v31, v[22:25], s[10:11] offset:24 glc
	s_waitcnt vmcnt(0)
	buffer_invl2
	buffer_wbinvl1_vol
	v_cmp_eq_u64_e32 vcc, v[6:7], v[24:25]
	s_or_b64 s[18:19], vcc, s[18:19]
	s_andn2_b64 exec, exec, s[18:19]
	s_cbranch_execnz .LBB1_341
; %bb.342:                              ;   in Loop: Header=BB1_282 Depth=1
	s_or_b64 exec, exec, s[18:19]
.LBB1_343:                              ;   in Loop: Header=BB1_282 Depth=1
	s_or_b64 exec, exec, s[16:17]
.LBB1_344:                              ;   in Loop: Header=BB1_282 Depth=1
	s_or_b64 exec, exec, s[14:15]
	global_load_dwordx2 v[34:35], v31, s[10:11] offset:40
	global_load_dwordx4 v[22:25], v31, s[10:11]
	v_readfirstlane_b32 s14, v6
	v_readfirstlane_b32 s15, v7
	s_mov_b64 s[16:17], exec
	s_waitcnt vmcnt(1)
	v_readfirstlane_b32 s18, v34
	v_readfirstlane_b32 s19, v35
	s_and_b64 s[18:19], s[14:15], s[18:19]
	s_mul_i32 s20, s19, 24
	s_mul_hi_u32 s21, s18, 24
	s_mul_i32 s24, s18, 24
	s_add_i32 s20, s21, s20
	v_mov_b32_e32 v6, s20
	s_waitcnt vmcnt(0)
	v_add_co_u32_e32 v34, vcc, s24, v22
	v_addc_co_u32_e32 v35, vcc, v23, v6, vcc
	s_and_saveexec_b64 s[20:21], s[4:5]
	s_cbranch_execz .LBB1_346
; %bb.345:                              ;   in Loop: Header=BB1_282 Depth=1
	v_pk_mov_b32 v[6:7], s[16:17], s[16:17] op_sel:[0,1]
	global_store_dwordx4 v[34:35], v[6:9], off offset:8
.LBB1_346:                              ;   in Loop: Header=BB1_282 Depth=1
	s_or_b64 exec, exec, s[20:21]
	s_lshl_b64 s[16:17], s[18:19], 12
	v_mov_b32_e32 v7, s17
	v_add_co_u32_e32 v6, vcc, s16, v24
	v_addc_co_u32_e32 v7, vcc, v25, v7, vcc
	v_or_b32_e32 v24, 0, v1
	v_cmp_lt_u64_e32 vcc, 56, v[26:27]
	v_or_b32_e32 v25, v0, v28
	v_cndmask_b32_e32 v1, v24, v1, vcc
	v_lshl_add_u32 v24, v32, 2, 28
	v_cndmask_b32_e32 v0, v25, v0, vcc
	v_and_b32_e32 v24, 0x1e0, v24
	v_and_or_b32 v0, v0, s23, v24
	v_readfirstlane_b32 s16, v6
	v_readfirstlane_b32 s17, v7
	s_nop 4
	global_store_dwordx4 v36, v[0:3], s[16:17]
	global_store_dwordx4 v36, v[10:13], s[16:17] offset:16
	global_store_dwordx4 v36, v[14:17], s[16:17] offset:32
	;; [unrolled: 1-line block ×3, first 2 shown]
	s_and_saveexec_b64 s[16:17], s[4:5]
	s_cbranch_execz .LBB1_354
; %bb.347:                              ;   in Loop: Header=BB1_282 Depth=1
	global_load_dwordx2 v[14:15], v31, s[10:11] offset:32 glc
	global_load_dwordx2 v[0:1], v31, s[10:11] offset:40
	v_mov_b32_e32 v12, s14
	v_mov_b32_e32 v13, s15
	s_waitcnt vmcnt(0)
	v_readfirstlane_b32 s18, v0
	v_readfirstlane_b32 s19, v1
	s_and_b64 s[18:19], s[18:19], s[14:15]
	s_mul_i32 s19, s19, 24
	s_mul_hi_u32 s20, s18, 24
	s_mul_i32 s18, s18, 24
	s_add_i32 s19, s20, s19
	v_mov_b32_e32 v0, s19
	v_add_co_u32_e32 v10, vcc, s18, v22
	v_addc_co_u32_e32 v11, vcc, v23, v0, vcc
	global_store_dwordx2 v[10:11], v[14:15], off
	buffer_wbl2
	s_waitcnt vmcnt(0)
	global_atomic_cmpswap_x2 v[2:3], v31, v[12:15], s[10:11] offset:32 glc
	s_waitcnt vmcnt(0)
	v_cmp_ne_u64_e32 vcc, v[2:3], v[14:15]
	s_and_saveexec_b64 s[18:19], vcc
	s_cbranch_execz .LBB1_350
; %bb.348:                              ;   in Loop: Header=BB1_282 Depth=1
	s_mov_b64 s[20:21], 0
.LBB1_349:                              ;   Parent Loop BB1_282 Depth=1
                                        ; =>  This Inner Loop Header: Depth=2
	s_sleep 1
	global_store_dwordx2 v[10:11], v[2:3], off
	v_mov_b32_e32 v0, s14
	v_mov_b32_e32 v1, s15
	buffer_wbl2
	s_waitcnt vmcnt(0)
	global_atomic_cmpswap_x2 v[0:1], v31, v[0:3], s[10:11] offset:32 glc
	s_waitcnt vmcnt(0)
	v_cmp_eq_u64_e32 vcc, v[0:1], v[2:3]
	s_or_b64 s[20:21], vcc, s[20:21]
	v_pk_mov_b32 v[2:3], v[0:1], v[0:1] op_sel:[0,1]
	s_andn2_b64 exec, exec, s[20:21]
	s_cbranch_execnz .LBB1_349
.LBB1_350:                              ;   in Loop: Header=BB1_282 Depth=1
	s_or_b64 exec, exec, s[18:19]
	global_load_dwordx2 v[0:1], v31, s[10:11] offset:16
	s_mov_b64 s[20:21], exec
	v_mbcnt_lo_u32_b32 v2, s20, 0
	v_mbcnt_hi_u32_b32 v2, s21, v2
	v_cmp_eq_u32_e32 vcc, 0, v2
	s_and_saveexec_b64 s[18:19], vcc
	s_cbranch_execz .LBB1_352
; %bb.351:                              ;   in Loop: Header=BB1_282 Depth=1
	s_bcnt1_i32_b64 s20, s[20:21]
	v_mov_b32_e32 v30, s20
	buffer_wbl2
	s_waitcnt vmcnt(0)
	global_atomic_add_x2 v[0:1], v[30:31], off offset:8
.LBB1_352:                              ;   in Loop: Header=BB1_282 Depth=1
	s_or_b64 exec, exec, s[18:19]
	s_waitcnt vmcnt(0)
	global_load_dwordx2 v[2:3], v[0:1], off offset:16
	s_waitcnt vmcnt(0)
	v_cmp_eq_u64_e32 vcc, 0, v[2:3]
	s_cbranch_vccnz .LBB1_354
; %bb.353:                              ;   in Loop: Header=BB1_282 Depth=1
	global_load_dword v30, v[0:1], off offset:24
	s_waitcnt vmcnt(0)
	v_and_b32_e32 v0, 0xffffff, v30
	v_readfirstlane_b32 m0, v0
	buffer_wbl2
	global_store_dwordx2 v[2:3], v[30:31], off
	s_sendmsg sendmsg(MSG_INTERRUPT)
.LBB1_354:                              ;   in Loop: Header=BB1_282 Depth=1
	s_or_b64 exec, exec, s[16:17]
	v_add_co_u32_e32 v0, vcc, v6, v36
	v_addc_co_u32_e32 v1, vcc, 0, v7, vcc
	s_branch .LBB1_358
.LBB1_355:                              ;   in Loop: Header=BB1_358 Depth=2
	s_or_b64 exec, exec, s[16:17]
	v_readfirstlane_b32 s16, v2
	s_cmp_eq_u32 s16, 0
	s_cbranch_scc1 .LBB1_357
; %bb.356:                              ;   in Loop: Header=BB1_358 Depth=2
	s_sleep 1
	s_cbranch_execnz .LBB1_358
	s_branch .LBB1_360
.LBB1_357:                              ;   in Loop: Header=BB1_282 Depth=1
	s_branch .LBB1_360
.LBB1_358:                              ;   Parent Loop BB1_282 Depth=1
                                        ; =>  This Inner Loop Header: Depth=2
	v_mov_b32_e32 v2, 1
	s_and_saveexec_b64 s[16:17], s[4:5]
	s_cbranch_execz .LBB1_355
; %bb.359:                              ;   in Loop: Header=BB1_358 Depth=2
	global_load_dword v2, v[34:35], off offset:20 glc
	s_waitcnt vmcnt(0)
	buffer_invl2
	buffer_wbinvl1_vol
	v_and_b32_e32 v2, 1, v2
	s_branch .LBB1_355
.LBB1_360:                              ;   in Loop: Header=BB1_282 Depth=1
	global_load_dwordx4 v[0:3], v[0:1], off
	s_and_saveexec_b64 s[16:17], s[4:5]
	s_cbranch_execz .LBB1_281
; %bb.361:                              ;   in Loop: Header=BB1_282 Depth=1
	global_load_dwordx2 v[2:3], v31, s[10:11] offset:40
	global_load_dwordx2 v[6:7], v31, s[10:11] offset:24 glc
	global_load_dwordx2 v[14:15], v31, s[10:11]
	v_mov_b32_e32 v11, s15
	s_waitcnt vmcnt(2)
	v_add_co_u32_e32 v13, vcc, 1, v2
	v_addc_co_u32_e32 v16, vcc, 0, v3, vcc
	v_add_co_u32_e32 v10, vcc, s14, v13
	v_addc_co_u32_e32 v11, vcc, v16, v11, vcc
	v_cmp_eq_u64_e32 vcc, 0, v[10:11]
	v_cndmask_b32_e32 v11, v11, v16, vcc
	v_cndmask_b32_e32 v10, v10, v13, vcc
	v_and_b32_e32 v3, v11, v3
	v_and_b32_e32 v2, v10, v2
	v_mul_lo_u32 v3, v3, 24
	v_mul_hi_u32 v13, v2, 24
	v_mul_lo_u32 v2, v2, 24
	v_add_u32_e32 v3, v13, v3
	s_waitcnt vmcnt(0)
	v_add_co_u32_e32 v2, vcc, v14, v2
	v_addc_co_u32_e32 v3, vcc, v15, v3, vcc
	v_mov_b32_e32 v12, v6
	global_store_dwordx2 v[2:3], v[6:7], off
	v_mov_b32_e32 v13, v7
	buffer_wbl2
	s_waitcnt vmcnt(0)
	global_atomic_cmpswap_x2 v[12:13], v31, v[10:13], s[10:11] offset:24 glc
	s_waitcnt vmcnt(0)
	v_cmp_ne_u64_e32 vcc, v[12:13], v[6:7]
	s_and_b64 exec, exec, vcc
	s_cbranch_execz .LBB1_281
; %bb.362:                              ;   in Loop: Header=BB1_282 Depth=1
	s_mov_b64 s[4:5], 0
.LBB1_363:                              ;   Parent Loop BB1_282 Depth=1
                                        ; =>  This Inner Loop Header: Depth=2
	s_sleep 1
	global_store_dwordx2 v[2:3], v[12:13], off
	buffer_wbl2
	s_waitcnt vmcnt(0)
	global_atomic_cmpswap_x2 v[6:7], v31, v[10:13], s[10:11] offset:24 glc
	s_waitcnt vmcnt(0)
	v_cmp_eq_u64_e32 vcc, v[6:7], v[12:13]
	s_or_b64 s[4:5], vcc, s[4:5]
	v_pk_mov_b32 v[12:13], v[6:7], v[6:7] op_sel:[0,1]
	s_andn2_b64 exec, exec, s[4:5]
	s_cbranch_execnz .LBB1_363
	s_branch .LBB1_281
.LBB1_364:
	s_or_b64 exec, exec, s[6:7]
                                        ; implicit-def: $vgpr36
                                        ; implicit-def: $vgpr37
.LBB1_365:
	s_andn2_saveexec_b64 s[6:7], s[12:13]
	s_cbranch_execz .LBB1_392
; %bb.366:
	v_readfirstlane_b32 s4, v37
	v_cmp_eq_u32_e64 s[4:5], s4, v37
	v_pk_mov_b32 v[8:9], 0, 0
	s_and_saveexec_b64 s[12:13], s[4:5]
	s_cbranch_execz .LBB1_372
; %bb.367:
	s_waitcnt vmcnt(0)
	v_mov_b32_e32 v2, 0
	global_load_dwordx2 v[6:7], v2, s[10:11] offset:24 glc
	s_waitcnt vmcnt(0)
	buffer_invl2
	buffer_wbinvl1_vol
	global_load_dwordx2 v[4:5], v2, s[10:11] offset:40
	global_load_dwordx2 v[8:9], v2, s[10:11]
	s_waitcnt vmcnt(1)
	v_and_b32_e32 v3, v4, v6
	v_and_b32_e32 v4, v5, v7
	v_mul_lo_u32 v4, v4, 24
	v_mul_hi_u32 v5, v3, 24
	v_mul_lo_u32 v3, v3, 24
	v_add_u32_e32 v5, v5, v4
	s_waitcnt vmcnt(0)
	v_add_co_u32_e32 v4, vcc, v8, v3
	v_addc_co_u32_e32 v5, vcc, v9, v5, vcc
	global_load_dwordx2 v[4:5], v[4:5], off glc
	s_waitcnt vmcnt(0)
	global_atomic_cmpswap_x2 v[8:9], v2, v[4:7], s[10:11] offset:24 glc
	s_waitcnt vmcnt(0)
	buffer_invl2
	buffer_wbinvl1_vol
	v_cmp_ne_u64_e32 vcc, v[8:9], v[6:7]
	s_and_saveexec_b64 s[14:15], vcc
	s_cbranch_execz .LBB1_371
; %bb.368:
	s_mov_b64 s[16:17], 0
.LBB1_369:                              ; =>This Inner Loop Header: Depth=1
	s_sleep 1
	global_load_dwordx2 v[4:5], v2, s[10:11] offset:40
	global_load_dwordx2 v[10:11], v2, s[10:11]
	v_pk_mov_b32 v[6:7], v[8:9], v[8:9] op_sel:[0,1]
	s_waitcnt vmcnt(1)
	v_and_b32_e32 v4, v4, v6
	v_and_b32_e32 v3, v5, v7
	s_waitcnt vmcnt(0)
	v_mad_u64_u32 v[4:5], s[18:19], v4, 24, v[10:11]
	v_mov_b32_e32 v8, v5
	v_mad_u64_u32 v[8:9], s[18:19], v3, 24, v[8:9]
	v_mov_b32_e32 v5, v8
	global_load_dwordx2 v[4:5], v[4:5], off glc
	s_waitcnt vmcnt(0)
	global_atomic_cmpswap_x2 v[8:9], v2, v[4:7], s[10:11] offset:24 glc
	s_waitcnt vmcnt(0)
	buffer_invl2
	buffer_wbinvl1_vol
	v_cmp_eq_u64_e32 vcc, v[8:9], v[6:7]
	s_or_b64 s[16:17], vcc, s[16:17]
	s_andn2_b64 exec, exec, s[16:17]
	s_cbranch_execnz .LBB1_369
; %bb.370:
	s_or_b64 exec, exec, s[16:17]
.LBB1_371:
	s_or_b64 exec, exec, s[14:15]
.LBB1_372:
	s_or_b64 exec, exec, s[12:13]
	s_waitcnt vmcnt(0)
	v_mov_b32_e32 v2, 0
	global_load_dwordx2 v[10:11], v2, s[10:11] offset:40
	global_load_dwordx4 v[4:7], v2, s[10:11]
	v_readfirstlane_b32 s12, v8
	v_readfirstlane_b32 s13, v9
	s_mov_b64 s[14:15], exec
	s_waitcnt vmcnt(1)
	v_readfirstlane_b32 s16, v10
	v_readfirstlane_b32 s17, v11
	s_and_b64 s[16:17], s[12:13], s[16:17]
	s_mul_i32 s18, s17, 24
	s_mul_hi_u32 s19, s16, 24
	s_mul_i32 s20, s16, 24
	s_add_i32 s18, s19, s18
	v_mov_b32_e32 v3, s18
	s_waitcnt vmcnt(0)
	v_add_co_u32_e32 v8, vcc, s20, v4
	v_addc_co_u32_e32 v9, vcc, v5, v3, vcc
	s_and_saveexec_b64 s[18:19], s[4:5]
	s_cbranch_execz .LBB1_374
; %bb.373:
	v_pk_mov_b32 v[10:11], s[14:15], s[14:15] op_sel:[0,1]
	v_mov_b32_e32 v12, 2
	v_mov_b32_e32 v13, 1
	global_store_dwordx4 v[8:9], v[10:13], off offset:8
.LBB1_374:
	s_or_b64 exec, exec, s[18:19]
	s_lshl_b64 s[14:15], s[16:17], 12
	v_mov_b32_e32 v3, s15
	v_add_co_u32_e32 v10, vcc, s14, v6
	v_addc_co_u32_e32 v11, vcc, v7, v3, vcc
	s_movk_i32 s14, 0xff1f
	s_mov_b32 s16, 0
	v_and_or_b32 v0, v0, s14, 32
	v_mov_b32_e32 v3, v2
	v_readfirstlane_b32 s14, v10
	v_readfirstlane_b32 s15, v11
	s_mov_b32 s17, s16
	v_add_co_u32_e32 v6, vcc, v10, v36
	s_mov_b32 s18, s16
	s_mov_b32 s19, s16
	s_nop 0
	global_store_dwordx4 v36, v[0:3], s[14:15]
	v_addc_co_u32_e32 v7, vcc, 0, v11, vcc
	v_pk_mov_b32 v[0:1], s[16:17], s[16:17] op_sel:[0,1]
	v_pk_mov_b32 v[2:3], s[18:19], s[18:19] op_sel:[0,1]
	global_store_dwordx4 v36, v[0:3], s[14:15] offset:16
	global_store_dwordx4 v36, v[0:3], s[14:15] offset:32
	;; [unrolled: 1-line block ×3, first 2 shown]
	s_and_saveexec_b64 s[14:15], s[4:5]
	s_cbranch_execz .LBB1_382
; %bb.375:
	v_mov_b32_e32 v10, 0
	global_load_dwordx2 v[14:15], v10, s[10:11] offset:32 glc
	global_load_dwordx2 v[0:1], v10, s[10:11] offset:40
	v_mov_b32_e32 v12, s12
	v_mov_b32_e32 v13, s13
	s_waitcnt vmcnt(0)
	v_readfirstlane_b32 s16, v0
	v_readfirstlane_b32 s17, v1
	s_and_b64 s[16:17], s[16:17], s[12:13]
	s_mul_i32 s17, s17, 24
	s_mul_hi_u32 s18, s16, 24
	s_mul_i32 s16, s16, 24
	s_add_i32 s17, s18, s17
	v_mov_b32_e32 v0, s17
	v_add_co_u32_e32 v4, vcc, s16, v4
	v_addc_co_u32_e32 v5, vcc, v5, v0, vcc
	global_store_dwordx2 v[4:5], v[14:15], off
	buffer_wbl2
	s_waitcnt vmcnt(0)
	global_atomic_cmpswap_x2 v[2:3], v10, v[12:15], s[10:11] offset:32 glc
	s_waitcnt vmcnt(0)
	v_cmp_ne_u64_e32 vcc, v[2:3], v[14:15]
	s_and_saveexec_b64 s[16:17], vcc
	s_cbranch_execz .LBB1_378
; %bb.376:
	s_mov_b64 s[18:19], 0
.LBB1_377:                              ; =>This Inner Loop Header: Depth=1
	s_sleep 1
	global_store_dwordx2 v[4:5], v[2:3], off
	v_mov_b32_e32 v0, s12
	v_mov_b32_e32 v1, s13
	buffer_wbl2
	s_waitcnt vmcnt(0)
	global_atomic_cmpswap_x2 v[0:1], v10, v[0:3], s[10:11] offset:32 glc
	s_waitcnt vmcnt(0)
	v_cmp_eq_u64_e32 vcc, v[0:1], v[2:3]
	s_or_b64 s[18:19], vcc, s[18:19]
	v_pk_mov_b32 v[2:3], v[0:1], v[0:1] op_sel:[0,1]
	s_andn2_b64 exec, exec, s[18:19]
	s_cbranch_execnz .LBB1_377
.LBB1_378:
	s_or_b64 exec, exec, s[16:17]
	v_mov_b32_e32 v3, 0
	global_load_dwordx2 v[0:1], v3, s[10:11] offset:16
	s_mov_b64 s[16:17], exec
	v_mbcnt_lo_u32_b32 v2, s16, 0
	v_mbcnt_hi_u32_b32 v2, s17, v2
	v_cmp_eq_u32_e32 vcc, 0, v2
	s_and_saveexec_b64 s[18:19], vcc
	s_cbranch_execz .LBB1_380
; %bb.379:
	s_bcnt1_i32_b64 s16, s[16:17]
	v_mov_b32_e32 v2, s16
	buffer_wbl2
	s_waitcnt vmcnt(0)
	global_atomic_add_x2 v[0:1], v[2:3], off offset:8
.LBB1_380:
	s_or_b64 exec, exec, s[18:19]
	s_waitcnt vmcnt(0)
	global_load_dwordx2 v[2:3], v[0:1], off offset:16
	s_waitcnt vmcnt(0)
	v_cmp_eq_u64_e32 vcc, 0, v[2:3]
	s_cbranch_vccnz .LBB1_382
; %bb.381:
	global_load_dword v0, v[0:1], off offset:24
	v_mov_b32_e32 v1, 0
	buffer_wbl2
	s_waitcnt vmcnt(0)
	global_store_dwordx2 v[2:3], v[0:1], off
	v_and_b32_e32 v0, 0xffffff, v0
	v_readfirstlane_b32 m0, v0
	s_sendmsg sendmsg(MSG_INTERRUPT)
.LBB1_382:
	s_or_b64 exec, exec, s[14:15]
	s_branch .LBB1_386
.LBB1_383:                              ;   in Loop: Header=BB1_386 Depth=1
	s_or_b64 exec, exec, s[14:15]
	v_readfirstlane_b32 s14, v0
	s_cmp_eq_u32 s14, 0
	s_cbranch_scc1 .LBB1_385
; %bb.384:                              ;   in Loop: Header=BB1_386 Depth=1
	s_sleep 1
	s_cbranch_execnz .LBB1_386
	s_branch .LBB1_388
.LBB1_385:
	s_branch .LBB1_388
.LBB1_386:                              ; =>This Inner Loop Header: Depth=1
	v_mov_b32_e32 v0, 1
	s_and_saveexec_b64 s[14:15], s[4:5]
	s_cbranch_execz .LBB1_383
; %bb.387:                              ;   in Loop: Header=BB1_386 Depth=1
	global_load_dword v0, v[8:9], off offset:20 glc
	s_waitcnt vmcnt(0)
	buffer_invl2
	buffer_wbinvl1_vol
	v_and_b32_e32 v0, 1, v0
	s_branch .LBB1_383
.LBB1_388:
	global_load_dwordx2 v[0:1], v[6:7], off
	s_and_saveexec_b64 s[14:15], s[4:5]
	s_cbranch_execz .LBB1_391
; %bb.389:
	v_mov_b32_e32 v8, 0
	global_load_dwordx2 v[6:7], v8, s[10:11] offset:40
	global_load_dwordx2 v[10:11], v8, s[10:11] offset:24 glc
	global_load_dwordx2 v[12:13], v8, s[10:11]
	v_mov_b32_e32 v3, s13
	s_mov_b64 s[4:5], 0
	s_waitcnt vmcnt(2)
	v_add_co_u32_e32 v5, vcc, 1, v6
	v_addc_co_u32_e32 v9, vcc, 0, v7, vcc
	v_add_co_u32_e32 v2, vcc, s12, v5
	v_addc_co_u32_e32 v3, vcc, v9, v3, vcc
	v_cmp_eq_u64_e32 vcc, 0, v[2:3]
	v_cndmask_b32_e32 v3, v3, v9, vcc
	v_cndmask_b32_e32 v2, v2, v5, vcc
	v_and_b32_e32 v5, v3, v7
	v_and_b32_e32 v6, v2, v6
	v_mul_lo_u32 v5, v5, 24
	v_mul_hi_u32 v7, v6, 24
	v_mul_lo_u32 v6, v6, 24
	v_add_u32_e32 v5, v7, v5
	s_waitcnt vmcnt(0)
	v_add_co_u32_e32 v6, vcc, v12, v6
	v_addc_co_u32_e32 v7, vcc, v13, v5, vcc
	v_mov_b32_e32 v4, v10
	global_store_dwordx2 v[6:7], v[10:11], off
	v_mov_b32_e32 v5, v11
	buffer_wbl2
	s_waitcnt vmcnt(0)
	global_atomic_cmpswap_x2 v[4:5], v8, v[2:5], s[10:11] offset:24 glc
	s_waitcnt vmcnt(0)
	v_cmp_ne_u64_e32 vcc, v[4:5], v[10:11]
	s_and_b64 exec, exec, vcc
	s_cbranch_execz .LBB1_391
.LBB1_390:                              ; =>This Inner Loop Header: Depth=1
	s_sleep 1
	global_store_dwordx2 v[6:7], v[4:5], off
	buffer_wbl2
	s_waitcnt vmcnt(0)
	global_atomic_cmpswap_x2 v[10:11], v8, v[2:5], s[10:11] offset:24 glc
	s_waitcnt vmcnt(0)
	v_cmp_eq_u64_e32 vcc, v[10:11], v[4:5]
	s_or_b64 s[4:5], vcc, s[4:5]
	v_pk_mov_b32 v[4:5], v[10:11], v[10:11] op_sel:[0,1]
	s_andn2_b64 exec, exec, s[4:5]
	s_cbranch_execnz .LBB1_390
.LBB1_391:
	s_or_b64 exec, exec, s[14:15]
.LBB1_392:
	s_or_b64 exec, exec, s[6:7]
	s_getpc_b64 s[4:5]
	s_add_u32 s4, s4, .str.1@rel32@lo+4
	s_addc_u32 s5, s5, .str.1@rel32@hi+12
	s_getpc_b64 s[6:7]
	s_add_u32 s6, s6, .str.1@rel32@lo+32
	s_addc_u32 s7, s7, .str.1@rel32@hi+40
	s_sub_i32 s10, s6, s4
	s_ashr_i32 s11, s10, 31
	s_waitcnt vmcnt(0)
	v_mov_b32_e32 v2, s4
	v_mov_b32_e32 v3, s5
	;; [unrolled: 1-line block ×5, first 2 shown]
	s_getpc_b64 s[6:7]
	s_add_u32 s6, s6, __ockl_fprintf_append_string_n@rel32@lo+4
	s_addc_u32 s7, s7, __ockl_fprintf_append_string_n@rel32@hi+12
	s_swappc_b64 s[30:31], s[6:7]
	s_trap 2
.Lfunc_end1:
	.size	__assert_fail, .Lfunc_end1-__assert_fail
                                        ; -- End function
	.section	.AMDGPU.csdata,"",@progbits
; Function info:
; codeLenInByte = 15360
; NumSgprs: 38
; NumVgprs: 41
; NumAgprs: 0
; TotalNumVgprs: 41
; ScratchSize: 64
; MemoryBound: 0
	.text
	.p2align	2                               ; -- Begin function _ZN12_GLOBAL__N_17runRingI14__hip_fp8_e4m310FuncMinMaxIS1_E11ProtoSimpleILi1ELi1ELi0ELi1ELi0ELi0EELi0ELi1ELi0EEEviiP15ncclDevWorkColl
	.type	_ZN12_GLOBAL__N_17runRingI14__hip_fp8_e4m310FuncMinMaxIS1_E11ProtoSimpleILi1ELi1ELi0ELi1ELi0ELi0EELi0ELi1ELi0EEEviiP15ncclDevWorkColl,@function
_ZN12_GLOBAL__N_17runRingI14__hip_fp8_e4m310FuncMinMaxIS1_E11ProtoSimpleILi1ELi1ELi0ELi1ELi0ELi0EELi0ELi1ELi0EEEviiP15ncclDevWorkColl: ; @_ZN12_GLOBAL__N_17runRingI14__hip_fp8_e4m310FuncMinMaxIS1_E11ProtoSimpleILi1ELi1ELi0ELi1ELi0ELi0EELi0ELi1ELi0EEEviiP15ncclDevWorkColl
; %bb.0:
	s_waitcnt vmcnt(0) expcnt(0) lgkmcnt(0)
	s_mov_b32 s4, s33
	s_mov_b32 s33, s32
	s_or_saveexec_b64 s[6:7], -1
	buffer_store_dword v63, off, s[0:3], s33 offset:92 ; 4-byte Folded Spill
	s_mov_b64 exec, s[6:7]
	v_writelane_b32 v63, s4, 50
	s_addk_i32 s32, 0x1c00
	buffer_store_dword v40, off, s[0:3], s33 offset:88 ; 4-byte Folded Spill
	buffer_store_dword v41, off, s[0:3], s33 offset:84 ; 4-byte Folded Spill
	;; [unrolled: 1-line block ×22, first 2 shown]
	buffer_store_dword a39, off, s[0:3], s33 ; 4-byte Folded Spill
	v_writelane_b32 v63, s34, 0
	v_writelane_b32 v63, s35, 1
	;; [unrolled: 1-line block ×50, first 2 shown]
	s_trap 2
	ds_read_b64 v[14:15], v0
	ds_read_b32 v4, v0
	v_mov_b32_e32 v46, v1
	v_mov_b32_e32 v58, v0
	flat_load_ushort v17, v[2:3] offset:8
	flat_load_dwordx2 v[8:9], v[2:3]
	s_waitcnt lgkmcnt(0)
	v_ashrrev_i32_e32 v1, 31, v15
	v_mov_b32_e32 v0, v15
	v_lshlrev_b64 v[0:1], 2, v[0:1]
	v_add_co_u32_e32 v0, vcc, v14, v0
	v_addc_co_u32_e32 v1, vcc, v15, v1, vcc
	v_add_co_u32_e32 v0, vcc, -4, v0
	v_addc_co_u32_e32 v1, vcc, -1, v1, vcc
	flat_load_dword v0, v[0:1]
	v_mov_b32_e32 v47, v31
                                        ; implicit-def: $vgpr18_vgpr19
                                        ; implicit-def: $vgpr40_vgpr41
                                        ; implicit-def: $vgpr44_vgpr45
	s_waitcnt vmcnt(0)
	v_mov_b32_e32 v16, v9
	v_cmp_ne_u32_sdwa s[4:5], v8, v4 src0_sel:BYTE_0 src1_sel:DWORD
	s_and_saveexec_b64 s[6:7], s[4:5]
	s_xor_b64 s[4:5], exec, s[6:7]
	s_cbranch_execz .LBB2_6
; %bb.1:
	v_not_b32_sdwa v1, v8 dst_sel:DWORD dst_unused:UNUSED_PAD src0_sel:BYTE_0
	v_cmp_ne_u32_sdwa s[6:7], v8, v4 src0_sel:BYTE_1 src1_sel:DWORD
                                        ; implicit-def: $vgpr18_vgpr19
                                        ; implicit-def: $vgpr40_vgpr41
                                        ; implicit-def: $vgpr44_vgpr45
	s_and_saveexec_b64 s[10:11], s[6:7]
	s_xor_b64 s[6:7], exec, s[10:11]
	s_cbranch_execz .LBB2_3
; %bb.2:
	flat_load_dwordx4 v[6:9], v[2:3] offset:72
	flat_load_dwordx2 v[10:11], v[2:3] offset:96
	v_add_u32_e32 v1, v4, v1
	v_ashrrev_i32_e32 v4, 31, v1
	s_waitcnt vmcnt(0) lgkmcnt(0)
	v_mul_lo_u32 v4, v8, v4
	v_mad_u64_u32 v[44:45], s[10:11], v8, v1, v[6:7]
	v_mul_lo_u32 v1, v9, v1
	v_lshrrev_b64 v[18:19], 12, v[10:11]
	v_add3_u32 v45, v1, v45, v4
	v_pk_mov_b32 v[40:41], v[8:9], v[8:9] op_sel:[0,1]
                                        ; implicit-def: $vgpr8
                                        ; implicit-def: $vgpr1
.LBB2_3:
	s_andn2_saveexec_b64 s[6:7], s[6:7]
	s_cbranch_execz .LBB2_5
; %bb.4:
	flat_load_dwordx4 v[4:7], v[2:3] offset:72
	flat_load_dwordx4 v[40:43], v[2:3] offset:88
	v_add_u32_sdwa v1, v8, v1 dst_sel:DWORD dst_unused:UNUSED_PAD src0_sel:BYTE_1 src1_sel:DWORD
	v_ashrrev_i32_e32 v8, 31, v1
	s_waitcnt vmcnt(0) lgkmcnt(0)
	v_mul_lo_u32 v8, v6, v8
	v_mad_u64_u32 v[44:45], s[10:11], v6, v1, v[4:5]
	v_mul_lo_u32 v1, v7, v1
	v_add3_u32 v45, v1, v45, v8
	v_lshrrev_b32_e32 v18, 1, v43
.LBB2_5:
	s_or_b64 exec, exec, s[6:7]
.LBB2_6:
	s_andn2_saveexec_b64 s[4:5], s[4:5]
	s_cbranch_execz .LBB2_8
; %bb.7:
	flat_load_dwordx2 v[4:5], v[2:3] offset:96
	flat_load_dwordx2 v[40:41], v[2:3] offset:72
	v_pk_mov_b32 v[44:45], 0, 0
	s_waitcnt vmcnt(0) lgkmcnt(0)
	v_lshlrev_b64 v[18:19], 9, v[4:5]
.LBB2_8:
	s_or_b64 exec, exec, s[4:5]
	s_trap 2
	s_waitcnt lgkmcnt(0)
	ds_read_b64 v[4:5], v0
	s_waitcnt lgkmcnt(0)
	v_cmp_ne_u32_e32 vcc, -1, v4
	v_cndmask_b32_e64 v1, 0, 1, vcc
	v_cmp_ne_u32_e32 vcc, -1, v5
	v_addc_co_u32_e64 v4, s[4:5], 0, v1, vcc
	v_lshlrev_b32_e32 v5, 1, v4
	v_cmp_le_i32_e64 s[4:5], v5, v46
	s_and_saveexec_b64 s[6:7], s[4:5]
	s_xor_b64 s[28:29], exec, s[6:7]
	s_cbranch_execnz .LBB2_9
; %bb.4881:
	s_getpc_b64 s[82:83]
.Lpost_getpc0:
	s_add_u32 s82, s82, (.LBB2_4878-.Lpost_getpc0)&4294967295
	s_addc_u32 s83, s83, (.LBB2_4878-.Lpost_getpc0)>>32
	s_setpc_b64 s[82:83]
.LBB2_9:
	flat_load_dwordx4 v[10:13], v[2:3] offset:16
	flat_load_dwordx2 v[20:21], v[2:3] offset:104
	s_trap 2
	s_load_dword s4, s[8:9], 0x0
	v_mov_b32_e32 v2, 0
	v_mov_b32_e32 v62, 4
	s_waitcnt lgkmcnt(0)
	s_cmp_lt_u32 s12, s4
	s_cselect_b32 s4, 12, 18
	s_add_u32 s4, s8, s4
	s_addc_u32 s5, s9, 0
	global_load_ushort v56, v2, s[4:5]
	ds_read_b32 v2, v0
	v_cmp_ge_i32_e64 s[4:5], v58, v1
	s_waitcnt lgkmcnt(0)
	v_readfirstlane_b32 s70, v2
	s_and_saveexec_b64 s[6:7], s[4:5]
	s_cbranch_execz .LBB2_19
; %bb.10:
	v_cmp_le_u32_e64 s[4:5], v4, v58
                                        ; implicit-def: $vgpr62
	s_and_saveexec_b64 s[10:11], s[4:5]
	s_xor_b64 s[4:5], exec, s[10:11]
	s_cbranch_execz .LBB2_16
; %bb.11:
	v_cndmask_b32_e64 v2, 0, 1, vcc
	v_sub_u32_e32 v2, v46, v2
	v_cmp_ge_u32_e32 vcc, v58, v2
                                        ; implicit-def: $sgpr12
	s_and_saveexec_b64 s[10:11], vcc
	s_xor_b64 s[10:11], exec, s[10:11]
; %bb.12:
	s_mov_b32 s12, 16
                                        ; implicit-def: $vgpr4
; %bb.13:
	s_or_saveexec_b64 s[10:11], s[10:11]
	v_mov_b32_e32 v62, s12
	s_xor_b64 exec, exec, s[10:11]
; %bb.14:
	v_sub_u32_e32 v2, v46, v4
	v_cmp_ge_i32_e32 vcc, v58, v2
	v_cndmask_b32_e64 v2, 0, 1, vcc
	v_lshlrev_b32_e32 v62, 5, v2
; %bb.15:
	s_or_b64 exec, exec, s[10:11]
.LBB2_16:
	s_andn2_saveexec_b64 s[4:5], s[4:5]
; %bb.17:
	v_mov_b32_e32 v62, 8
; %bb.18:
	s_or_b64 exec, exec, s[4:5]
.LBB2_19:
	s_or_b64 exec, exec, s[6:7]
	v_and_b32_e32 v2, 36, v62
	v_cmp_ne_u32_e32 vcc, 0, v2
	v_mov_b32_e32 v2, -1
	s_and_saveexec_b64 s[4:5], vcc
	s_cbranch_execz .LBB2_21
; %bb.20:
	s_trap 2
	ds_read_b32 v2, v0
.LBB2_21:
	s_or_b64 exec, exec, s[4:5]
	v_and_b32_e32 v3, 24, v62
	v_cmp_ne_u32_e64 s[4:5], 0, v3
	s_and_saveexec_b64 s[6:7], s[4:5]
	s_cbranch_execz .LBB2_23
; %bb.22:
	s_trap 2
	s_waitcnt lgkmcnt(0)
	ds_read_b32 v2, v0
.LBB2_23:
	s_or_b64 exec, exec, s[6:7]
	v_lshrrev_b64 v[4:5], 31, v[16:17]
	v_pk_mov_b32 v[34:35], 0, 0
	v_and_b32_e32 v4, 3, v4
	s_waitcnt lgkmcnt(0)
	v_ashrrev_i32_e32 v3, 31, v2
	v_pk_mov_b32 v[6:7], v[34:35], v[34:35] op_sel:[0,1]
                                        ; implicit-def: $agpr8_agpr9
                                        ; implicit-def: $agpr12
                                        ; implicit-def: $vgpr36_vgpr37
                                        ; implicit-def: $agpr14_agpr15
                                        ; implicit-def: $vgpr32_vgpr33
	s_and_saveexec_b64 s[4:5], vcc
	s_cbranch_execz .LBB2_33
; %bb.24:
	s_trap 2
	ds_read_b64 v[6:7], v0
	v_lshlrev_b64 v[8:9], 3, v[2:3]
	v_and_b32_e32 v5, 0xffff, v4
	s_movk_i32 s6, 0xa8
                                        ; implicit-def: $agpr8_agpr9
	s_waitcnt lgkmcnt(0)
	v_add_co_u32_e32 v6, vcc, v6, v8
	v_addc_co_u32_e32 v7, vcc, v7, v9, vcc
	flat_load_dwordx2 v[6:7], v[6:7]
	s_waitcnt vmcnt(0) lgkmcnt(0)
	v_mad_u64_u32 v[6:7], s[6:7], v5, s6, v[6:7]
	flat_load_dword v5, v[6:7] offset:640
	v_add_co_u32_e32 v34, vcc, 0x1f8, v6
	v_addc_co_u32_e32 v35, vcc, 0, v7, vcc
	s_waitcnt vmcnt(0) lgkmcnt(0)
	v_cmp_eq_u32_e32 vcc, 1, v5
	s_and_saveexec_b64 s[6:7], vcc
	s_cbranch_execz .LBB2_26
; %bb.25:
	flat_load_dwordx2 v[8:9], v[34:35] offset:144
	v_or_b32_e32 v62, 0x2000, v62
	s_waitcnt vmcnt(0) lgkmcnt(0)
	flat_load_dwordx2 v[6:7], v[8:9]
	s_trap 2
	v_accvgpr_write_b32 a8, v8
	v_accvgpr_write_b32 a9, v9
	s_waitcnt vmcnt(0) lgkmcnt(0)
	ds_write_b64 v0, v[6:7]
	flat_load_dwordx2 v[6:7], v[8:9] offset:8
	s_waitcnt vmcnt(0) lgkmcnt(0)
	ds_write_b64 v0, v[6:7]
	flat_load_dwordx2 v[6:7], v[8:9] offset:16
	s_waitcnt vmcnt(0) lgkmcnt(0)
	ds_write_b64 v0, v[6:7]
.LBB2_26:
	s_or_b64 exec, exec, s[6:7]
	flat_load_dwordx2 v[8:9], v[34:35] offset:104
	v_and_b32_e32 v5, 32, v62
	v_cmp_ne_u32_e32 vcc, 0, v5
                                        ; implicit-def: $vgpr32_vgpr33
	s_and_saveexec_b64 s[6:7], vcc
	s_cbranch_execz .LBB2_28
; %bb.27:
	flat_load_dwordx2 v[32:33], v[34:35] offset:56
	s_waitcnt vmcnt(0) lgkmcnt(0)
	flat_store_dwordx2 v[32:33], v[8:9]
.LBB2_28:
	s_or_b64 exec, exec, s[6:7]
	v_and_b32_e32 v5, 4, v62
	v_cmp_ne_u32_e32 vcc, 0, v5
	v_pk_mov_b32 v[6:7], 0, 0
                                        ; implicit-def: $agpr12
                                        ; implicit-def: $vgpr36_vgpr37
                                        ; implicit-def: $agpr14_agpr15
	s_and_saveexec_b64 s[6:7], vcc
	s_cbranch_execz .LBB2_32
; %bb.29:
	v_and_b32_e32 v5, 0x800, v62
	v_cmp_eq_u32_e32 vcc, 0, v5
	s_and_saveexec_b64 s[10:11], vcc
	s_cbranch_execz .LBB2_31
; %bb.30:
	s_trap 2
	ds_write_b64 v0, v[34:35]
.LBB2_31:
	s_or_b64 exec, exec, s[10:11]
	flat_load_dwordx2 v[32:33], v[34:35] offset:48
	v_or_b32_e32 v5, 0x100, v62
	s_waitcnt vmcnt(0) lgkmcnt(0)
	flat_load_dwordx2 v[36:37], v[32:33] glc
	flat_load_dwordx2 v[6:7], v[34:35] offset:96
	flat_load_dword a12, v[34:35] offset:72
	flat_load_dwordx2 a[14:15], v[34:35] offset:16
	s_waitcnt vmcnt(0) lgkmcnt(0)
	v_cmp_eq_u64_e32 vcc, 0, v[6:7]
	v_cndmask_b32_e32 v62, v5, v62, vcc
.LBB2_32:
	s_or_b64 exec, exec, s[6:7]
.LBB2_33:
	s_or_b64 exec, exec, s[4:5]
	v_and_b32_e32 v5, 24, v62
	v_cmp_ne_u32_e32 vcc, 0, v5
                                        ; implicit-def: $vgpr42_vgpr43
	s_and_saveexec_b64 s[4:5], vcc
	s_cbranch_execz .LBB2_41
; %bb.34:
	s_trap 2
	ds_read_b64 v[6:7], v0
	v_lshlrev_b64 v[2:3], 3, v[2:3]
	v_and_b32_e32 v4, 0xffff, v4
	s_movk_i32 s6, 0xa8
                                        ; implicit-def: $vgpr42_vgpr43
	s_waitcnt lgkmcnt(0)
	v_add_co_u32_e32 v2, vcc, v6, v2
	v_addc_co_u32_e32 v3, vcc, v7, v3, vcc
	flat_load_dwordx2 v[2:3], v[2:3]
	s_waitcnt vmcnt(0) lgkmcnt(0)
	v_mad_u64_u32 v[34:35], s[6:7], v4, s6, v[2:3]
	flat_load_dwordx4 v[6:9], v[34:35] offset:96
	v_or_b32_e32 v2, 0x100, v62
	s_waitcnt vmcnt(0) lgkmcnt(0)
	v_cmp_eq_u64_e32 vcc, 0, v[6:7]
	v_cndmask_b32_e32 v62, v2, v62, vcc
	v_and_b32_e32 v2, 16, v62
	v_cmp_ne_u32_e32 vcc, 0, v2
	s_and_saveexec_b64 s[6:7], vcc
	s_cbranch_execz .LBB2_36
; %bb.35:
	flat_load_dwordx2 v[42:43], v[34:35] offset:120
	flat_load_dwordx2 v[32:33], v[34:35] offset:48
	flat_load_dwordx2 a[14:15], v[34:35] offset:16
.LBB2_36:
	s_or_b64 exec, exec, s[6:7]
	v_and_b32_e32 v2, 8, v62
	v_cmp_ne_u32_e32 vcc, 0, v2
	s_and_saveexec_b64 s[6:7], vcc
	s_cbranch_execz .LBB2_40
; %bb.37:
	v_and_b32_e32 v2, 0x800, v62
	v_cmp_eq_u32_e32 vcc, 0, v2
	s_and_saveexec_b64 s[10:11], vcc
	s_cbranch_execz .LBB2_39
; %bb.38:
	s_trap 2
	ds_write_b64 v0, v[34:35]
.LBB2_39:
	s_or_b64 exec, exec, s[10:11]
	s_waitcnt vmcnt(0) lgkmcnt(0)
	flat_load_dwordx2 v[32:33], v[34:35] offset:56
	s_waitcnt vmcnt(0) lgkmcnt(0)
	flat_load_dwordx2 v[36:37], v[32:33] glc
	flat_load_dword a12, v[34:35] offset:72
	flat_load_dwordx2 a[14:15], v[34:35] offset:16
.LBB2_40:
	s_or_b64 exec, exec, s[6:7]
.LBB2_41:
	s_or_b64 exec, exec, s[4:5]
	v_cmp_eq_u32_e64 s[4:5], 0, v58
	s_and_saveexec_b64 s[6:7], s[4:5]
	s_cbranch_execz .LBB2_43
; %bb.42:
	s_waitcnt vmcnt(0)
	v_mov_b32_e32 v2, v12
	v_mov_b32_e32 v3, v13
	;; [unrolled: 1-line block ×4, first 2 shown]
	ds_write2_b64 v0, v[2:3], v[4:5] offset1:1
	v_mov_b32_e32 v2, 0
	v_mov_b32_e32 v3, v2
	s_trap 2
	ds_write_b64 v0, v[2:3]
	ds_write_b64 v0, v[20:21]
.LBB2_43:
	s_or_b64 exec, exec, s[6:7]
	v_mov_b32_e32 v3, 0
	v_and_b32_e32 v2, 0x3ffffe00, v18
	v_accvgpr_write_b32 a19, v3
	v_accvgpr_write_b32 a18, v2
	v_bfe_u32 v2, v16, 1, 30
	v_cmp_ne_u32_e32 vcc, v0, v2
                                        ; implicit-def: $agpr16_agpr17
	s_mov_b64 s[6:7], exec
	s_and_b64 s[10:11], s[6:7], vcc
	v_accvgpr_write_b32 a10, v34
	s_xor_b64 s[30:31], s[10:11], s[6:7]
	v_accvgpr_write_b32 a11, v35
	s_mov_b64 exec, s[10:11]
	s_cbranch_execz .LBB2_4671
; %bb.44:
	v_cmp_ne_u32_e32 vcc, v14, v2
	v_cmp_ne_u64_e64 s[6:7], 0, v[40:41]
                                        ; implicit-def: $agpr16_agpr17
	s_and_saveexec_b64 s[10:11], vcc
	s_xor_b64 s[34:35], exec, s[10:11]
	s_cbranch_execz .LBB2_2361
; %bb.45:
	v_pk_mov_b32 v[2:3], 0, 0
	v_accvgpr_write_b32 a17, v3
	v_accvgpr_write_b32 a16, v2
	s_and_saveexec_b64 s[36:37], s[6:7]
	s_cbranch_execz .LBB2_2360
; %bb.46:
	s_waitcnt vmcnt(0) lgkmcnt(0)
	v_accvgpr_read_b32 v0, a12
	v_ashrrev_i32_e32 v59, 31, v0
	v_and_b32_e32 v0, 63, v47
	v_cmp_eq_u32_e64 s[14:15], 0, v0
	v_ashrrev_i32_e32 v0, 31, v58
	v_lshrrev_b32_e32 v0, 26, v0
	v_add_u32_e32 v0, v58, v0
	v_and_b32_e32 v2, 0xffffffc0, v0
	v_ashrrev_i32_e32 v61, 6, v0
	v_sub_u32_e32 v2, v58, v2
	v_lshlrev_b32_e32 v0, 11, v61
	v_lshl_add_u32 v0, v2, 4, v0
	v_lshrrev_b32_e32 v60, 6, v46
	v_cmp_le_i32_e64 s[16:17], v2, v1
	v_cmp_lt_i32_e64 s[18:19], v2, v1
	v_accvgpr_write_b32 a26, v0
	v_ashrrev_i32_e32 v1, 31, v0
	v_mov_b32_e32 v0, 0xfffff800
	v_lshl_add_u32 v0, v60, 11, v0
	s_movk_i32 s20, 0x800
	v_accvgpr_write_b32 a25, v1
	v_ashrrev_i32_e32 v1, 31, v0
	v_add_co_u32_e64 v0, s[20:21], s20, v0
	v_accvgpr_write_b32 a27, v0
	v_addc_co_u32_e64 v0, s[20:21], 0, v1, s[20:21]
	v_lshlrev_b32_e32 v38, 10, v60
	v_accvgpr_write_b32 a28, v0
	v_add_u32_e32 v0, 0xfffffc00, v38
	s_movk_i32 s20, 0x400
	v_ashrrev_i32_e32 v1, 31, v0
	v_add_co_u32_e64 v0, s[20:21], s20, v0
	v_accvgpr_write_b32 a30, v0
	v_addc_co_u32_e64 v0, s[20:21], 0, v1, s[20:21]
	v_accvgpr_write_b32 a31, v0
	v_mov_b32_e32 v0, 0xffffff00
	v_lshl_add_u32 v0, v60, 8, v0
	s_movk_i32 s20, 0x100
	v_accvgpr_write_b32 a6, v44
	s_ashr_i32 s10, s70, 31
	v_ashrrev_i32_e32 v1, 31, v0
	v_add_co_u32_e64 v39, s[20:21], s20, v0
	v_and_b32_e32 v0, 0xffffffc0, v46
	v_accvgpr_write_b32 a7, v45
	s_lshr_b32 s10, s10, 24
	v_addc_co_u32_e64 v48, s[20:21], 0, v1, s[20:21]
	v_ashrrev_i32_e32 v1, 31, v0
	v_pk_mov_b32 v[44:45], 0, 0
	s_add_i32 s10, s70, s10
	v_cmp_eq_u32_e32 vcc, 64, v46
	v_accvgpr_write_b32 a34, v0
	v_accvgpr_write_b32 a35, v1
	s_mov_b32 s48, -1
	v_accvgpr_write_b32 a16, v44
	v_accvgpr_write_b32 a4, v40
	v_accvgpr_read_b32 v0, a18
	s_ashr_i32 s71, s10, 8
	v_cmp_ge_i32_e64 s[10:11], v58, v46
	v_cmp_ne_u32_e64 s[12:13], 64, v46
	v_cmp_ne_u32_sdwa s[38:39], v56, v46 src0_sel:WORD_0 src1_sel:DWORD
	v_mov_b32_e32 v55, 0
	v_accvgpr_write_b32 a23, v2
	s_mov_b64 s[40:41], 0
	v_cmp_eq_u64_e64 s[20:21], 0, v[42:43]
	s_movk_i32 s72, 0x270e
	s_movk_i32 s73, 0x108
	v_mov_b32_e32 v49, 1
	s_xor_b64 s[42:43], vcc, -1
	s_movk_i32 s74, 0x80
	s_movk_i32 s75, 0x7f
	s_brev_b32 s76, 1
	s_mov_b64 s[44:45], 0x7f800000
	s_mov_b64 s[46:47], 0x43e00001
	s_movk_i32 s77, 0x7a
	s_mov_b32 s49, 0xffffff
	s_mov_b64 s[50:51], 0xffffff
	s_mov_b32 s78, 0xc0c0500
	v_accvgpr_write_b32 a17, v45
	v_accvgpr_write_b32 a5, v41
	v_accvgpr_read_b32 v1, a19
	s_trap 2
	s_branch .LBB2_49
.LBB2_47:                               ;   in Loop: Header=BB2_49 Depth=1
	s_or_b64 exec, exec, s[22:23]
.LBB2_48:                               ;   in Loop: Header=BB2_49 Depth=1
	s_or_b64 exec, exec, s[24:25]
	v_accvgpr_read_b32 v0, a18
	v_add_co_u32_e32 v44, vcc, v44, v0
	v_addc_co_u32_e32 v45, vcc, 0, v45, vcc
	v_cmp_ge_u64_e32 vcc, v[44:45], v[40:41]
	v_accvgpr_read_b32 v1, a19
	s_or_b64 s[40:41], vcc, s[40:41]
	s_andn2_b64 exec, exec, s[40:41]
	s_cbranch_execz .LBB2_2359
.LBB2_49:                               ; =>This Loop Header: Depth=1
                                        ;     Child Loop BB2_58 Depth 2
                                        ;     Child Loop BB2_84 Depth 2
	;; [unrolled: 1-line block ×10, first 2 shown]
	v_sub_co_u32_e32 v2, vcc, v40, v44
	v_subb_co_u32_e32 v3, vcc, v41, v45, vcc
	v_cmp_lt_u64_e32 vcc, v[0:1], v[2:3]
	v_cndmask_b32_e64 v15, v3, 0, vcc
	v_cndmask_b32_e32 v14, v2, v0, vcc
	v_add_u32_e32 v0, 15, v14
	v_cmp_eq_u64_e32 vcc, 0, v[14:15]
	v_and_b32_e32 v0, 0x7ffffff0, v0
	s_or_b64 s[52:53], s[10:11], vcc
	v_max_i32_e32 v16, s71, v0
	s_xor_b64 s[22:23], s[52:53], -1
	v_mov_b32_e32 v1, v55
	s_and_saveexec_b64 s[54:55], s[22:23]
	s_cbranch_execz .LBB2_2309
; %bb.50:                               ;   in Loop: Header=BB2_49 Depth=1
	s_and_saveexec_b64 s[22:23], s[4:5]
	s_cbranch_execz .LBB2_52
; %bb.51:                               ;   in Loop: Header=BB2_49 Depth=1
	s_trap 2
	ds_read_b64 v[2:3], v0
	v_accvgpr_read_b32 v0, a6
	v_accvgpr_read_b32 v1, a7
	v_mov_b32_e32 v54, v55
	s_waitcnt lgkmcnt(0)
	v_add_co_u32_e32 v0, vcc, v2, v0
	v_addc_co_u32_e32 v1, vcc, v3, v1, vcc
	v_add_co_u32_e32 v2, vcc, v0, v44
	v_addc_co_u32_e32 v3, vcc, v1, v45, vcc
	ds_write_b64 v0, v[2:3]
	ds_write_b64 v0, v[54:55]
.LBB2_52:                               ;   in Loop: Header=BB2_49 Depth=1
	s_or_b64 exec, exec, s[22:23]
	v_and_b32_e32 v0, 12, v62
	v_cmp_ne_u32_e32 vcc, 0, v0
	s_mov_b64 s[24:25], -1
	s_and_saveexec_b64 s[22:23], vcc
	s_cbranch_execz .LBB2_64
; %bb.53:                               ;   in Loop: Header=BB2_49 Depth=1
	v_and_b32_e32 v2, 8, v62
	v_add_co_u32_e32 v4, vcc, v36, v2
	v_addc_co_u32_e32 v5, vcc, 0, v37, vcc
	v_add_co_u32_e32 v10, vcc, 1, v8
	v_addc_co_u32_e32 v11, vcc, 0, v9, vcc
	v_cmp_lt_u64_e32 vcc, v[4:5], v[10:11]
	v_mov_b32_e32 v1, 1
	s_and_saveexec_b64 s[24:25], vcc
	s_cbranch_execz .LBB2_63
; %bb.54:                               ;   in Loop: Header=BB2_49 Depth=1
	s_mov_b64 s[26:27], 0
	v_mov_b32_e32 v1, 0
                                        ; implicit-def: $sgpr56_sgpr57
	s_branch .LBB2_58
.LBB2_55:                               ;   in Loop: Header=BB2_58 Depth=2
	s_or_b64 exec, exec, s[64:65]
	v_mov_b32_e32 v3, 0
	s_orn2_b64 s[62:63], s[62:63], exec
.LBB2_56:                               ;   in Loop: Header=BB2_58 Depth=2
	s_or_b64 exec, exec, s[60:61]
	s_andn2_b64 vcc, s[56:57], exec
	s_and_b64 s[56:57], s[62:63], exec
	s_or_b64 s[56:57], vcc, s[56:57]
	v_mov_b32_e32 v1, v3
.LBB2_57:                               ;   in Loop: Header=BB2_58 Depth=2
	s_or_b64 exec, exec, s[58:59]
	s_waitcnt vmcnt(0) lgkmcnt(0)
	v_add_co_u32_e32 v4, vcc, v36, v2
	v_addc_co_u32_e32 v5, vcc, 0, v37, vcc
	v_cmp_ge_u64_e32 vcc, v[4:5], v[10:11]
	s_xor_b64 s[58:59], s[56:57], -1
	s_or_b64 vcc, s[58:59], vcc
	s_and_b64 vcc, exec, vcc
	s_or_b64 s[26:27], vcc, s[26:27]
	s_andn2_b64 exec, exec, s[26:27]
	s_cbranch_execz .LBB2_62
.LBB2_58:                               ;   Parent Loop BB2_49 Depth=1
                                        ; =>  This Inner Loop Header: Depth=2
	s_sleep 1
	flat_load_dwordx2 v[36:37], v[32:33] glc
	v_and_b32_e32 v0, 64, v62
	v_cmp_eq_u32_e32 vcc, 0, v0
	s_andn2_b64 s[56:57], s[56:57], exec
	s_and_saveexec_b64 s[58:59], vcc
	s_cbranch_execz .LBB2_57
; %bb.59:                               ;   in Loop: Header=BB2_58 Depth=2
	v_add_u32_e32 v3, 1, v1
	v_cmp_lt_i32_e32 vcc, s72, v1
	s_mov_b64 s[62:63], -1
	s_and_saveexec_b64 s[60:61], vcc
	s_cbranch_execz .LBB2_56
; %bb.60:                               ;   in Loop: Header=BB2_58 Depth=2
	s_trap 2
	ds_read_b64 v[4:5], v0
	s_waitcnt vmcnt(0) lgkmcnt(0)
	flat_load_dword v1, v[4:5] glc
	s_waitcnt vmcnt(0) lgkmcnt(0)
	buffer_invl2
	buffer_wbinvl1_vol
	v_cmp_ne_u32_e32 vcc, 0, v1
	s_and_saveexec_b64 s[64:65], vcc
	s_cbranch_execz .LBB2_55
; %bb.61:                               ;   in Loop: Header=BB2_58 Depth=2
	v_or_b32_e32 v62, 64, v62
	s_xor_b64 s[62:63], exec, -1
	ds_write_b32 v0, v1
	s_trap 2
	s_branch .LBB2_55
.LBB2_62:                               ;   in Loop: Header=BB2_49 Depth=1
	s_or_b64 exec, exec, s[26:27]
	v_and_b32_e32 v1, 12, v62
.LBB2_63:                               ;   in Loop: Header=BB2_49 Depth=1
	s_or_b64 exec, exec, s[24:25]
	v_cmp_eq_u32_e32 vcc, 0, v1
	s_orn2_b64 s[24:25], vcc, exec
	;;#ASMSTART
	s_wakeup
	;;#ASMEND
.LBB2_64:                               ;   in Loop: Header=BB2_49 Depth=1
	s_or_b64 exec, exec, s[22:23]
	s_xor_b64 s[22:23], s[24:25], -1
	v_min_u32_e32 v16, v16, v14
	s_and_saveexec_b64 s[24:25], s[22:23]
	s_cbranch_execz .LBB2_76
; %bb.65:                               ;   in Loop: Header=BB2_49 Depth=1
	v_and_b32_e32 v0, 0x108, v62
	v_cmp_ne_u32_e32 vcc, s73, v0
	v_and_b32_e32 v2, 7, v8
	s_and_saveexec_b64 s[22:23], vcc
	s_xor_b64 s[22:23], exec, s[22:23]
	s_andn2_saveexec_b64 s[22:23], s[22:23]
	s_cbranch_execz .LBB2_67
; %bb.66:                               ;   in Loop: Header=BB2_49 Depth=1
	v_mad_u64_u32 v[4:5], s[26:27], v2, 24, v[6:7]
	v_mov_b32_e32 v17, v55
	flat_store_dwordx2 v[4:5], v[16:17] offset:8
.LBB2_67:                               ;   in Loop: Header=BB2_49 Depth=1
	s_or_b64 exec, exec, s[22:23]
	v_and_b32_e32 v0, 0x100, v62
	v_cmp_ne_u32_e32 vcc, 0, v0
	s_mov_b64 s[22:23], -1
                                        ; implicit-def: $vgpr10_vgpr11
	s_and_saveexec_b64 s[26:27], vcc
	s_cbranch_execz .LBB2_71
; %bb.68:                               ;   in Loop: Header=BB2_49 Depth=1
	v_mad_u64_u32 v[12:13], s[22:23], v2, 24, v[6:7]
	v_mov_b32_e32 v4, v13
	v_mad_u64_u32 v[4:5], s[22:23], v55, 24, v[4:5]
	v_mov_b32_e32 v13, v4
	flat_load_dword v0, v[12:13]
                                        ; implicit-def: $vgpr10_vgpr11
	s_waitcnt vmcnt(0) lgkmcnt(0)
	v_cmp_ne_u32_e32 vcc, 1, v0
	v_cmp_eq_u32_e64 s[22:23], 1, v0
	s_and_saveexec_b64 s[56:57], s[22:23]
	s_cbranch_execz .LBB2_70
; %bb.69:                               ;   in Loop: Header=BB2_49 Depth=1
	flat_load_dword v10, v[12:13] offset:4 glc
	s_waitcnt vmcnt(0) lgkmcnt(0)
	v_ashrrev_i32_e32 v11, 31, v10
.LBB2_70:                               ;   in Loop: Header=BB2_49 Depth=1
	s_or_b64 exec, exec, s[56:57]
	s_orn2_b64 s[22:23], vcc, exec
.LBB2_71:                               ;   in Loop: Header=BB2_49 Depth=1
	s_or_b64 exec, exec, s[26:27]
	s_and_saveexec_b64 s[26:27], s[22:23]
; %bb.72:                               ;   in Loop: Header=BB2_49 Depth=1
	v_accvgpr_read_b32 v4, a12
	v_mul_lo_u32 v0, v55, v4
	v_mul_lo_u32 v1, v2, v59
	v_mad_u64_u32 v[10:11], s[22:23], v2, v4, 0
	v_add3_u32 v11, v11, v1, v0
; %bb.73:                               ;   in Loop: Header=BB2_49 Depth=1
	s_or_b64 exec, exec, s[26:27]
	v_accvgpr_read_b32 v0, a14
	v_accvgpr_read_b32 v1, a15
	v_add_co_u32_e32 v2, vcc, v0, v10
	v_addc_co_u32_e32 v3, vcc, v1, v11, vcc
	s_trap 2
	ds_write_b64 v0, v[2:3]
	v_and_b32_e32 v0, 0x2000, v62
	v_cmp_ne_u32_e32 vcc, 0, v0
	s_and_saveexec_b64 s[22:23], vcc
	s_cbranch_execz .LBB2_75
; %bb.74:                               ;   in Loop: Header=BB2_49 Depth=1
	ds_read_b64 v[2:3], v0 offset:584
	s_waitcnt lgkmcnt(0)
	v_add_co_u32_e32 v2, vcc, 1, v2
	v_addc_co_u32_e32 v3, vcc, 0, v3, vcc
	ds_write_b64 v0, v[2:3] offset:584
.LBB2_75:                               ;   in Loop: Header=BB2_49 Depth=1
	s_or_b64 exec, exec, s[22:23]
	v_add_co_u32_e32 v8, vcc, 1, v8
	v_addc_co_u32_e32 v9, vcc, 0, v9, vcc
.LBB2_76:                               ;   in Loop: Header=BB2_49 Depth=1
	s_or_b64 exec, exec, s[24:25]
	s_and_saveexec_b64 s[22:23], s[12:13]
	s_cbranch_execz .LBB2_95
; %bb.77:                               ;   in Loop: Header=BB2_49 Depth=1
	s_and_saveexec_b64 s[24:25], s[38:39]
	s_xor_b64 s[24:25], exec, s[24:25]
	s_cbranch_execz .LBB2_92
; %bb.78:                               ;   in Loop: Header=BB2_49 Depth=1
	s_and_saveexec_b64 s[26:27], s[14:15]
	s_cbranch_execz .LBB2_91
; %bb.79:                               ;   in Loop: Header=BB2_49 Depth=1
	s_mov_b64 s[58:59], exec
	v_mbcnt_lo_u32_b32 v0, s58, 0
	v_mbcnt_hi_u32_b32 v0, s59, v0
	v_cmp_eq_u32_e32 vcc, 0, v0
	s_waitcnt vmcnt(0) lgkmcnt(0)
	buffer_wbinvl1_vol
	s_and_saveexec_b64 s[56:57], vcc
	s_cbranch_execz .LBB2_81
; %bb.80:                               ;   in Loop: Header=BB2_49 Depth=1
	s_bcnt1_i32_b64 vcc_lo, s[58:59]
	v_mov_b32_e32 v54, vcc_lo
	ds_add_u64 v0, v[54:55]
	s_trap 2
.LBB2_81:                               ;   in Loop: Header=BB2_49 Depth=1
	s_or_b64 exec, exec, s[56:57]
	s_trap 2
	ds_read_b64 v[2:3], v0
	v_accvgpr_read_b32 v0, a16
	v_accvgpr_read_b32 v1, a17
	v_add_co_u32_e32 v0, vcc, v0, v60
	v_addc_co_u32_e32 v1, vcc, 0, v1, vcc
	v_accvgpr_write_b32 a17, v1
	v_accvgpr_write_b32 a16, v0
	s_waitcnt lgkmcnt(0)
	v_cmp_lt_u64_e32 vcc, v[2:3], v[0:1]
	s_and_saveexec_b64 s[56:57], vcc
	s_cbranch_execz .LBB2_90
; %bb.82:                               ;   in Loop: Header=BB2_49 Depth=1
	s_mov_b32 s68, 0
	s_mov_b64 s[58:59], 0
                                        ; implicit-def: $sgpr60_sgpr61
                                        ; implicit-def: $sgpr62_sgpr63
	s_branch .LBB2_84
.LBB2_83:                               ;   in Loop: Header=BB2_84 Depth=2
	s_or_b64 exec, exec, s[66:67]
	s_and_b64 vcc, exec, vcc
	s_or_b64 s[58:59], vcc, s[58:59]
	s_andn2_b64 vcc, s[60:61], exec
	s_and_b64 s[60:61], s[62:63], exec
	s_or_b64 s[60:61], vcc, s[60:61]
	s_andn2_b64 exec, exec, s[58:59]
	s_cbranch_execz .LBB2_88
.LBB2_84:                               ;   Parent Loop BB2_49 Depth=1
                                        ; =>  This Inner Loop Header: Depth=2
	s_add_i32 s68, s68, 1
	s_cmpk_lg_i32 s68, 0x2710
	s_cselect_b64 s[64:65], -1, 0
	s_and_b64 vcc, exec, s[64:65]
                                        ; implicit-def: $sgpr66_sgpr67
	s_cbranch_vccnz .LBB2_86
; %bb.85:                               ;   in Loop: Header=BB2_84 Depth=2
	s_trap 2
	ds_read_b64 v[2:3], v0
	s_andn2_b64 s[64:65], s[64:65], exec
	s_mov_b32 s68, 0
	s_mov_b64 s[66:67], -1
	s_waitcnt lgkmcnt(0)
	flat_load_dword v0, v[2:3] glc
	s_waitcnt vmcnt(0) lgkmcnt(0)
	buffer_invl2
	buffer_wbinvl1_vol
	v_cmp_eq_u32_e32 vcc, 0, v0
	s_and_b64 vcc, vcc, exec
	s_or_b64 s[64:65], s[64:65], vcc
.LBB2_86:                               ;   in Loop: Header=BB2_84 Depth=2
	s_andn2_b64 s[62:63], s[62:63], exec
	s_and_b64 s[66:67], s[66:67], exec
	s_mov_b64 vcc, -1
	s_or_b64 s[62:63], s[62:63], s[66:67]
	s_and_saveexec_b64 s[66:67], s[64:65]
	s_cbranch_execz .LBB2_83
; %bb.87:                               ;   in Loop: Header=BB2_84 Depth=2
	s_sleep 1
	s_trap 2
	ds_read_b64 v[2:3], v0
	v_accvgpr_read_b32 v0, a16
	v_accvgpr_read_b32 v1, a17
	s_andn2_b64 s[62:63], s[62:63], exec
	s_waitcnt lgkmcnt(0)
	v_cmp_ge_u64_e32 vcc, v[2:3], v[0:1]
	s_orn2_b64 vcc, vcc, exec
	s_branch .LBB2_83
.LBB2_88:                               ;   in Loop: Header=BB2_49 Depth=1
	s_or_b64 exec, exec, s[58:59]
	s_and_saveexec_b64 vcc, s[60:61]
	s_xor_b64 vcc, exec, vcc
	s_cbranch_execz .LBB2_90
; %bb.89:                               ;   in Loop: Header=BB2_49 Depth=1
	ds_write_b32 v0, v49
	s_trap 2
.LBB2_90:                               ;   in Loop: Header=BB2_49 Depth=1
	s_or_b64 exec, exec, s[56:57]
	;;#ASMSTART
	s_wakeup
	;;#ASMEND
.LBB2_91:                               ;   in Loop: Header=BB2_49 Depth=1
	s_or_b64 exec, exec, s[26:27]
.LBB2_92:                               ;   in Loop: Header=BB2_49 Depth=1
	s_andn2_saveexec_b64 s[24:25], s[24:25]
	s_cbranch_execz .LBB2_94
; %bb.93:                               ;   in Loop: Header=BB2_49 Depth=1
	s_waitcnt vmcnt(0) lgkmcnt(0)
	buffer_wbinvl1_vol
	s_barrier
.LBB2_94:                               ;   in Loop: Header=BB2_49 Depth=1
	s_or_b64 exec, exec, s[24:25]
.LBB2_95:                               ;   in Loop: Header=BB2_49 Depth=1
	s_or_b64 exec, exec, s[22:23]
	s_trap 2
	ds_read_b32 v1, v0
	v_and_b32_e32 v0, 0x4000, v62
	v_cmp_ne_u32_e32 vcc, 0, v0
	s_and_b64 s[24:25], s[42:43], vcc
	s_and_saveexec_b64 s[22:23], s[24:25]
	s_cbranch_execz .LBB2_114
; %bb.96:                               ;   in Loop: Header=BB2_49 Depth=1
	s_and_saveexec_b64 s[24:25], s[38:39]
	s_xor_b64 s[24:25], exec, s[24:25]
	s_cbranch_execz .LBB2_111
; %bb.97:                               ;   in Loop: Header=BB2_49 Depth=1
	s_and_saveexec_b64 s[26:27], s[14:15]
	s_cbranch_execz .LBB2_110
; %bb.98:                               ;   in Loop: Header=BB2_49 Depth=1
	s_mov_b64 s[58:59], exec
	v_mbcnt_lo_u32_b32 v0, s58, 0
	v_mbcnt_hi_u32_b32 v0, s59, v0
	v_cmp_eq_u32_e32 vcc, 0, v0
	s_waitcnt vmcnt(0) lgkmcnt(0)
	buffer_wbinvl1_vol
	s_and_saveexec_b64 s[56:57], vcc
	s_cbranch_execz .LBB2_100
; %bb.99:                               ;   in Loop: Header=BB2_49 Depth=1
	s_bcnt1_i32_b64 vcc_lo, s[58:59]
	v_mov_b32_e32 v54, vcc_lo
	ds_add_u64 v0, v[54:55]
	s_trap 2
.LBB2_100:                              ;   in Loop: Header=BB2_49 Depth=1
	s_or_b64 exec, exec, s[56:57]
	s_trap 2
	ds_read_b64 v[2:3], v0
	v_accvgpr_read_b32 v4, a16
	v_accvgpr_read_b32 v5, a17
	v_add_co_u32_e32 v4, vcc, v4, v60
	v_addc_co_u32_e32 v5, vcc, 0, v5, vcc
	v_accvgpr_write_b32 a17, v5
	v_accvgpr_write_b32 a16, v4
	s_waitcnt lgkmcnt(0)
	v_cmp_lt_u64_e32 vcc, v[2:3], v[4:5]
	s_and_saveexec_b64 s[56:57], vcc
	s_cbranch_execz .LBB2_109
; %bb.101:                              ;   in Loop: Header=BB2_49 Depth=1
	s_mov_b32 s68, 0
	s_mov_b64 s[58:59], 0
                                        ; implicit-def: $sgpr60_sgpr61
                                        ; implicit-def: $sgpr62_sgpr63
	s_branch .LBB2_103
.LBB2_102:                              ;   in Loop: Header=BB2_103 Depth=2
	s_or_b64 exec, exec, s[66:67]
	s_and_b64 vcc, exec, vcc
	s_or_b64 s[58:59], vcc, s[58:59]
	s_andn2_b64 vcc, s[60:61], exec
	s_and_b64 s[60:61], s[62:63], exec
	s_or_b64 s[60:61], vcc, s[60:61]
	s_andn2_b64 exec, exec, s[58:59]
	s_cbranch_execz .LBB2_107
.LBB2_103:                              ;   Parent Loop BB2_49 Depth=1
                                        ; =>  This Inner Loop Header: Depth=2
	s_add_i32 s68, s68, 1
	s_cmpk_lg_i32 s68, 0x2710
	s_cselect_b64 s[64:65], -1, 0
	s_and_b64 vcc, exec, s[64:65]
                                        ; implicit-def: $sgpr66_sgpr67
	s_cbranch_vccnz .LBB2_105
; %bb.104:                              ;   in Loop: Header=BB2_103 Depth=2
	s_trap 2
	ds_read_b64 v[2:3], v0
	s_andn2_b64 s[64:65], s[64:65], exec
	s_mov_b32 s68, 0
	s_mov_b64 s[66:67], -1
	s_waitcnt lgkmcnt(0)
	flat_load_dword v0, v[2:3] glc
	s_waitcnt vmcnt(0) lgkmcnt(0)
	buffer_invl2
	buffer_wbinvl1_vol
	v_cmp_eq_u32_e32 vcc, 0, v0
	s_and_b64 vcc, vcc, exec
	s_or_b64 s[64:65], s[64:65], vcc
.LBB2_105:                              ;   in Loop: Header=BB2_103 Depth=2
	s_andn2_b64 s[62:63], s[62:63], exec
	s_and_b64 s[66:67], s[66:67], exec
	s_mov_b64 vcc, -1
	s_or_b64 s[62:63], s[62:63], s[66:67]
	s_and_saveexec_b64 s[66:67], s[64:65]
	s_cbranch_execz .LBB2_102
; %bb.106:                              ;   in Loop: Header=BB2_103 Depth=2
	s_sleep 1
	s_trap 2
	ds_read_b64 v[2:3], v0
	v_accvgpr_read_b32 v4, a16
	v_accvgpr_read_b32 v5, a17
	s_andn2_b64 s[62:63], s[62:63], exec
	s_waitcnt lgkmcnt(0)
	v_cmp_ge_u64_e32 vcc, v[2:3], v[4:5]
	s_orn2_b64 vcc, vcc, exec
	s_branch .LBB2_102
.LBB2_107:                              ;   in Loop: Header=BB2_49 Depth=1
	s_or_b64 exec, exec, s[58:59]
	s_and_saveexec_b64 vcc, s[60:61]
	s_xor_b64 vcc, exec, vcc
	s_cbranch_execz .LBB2_109
; %bb.108:                              ;   in Loop: Header=BB2_49 Depth=1
	ds_write_b32 v0, v49
	s_trap 2
.LBB2_109:                              ;   in Loop: Header=BB2_49 Depth=1
	s_or_b64 exec, exec, s[56:57]
	;;#ASMSTART
	s_wakeup
	;;#ASMEND
.LBB2_110:                              ;   in Loop: Header=BB2_49 Depth=1
	s_or_b64 exec, exec, s[26:27]
.LBB2_111:                              ;   in Loop: Header=BB2_49 Depth=1
	s_andn2_saveexec_b64 s[24:25], s[24:25]
	s_cbranch_execz .LBB2_113
; %bb.112:                              ;   in Loop: Header=BB2_49 Depth=1
	s_waitcnt vmcnt(0) lgkmcnt(0)
	buffer_wbinvl1_vol
	s_barrier
.LBB2_113:                              ;   in Loop: Header=BB2_49 Depth=1
	s_or_b64 exec, exec, s[24:25]
.LBB2_114:                              ;   in Loop: Header=BB2_49 Depth=1
	s_or_b64 exec, exec, s[22:23]
	s_trap 2
	ds_read_b64 v[2:3], v0
	s_waitcnt lgkmcnt(0)
	v_readfirstlane_b32 s22, v2
	v_readfirstlane_b32 s23, v3
	s_cmp_eq_u64 s[22:23], 0
	s_cselect_b64 s[22:23], -1, 0
	s_or_b64 s[24:25], s[22:23], s[22:23]
	s_mov_b64 s[22:23], 0
	s_and_b64 vcc, exec, s[24:25]
	s_cbranch_vccnz .LBB2_2283
; %bb.115:                              ;   in Loop: Header=BB2_49 Depth=1
	s_trap 2
	ds_read_b64 v[2:3], v0
	s_mov_b64 s[24:25], -1
	s_waitcnt lgkmcnt(0)
	v_readfirstlane_b32 s68, v2
	s_and_saveexec_b64 s[22:23], s[16:17]
	s_cbranch_execz .LBB2_117
; %bb.116:                              ;   in Loop: Header=BB2_49 Depth=1
	ds_read_b32 v0, v0 offset:720
	s_waitcnt lgkmcnt(0)
	v_and_b32_e32 v0, 15, v0
	v_cmp_eq_u32_e32 vcc, 0, v0
	s_orn2_b64 s[24:25], vcc, exec
.LBB2_117:                              ;   in Loop: Header=BB2_49 Depth=1
	s_or_b64 exec, exec, s[22:23]
	s_and_saveexec_b64 s[22:23], s[18:19]
	s_cbranch_execz .LBB2_119
; %bb.118:                              ;   in Loop: Header=BB2_49 Depth=1
	ds_read_b32 v0, v0 offset:784
	s_waitcnt lgkmcnt(0)
	v_and_b32_e32 v0, 15, v0
	v_cmp_eq_u32_e32 vcc, 0, v0
	s_and_b64 s[26:27], s[24:25], vcc
	s_andn2_b64 s[24:25], s[24:25], exec
	s_and_b64 s[26:27], s[26:27], exec
	s_or_b64 s[24:25], s[24:25], s[26:27]
.LBB2_119:                              ;   in Loop: Header=BB2_49 Depth=1
	s_or_b64 exec, exec, s[22:23]
	v_cmp_eq_u32_e32 vcc, 0, v1
	s_xor_b64 s[24:25], s[24:25], -1
	v_cndmask_b32_e32 v50, 0, v16, vcc
	v_cndmask_b32_e64 v0, 0, 1, s[24:25]
	v_accvgpr_write_b32 a36, v14
	v_mov_b32_e32 v17, 0
	v_accvgpr_write_b32 a38, v16
	s_mov_b64 s[22:23], -1
	;;#ASMSTART
	;;#ASMEND
	v_cmp_ne_u32_e32 vcc, 0, v0
	v_mov_b32_e32 v18, v50
	v_mov_b32_e32 v19, v58
	;; [unrolled: 1-line block ×3, first 2 shown]
	s_cbranch_vccz .LBB2_121
; %bb.120:                              ;   in Loop: Header=BB2_49 Depth=1
	s_and_saveexec_b64 s[56:57], s[22:23]
	s_cbranch_execnz .LBB2_2054
	s_branch .LBB2_2282
.LBB2_121:                              ;   in Loop: Header=BB2_49 Depth=1
	v_lshrrev_b32_e32 v0, 11, v50
	v_sub_u32_e32 v57, v0, v61
	v_accvgpr_write_b32 a33, v48
	v_accvgpr_write_b32 a32, v39
	;; [unrolled: 1-line block ×4, first 2 shown]
	v_cmp_lt_i32_e32 vcc, 0, v57
	s_and_saveexec_b64 s[26:27], vcc
	s_cbranch_execz .LBB2_1405
; %bb.122:                              ;   in Loop: Header=BB2_49 Depth=1
	s_trap 2
	ds_read_b128 v[2:5], v0
	ds_read_b64 v[10:11], v0
	v_accvgpr_read_b32 v0, a26
	v_accvgpr_write_b32 a3, v58
	v_accvgpr_read_b32 v1, a25
	s_waitcnt lgkmcnt(0)
	v_add_co_u32_e32 v58, vcc, v2, v0
	v_accvgpr_write_b32 a13, v59
	v_addc_co_u32_e32 v59, vcc, v3, v1, vcc
	v_accvgpr_write_b32 a22, v60
	v_add_co_u32_e32 v60, vcc, v4, v0
	v_accvgpr_write_b32 a24, v61
	v_addc_co_u32_e32 v61, vcc, v5, v1, vcc
	v_accvgpr_write_b32 a20, v42
	v_add_co_u32_e32 v40, vcc, v10, v0
	s_bitcmp1_b32 s68, 0
	v_accvgpr_write_b32 a21, v43
	v_accvgpr_write_b32 a2, v56
	;; [unrolled: 1-line block ×4, first 2 shown]
	v_addc_co_u32_e32 v41, vcc, v11, v1, vcc
	s_mov_b64 s[56:57], 0
	s_cselect_b64 s[58:59], -1, 0
	s_branch .LBB2_124
.LBB2_123:                              ;   in Loop: Header=BB2_124 Depth=2
	s_or_b64 exec, exec, s[22:23]
	v_lshlrev_b32_e32 v3, 8, v30
	v_perm_b32 v3, v3, v50, s78
	v_lshl_or_b32 v3, v31, 16, v3
	v_lshl_or_b32 v49, v23, 24, v3
	v_and_b32_e32 v3, 0xff, v47
	v_lshlrev_b32_e32 v0, 8, v0
	v_accvgpr_read_b32 v12, a39
	v_lshlrev_b32_e32 v10, 24, v42
	v_lshlrev_b32_e32 v3, 16, v3
	v_perm_b32 v0, v0, v12, s78
	v_or3_b32 v48, v10, v3, v0
	v_and_b32_e32 v0, 0xff, v52
	v_lshlrev_b32_e32 v10, 8, v51
	v_lshlrev_b32_e32 v3, 24, v46
	;; [unrolled: 1-line block ×3, first 2 shown]
	v_perm_b32 v10, v10, v28, s78
	v_or3_b32 v50, v3, v0, v10
	v_lshlrev_b32_e32 v0, 8, v22
	v_perm_b32 v0, v0, v56, s78
	v_lshl_or_b32 v0, v1, 16, v0
	v_lshl_or_b32 v51, v21, 24, v0
	v_lshlrev_b32_e32 v0, 8, v19
	v_perm_b32 v0, v0, v29, s78
	v_lshl_or_b32 v0, v20, 16, v0
	v_lshl_or_b32 v17, v15, 24, v0
	v_and_b32_e32 v0, 0xff, v43
	v_lshlrev_b32_e32 v3, 8, v25
	v_lshlrev_b32_e32 v1, 24, v53
	;; [unrolled: 1-line block ×3, first 2 shown]
	v_perm_b32 v3, v3, v24, s78
	v_or3_b32 v16, v1, v0, v3
	v_and_b32_e32 v0, 0xff, v27
	v_lshlrev_b32_e32 v3, 8, v26
	v_lshlrev_b32_e32 v1, 24, v4
	;; [unrolled: 1-line block ×3, first 2 shown]
	v_perm_b32 v3, v3, v18, s78
	v_or3_b32 v18, v1, v0, v3
	v_lshlrev_b32_e32 v0, 8, v11
	v_perm_b32 v0, v0, v5, s78
	v_lshl_or_b32 v0, v14, 16, v0
	v_accvgpr_read_b32 v1, a27
	v_lshl_or_b32 v19, v2, 24, v0
	v_add_co_u32_e32 v58, vcc, v58, v1
	v_accvgpr_read_b32 v2, a28
	v_addc_co_u32_e32 v59, vcc, v59, v2, vcc
	v_add_co_u32_e32 v60, vcc, v60, v1
	v_accvgpr_read_b32 v0, a22
	v_addc_co_u32_e32 v61, vcc, v61, v2, vcc
	v_sub_u32_e32 v57, v57, v0
	v_cmp_gt_i32_e32 vcc, 1, v57
	global_store_dwordx4 v[40:41], v[48:51], off glc slc
	global_store_dwordx4 v[40:41], v[16:19], off offset:1024 glc slc
	s_or_b64 s[56:57], vcc, s[56:57]
	v_add_co_u32_e32 v40, vcc, v40, v1
	v_addc_co_u32_e32 v41, vcc, v41, v2, vcc
	s_andn2_b64 exec, exec, s[56:57]
	s_cbranch_execz .LBB2_1404
.LBB2_124:                              ;   Parent Loop BB2_49 Depth=1
                                        ; =>  This Inner Loop Header: Depth=2
	global_load_dwordx4 v[22:25], v[58:59], off glc slc
	global_load_dwordx4 v[14:17], v[58:59], off offset:1024 glc slc
	global_load_dwordx4 v[18:21], v[60:61], off glc slc
	global_load_dwordx4 v[10:13], v[60:61], off offset:1024 glc slc
	s_and_b64 vcc, exec, s[58:59]
	s_waitcnt vmcnt(0)
	v_cmp_ne_u16_sdwa s[22:23], v22, v55 src0_sel:BYTE_0 src1_sel:DWORD
	s_cbranch_vccz .LBB2_138
; %bb.125:                              ;   in Loop: Header=BB2_124 Depth=2
	v_mov_b32_e32 v2, 0
	v_mov_b32_e32 v1, 0
	s_and_saveexec_b64 s[24:25], s[22:23]
	s_cbranch_execz .LBB2_131
; %bb.126:                              ;   in Loop: Header=BB2_124 Depth=2
	v_cmp_ne_u16_sdwa vcc, v22, s74 src0_sel:BYTE_0 src1_sel:DWORD
	v_bfrev_b32_e32 v1, 1
	s_and_saveexec_b64 s[60:61], vcc
	s_cbranch_execz .LBB2_130
; %bb.127:                              ;   in Loop: Header=BB2_124 Depth=2
	v_and_b32_e32 v3, 0x7f, v22
	v_cmp_ne_u32_e32 vcc, s75, v3
	v_mov_b32_e32 v1, 0x7f800001
	s_and_saveexec_b64 s[62:63], vcc
	s_cbranch_execz .LBB2_129
; %bb.128:                              ;   in Loop: Header=BB2_124 Depth=2
	v_and_b32_e32 v0, 7, v22
	v_ffbh_u32_e32 v0, v0
	v_min_u32_e32 v0, 32, v0
	v_lshrrev_b32_e32 v1, 3, v3
	v_subrev_u32_e32 v4, 28, v0
	v_sub_u32_e32 v0, 29, v0
	v_cmp_gt_u32_e32 vcc, 8, v3
	v_cndmask_b32_e32 v0, v1, v0, vcc
	v_cndmask_b32_e32 v1, 0, v4, vcc
	v_lshlrev_b64 v[4:5], v1, v[22:23]
	v_lshlrev_b32_e32 v1, 20, v4
	v_lshlrev_b32_e32 v3, 24, v22
	v_bfrev_b32_e32 v4, 60
	v_and_b32_e32 v1, 0x700000, v1
	v_and_b32_e32 v3, 0x80000000, v3
	v_lshl_add_u32 v0, v0, 23, v4
	v_or3_b32 v1, v3, v0, v1
.LBB2_129:                              ;   in Loop: Header=BB2_124 Depth=2
	s_or_b64 exec, exec, s[62:63]
.LBB2_130:                              ;   in Loop: Header=BB2_124 Depth=2
	s_or_b64 exec, exec, s[60:61]
.LBB2_131:                              ;   in Loop: Header=BB2_124 Depth=2
	s_or_b64 exec, exec, s[24:25]
	v_cmp_ne_u16_sdwa vcc, v18, v55 src0_sel:BYTE_0 src1_sel:DWORD
	s_and_saveexec_b64 s[24:25], vcc
	s_cbranch_execz .LBB2_137
; %bb.132:                              ;   in Loop: Header=BB2_124 Depth=2
	v_cmp_ne_u16_sdwa vcc, v18, s74 src0_sel:BYTE_0 src1_sel:DWORD
	v_bfrev_b32_e32 v2, 1
	s_and_saveexec_b64 s[60:61], vcc
	s_cbranch_execz .LBB2_136
; %bb.133:                              ;   in Loop: Header=BB2_124 Depth=2
	v_and_b32_e32 v3, 0x7f, v18
	v_cmp_ne_u32_e32 vcc, s75, v3
	v_mov_b32_e32 v2, 0x7f800001
	s_and_saveexec_b64 s[62:63], vcc
	s_cbranch_execz .LBB2_135
; %bb.134:                              ;   in Loop: Header=BB2_124 Depth=2
	v_and_b32_e32 v0, 7, v18
	v_ffbh_u32_e32 v0, v0
	v_min_u32_e32 v0, 32, v0
	v_lshrrev_b32_e32 v2, 3, v3
	v_subrev_u32_e32 v4, 28, v0
	v_sub_u32_e32 v0, 29, v0
	v_cmp_gt_u32_e32 vcc, 8, v3
	v_cndmask_b32_e32 v0, v2, v0, vcc
	v_cndmask_b32_e32 v2, 0, v4, vcc
	v_lshlrev_b64 v[2:3], v2, v[18:19]
	v_lshlrev_b32_e32 v2, 20, v2
	v_lshlrev_b32_e32 v3, 24, v18
	v_bfrev_b32_e32 v4, 60
	v_and_b32_e32 v2, 0x700000, v2
	v_and_b32_e32 v3, 0x80000000, v3
	v_lshl_add_u32 v0, v0, 23, v4
	v_or3_b32 v2, v3, v0, v2
.LBB2_135:                              ;   in Loop: Header=BB2_124 Depth=2
	s_or_b64 exec, exec, s[62:63]
.LBB2_136:                              ;   in Loop: Header=BB2_124 Depth=2
	s_or_b64 exec, exec, s[60:61]
.LBB2_137:                              ;   in Loop: Header=BB2_124 Depth=2
	s_or_b64 exec, exec, s[24:25]
	v_max_f32_e32 v0, v2, v2
	v_max_f32_e32 v1, v1, v1
	;; [unrolled: 1-line block ×3, first 2 shown]
	s_branch .LBB2_152
.LBB2_138:                              ;   in Loop: Header=BB2_124 Depth=2
                                        ; implicit-def: $vgpr2
	s_cbranch_execz .LBB2_152
; %bb.139:                              ;   in Loop: Header=BB2_124 Depth=2
	v_mov_b32_e32 v2, 0
	v_mov_b32_e32 v1, 0
	s_and_saveexec_b64 s[24:25], s[22:23]
	s_cbranch_execz .LBB2_145
; %bb.140:                              ;   in Loop: Header=BB2_124 Depth=2
	v_cmp_ne_u16_sdwa vcc, v22, s74 src0_sel:BYTE_0 src1_sel:DWORD
	v_bfrev_b32_e32 v1, 1
	s_and_saveexec_b64 s[22:23], vcc
	s_cbranch_execz .LBB2_144
; %bb.141:                              ;   in Loop: Header=BB2_124 Depth=2
	v_and_b32_e32 v3, 0x7f, v22
	v_cmp_ne_u32_e32 vcc, s75, v3
	v_mov_b32_e32 v1, 0x7f800001
	s_and_saveexec_b64 s[60:61], vcc
	s_cbranch_execz .LBB2_143
; %bb.142:                              ;   in Loop: Header=BB2_124 Depth=2
	v_and_b32_e32 v0, 7, v22
	v_ffbh_u32_e32 v0, v0
	v_min_u32_e32 v0, 32, v0
	v_lshrrev_b32_e32 v1, 3, v3
	v_subrev_u32_e32 v4, 28, v0
	v_sub_u32_e32 v0, 29, v0
	v_cmp_gt_u32_e32 vcc, 8, v3
	v_cndmask_b32_e32 v0, v1, v0, vcc
	v_cndmask_b32_e32 v1, 0, v4, vcc
	v_lshlrev_b64 v[4:5], v1, v[22:23]
	v_lshlrev_b32_e32 v1, 20, v4
	v_lshlrev_b32_e32 v3, 24, v22
	v_bfrev_b32_e32 v4, 60
	v_and_b32_e32 v1, 0x700000, v1
	v_and_b32_e32 v3, 0x80000000, v3
	v_lshl_add_u32 v0, v0, 23, v4
	v_or3_b32 v1, v3, v0, v1
.LBB2_143:                              ;   in Loop: Header=BB2_124 Depth=2
	s_or_b64 exec, exec, s[60:61]
.LBB2_144:                              ;   in Loop: Header=BB2_124 Depth=2
	s_or_b64 exec, exec, s[22:23]
.LBB2_145:                              ;   in Loop: Header=BB2_124 Depth=2
	s_or_b64 exec, exec, s[24:25]
	v_cmp_ne_u16_sdwa s[24:25], v18, v55 src0_sel:BYTE_0 src1_sel:DWORD
	s_and_saveexec_b64 s[22:23], s[24:25]
	s_cbranch_execz .LBB2_151
; %bb.146:                              ;   in Loop: Header=BB2_124 Depth=2
	v_cmp_ne_u16_sdwa vcc, v18, s74 src0_sel:BYTE_0 src1_sel:DWORD
	v_bfrev_b32_e32 v2, 1
	s_and_saveexec_b64 s[24:25], vcc
	s_cbranch_execz .LBB2_150
; %bb.147:                              ;   in Loop: Header=BB2_124 Depth=2
	v_and_b32_e32 v3, 0x7f, v18
	v_cmp_ne_u32_e32 vcc, s75, v3
	v_mov_b32_e32 v2, 0x7f800001
	s_and_saveexec_b64 s[60:61], vcc
	s_cbranch_execz .LBB2_149
; %bb.148:                              ;   in Loop: Header=BB2_124 Depth=2
	v_and_b32_e32 v0, 7, v18
	v_ffbh_u32_e32 v0, v0
	v_min_u32_e32 v0, 32, v0
	v_lshrrev_b32_e32 v2, 3, v3
	v_subrev_u32_e32 v4, 28, v0
	v_sub_u32_e32 v0, 29, v0
	v_cmp_gt_u32_e32 vcc, 8, v3
	v_cndmask_b32_e32 v0, v2, v0, vcc
	v_cndmask_b32_e32 v2, 0, v4, vcc
	v_lshlrev_b64 v[2:3], v2, v[18:19]
	v_lshlrev_b32_e32 v2, 20, v2
	v_lshlrev_b32_e32 v3, 24, v18
	v_bfrev_b32_e32 v4, 60
	v_and_b32_e32 v2, 0x700000, v2
	v_and_b32_e32 v3, 0x80000000, v3
	v_lshl_add_u32 v0, v0, 23, v4
	v_or3_b32 v2, v3, v0, v2
.LBB2_149:                              ;   in Loop: Header=BB2_124 Depth=2
	s_or_b64 exec, exec, s[60:61]
.LBB2_150:                              ;   in Loop: Header=BB2_124 Depth=2
	s_or_b64 exec, exec, s[24:25]
.LBB2_151:                              ;   in Loop: Header=BB2_124 Depth=2
	s_or_b64 exec, exec, s[22:23]
	v_max_f32_e32 v0, v2, v2
	v_max_f32_e32 v1, v1, v1
	v_min_f32_e32 v2, v1, v0
.LBB2_152:                              ;   in Loop: Header=BB2_124 Depth=2
	v_and_b32_sdwa v1, v2, s74 dst_sel:DWORD dst_unused:UNUSED_PAD src0_sel:BYTE_3 src1_sel:DWORD
	v_and_b32_e32 v4, 0x7f800000, v2
	v_mov_b32_e32 v5, v55
	v_and_b32_e32 v54, 0x7fffff, v2
	v_or_b32_e32 v3, 0x7e, v1
	v_cmp_ne_u64_e32 vcc, s[44:45], v[4:5]
	s_and_saveexec_b64 s[22:23], vcc
	s_xor_b64 s[24:25], exec, s[22:23]
	s_cbranch_execz .LBB2_162
; %bb.153:                              ;   in Loop: Header=BB2_124 Depth=2
	v_and_b32_e32 v4, 0x7fffffff, v2
	v_mov_b32_e32 v5, v55
	v_cmp_gt_u64_e32 vcc, s[46:47], v[4:5]
	s_and_saveexec_b64 s[60:61], vcc
	s_cbranch_execz .LBB2_161
; %bb.154:                              ;   in Loop: Header=BB2_124 Depth=2
	v_cmp_ne_u32_e32 vcc, 0, v2
	v_mov_b32_e32 v3, 0
	s_and_saveexec_b64 s[62:63], vcc
	s_cbranch_execz .LBB2_160
; %bb.155:                              ;   in Loop: Header=BB2_124 Depth=2
	v_bfe_u32 v0, v2, 23, 8
	v_sub_u32_e32 v3, 0x79, v0
	v_cmp_gt_u32_e32 vcc, s77, v0
	v_add_u32_e32 v2, 0xffffff81, v0
	v_cndmask_b32_e32 v3, 0, v3, vcc
	v_cmp_eq_u32_e32 vcc, 0, v0
	v_mov_b32_e32 v0, 0xffffff82
	v_cndmask_b32_e32 v0, v2, v0, vcc
	v_mov_b32_e32 v2, 0x78
	v_or_b32_e32 v4, 0x800000, v54
	v_cndmask_b32_e32 v5, v3, v2, vcc
	v_cndmask_b32_e32 v54, v4, v54, vcc
	v_add_u32_e32 v2, 20, v5
	v_lshlrev_b64 v[2:3], v2, -1
	v_add_u32_e32 v4, 19, v5
	v_lshrrev_b64 v[30:31], v5, v[54:55]
	v_not_b32_e32 v3, v3
	v_not_b32_e32 v2, v2
	v_lshlrev_b64 v[28:29], v4, 1
	v_lshrrev_b32_e32 v4, 23, v30
	v_and_b32_e32 v3, 0, v3
	v_and_b32_e32 v2, v54, v2
	v_add3_u32 v26, v5, v0, v4
	v_bfe_u32 v0, v30, 20, 1
	v_add_u32_e32 v0, -1, v0
	v_cmp_eq_u64_e32 vcc, v[2:3], v[28:29]
	v_cndmask_b32_e32 v0, 0, v0, vcc
	v_add_u32_e32 v0, v0, v30
	v_and_b32_e32 v0, 0xfffff, v0
	v_add_co_u32_e32 v2, vcc, v0, v30
	v_add_u32_e32 v5, 6, v26
	v_addc_co_u32_e32 v3, vcc, 0, v31, vcc
	v_cmp_ne_u32_e32 vcc, 0, v5
                                        ; implicit-def: $vgpr4
	s_and_saveexec_b64 s[22:23], vcc
	s_xor_b64 s[22:23], exec, s[22:23]
; %bb.156:                              ;   in Loop: Header=BB2_124 Depth=2
	v_add_u32_e32 v0, 7, v26
	v_cmp_lt_u64_e32 vcc, s[50:51], v[2:3]
	v_cndmask_b32_e32 v4, v5, v0, vcc
	v_cndmask_b32_e64 v0, 0, 1, vcc
	v_lshrrev_b64 v[2:3], v0, v[2:3]
; %bb.157:                              ;   in Loop: Header=BB2_124 Depth=2
	s_andn2_saveexec_b64 s[22:23], s[22:23]
; %bb.158:                              ;   in Loop: Header=BB2_124 Depth=2
	v_bfe_u32 v4, v2, 23, 1
; %bb.159:                              ;   in Loop: Header=BB2_124 Depth=2
	s_or_b64 exec, exec, s[22:23]
	v_lshrrev_b64 v[2:3], 20, v[2:3]
	v_cmp_gt_i32_e32 vcc, 16, v4
	v_cndmask_b32_e32 v3, 0, v3, vcc
	v_cndmask_b32_e32 v2, 7, v2, vcc
	v_min_i32_e32 v0, 15, v4
	v_cmp_eq_u32_e32 vcc, 0, v4
	v_cmp_eq_u64_e64 s[22:23], 0, v[2:3]
	v_lshlrev_b32_e32 v0, 3, v0
	v_and_or_b32 v0, v2, 7, v0
	s_and_b64 s[22:23], vcc, s[22:23]
	v_cndmask_b32_e64 v0, v0, 0, s[22:23]
	v_or_b32_e32 v3, v0, v1
.LBB2_160:                              ;   in Loop: Header=BB2_124 Depth=2
	s_or_b64 exec, exec, s[62:63]
.LBB2_161:                              ;   in Loop: Header=BB2_124 Depth=2
	s_or_b64 exec, exec, s[60:61]
                                        ; implicit-def: $vgpr2
.LBB2_162:                              ;   in Loop: Header=BB2_124 Depth=2
	s_andn2_saveexec_b64 s[22:23], s[24:25]
; %bb.163:                              ;   in Loop: Header=BB2_124 Depth=2
	v_or_b32_sdwa v0, v2, s75 dst_sel:DWORD dst_unused:UNUSED_PAD src0_sel:BYTE_3 src1_sel:DWORD
	v_cmp_eq_u64_e32 vcc, 0, v[54:55]
	v_cndmask_b32_e32 v3, v0, v3, vcc
; %bb.164:                              ;   in Loop: Header=BB2_124 Depth=2
	s_or_b64 exec, exec, s[22:23]
	v_lshrrev_b16_e32 v28, 8, v22
	v_accvgpr_write_b32 a39, v3
	v_lshrrev_b16_e32 v2, 8, v18
	v_cmp_ne_u16_e64 s[22:23], 0, v28
	s_and_b64 vcc, exec, s[58:59]
	s_cbranch_vccz .LBB2_178
; %bb.165:                              ;   in Loop: Header=BB2_124 Depth=2
	v_mov_b32_e32 v3, 0
	v_mov_b32_e32 v1, 0
	s_and_saveexec_b64 s[24:25], s[22:23]
	s_cbranch_execz .LBB2_171
; %bb.166:                              ;   in Loop: Header=BB2_124 Depth=2
	v_cmp_ne_u16_e32 vcc, s74, v28
	v_bfrev_b32_e32 v1, 1
	s_and_saveexec_b64 s[60:61], vcc
	s_cbranch_execz .LBB2_170
; %bb.167:                              ;   in Loop: Header=BB2_124 Depth=2
	v_and_b32_e32 v4, 0x7f, v28
	v_cmp_ne_u32_e32 vcc, s75, v4
	v_mov_b32_e32 v1, 0x7f800001
	s_and_saveexec_b64 s[62:63], vcc
	s_cbranch_execz .LBB2_169
; %bb.168:                              ;   in Loop: Header=BB2_124 Depth=2
	v_and_b32_e32 v0, 7, v28
	v_ffbh_u32_e32 v5, v0
	v_min_u32_e32 v5, 32, v5
	v_subrev_u32_e32 v26, 28, v5
	v_lshlrev_b64 v[26:27], v26, v[28:29]
	v_lshrrev_b32_e32 v1, 3, v4
	v_sub_u32_e32 v5, 29, v5
	v_and_b32_e32 v26, 7, v26
	v_cmp_gt_u32_e32 vcc, 8, v4
	v_cndmask_b32_e32 v1, v1, v5, vcc
	v_cndmask_b32_e32 v0, v0, v26, vcc
	v_lshlrev_b32_e32 v4, 16, v22
	v_bfrev_b32_e32 v5, 60
	v_lshlrev_b32_e32 v0, 20, v0
	v_and_b32_e32 v4, 0x80000000, v4
	v_lshl_add_u32 v1, v1, 23, v5
	v_or3_b32 v1, v4, v1, v0
.LBB2_169:                              ;   in Loop: Header=BB2_124 Depth=2
	s_or_b64 exec, exec, s[62:63]
.LBB2_170:                              ;   in Loop: Header=BB2_124 Depth=2
	s_or_b64 exec, exec, s[60:61]
.LBB2_171:                              ;   in Loop: Header=BB2_124 Depth=2
	s_or_b64 exec, exec, s[24:25]
	v_cmp_ne_u16_e32 vcc, 0, v2
	s_and_saveexec_b64 s[24:25], vcc
	s_cbranch_execz .LBB2_177
; %bb.172:                              ;   in Loop: Header=BB2_124 Depth=2
	v_cmp_ne_u16_e32 vcc, s74, v2
	v_bfrev_b32_e32 v3, 1
	s_and_saveexec_b64 s[60:61], vcc
	s_cbranch_execz .LBB2_176
; %bb.173:                              ;   in Loop: Header=BB2_124 Depth=2
	v_and_b32_e32 v4, 0x7f, v2
	v_cmp_ne_u32_e32 vcc, s75, v4
	v_mov_b32_e32 v3, 0x7f800001
	s_and_saveexec_b64 s[62:63], vcc
	s_cbranch_execz .LBB2_175
; %bb.174:                              ;   in Loop: Header=BB2_124 Depth=2
	v_and_b32_e32 v0, 7, v2
	v_ffbh_u32_e32 v5, v0
	v_min_u32_e32 v5, 32, v5
	v_lshrrev_b32_e32 v3, 3, v4
	v_subrev_u32_e32 v26, 28, v5
	v_lshlrev_b64 v[26:27], v26, v[2:3]
	v_sub_u32_e32 v5, 29, v5
	v_and_b32_e32 v26, 7, v26
	v_cmp_gt_u32_e32 vcc, 8, v4
	v_cndmask_b32_e32 v3, v3, v5, vcc
	v_cndmask_b32_e32 v0, v0, v26, vcc
	v_lshlrev_b32_e32 v4, 16, v18
	v_bfrev_b32_e32 v5, 60
	v_lshlrev_b32_e32 v0, 20, v0
	v_and_b32_e32 v4, 0x80000000, v4
	v_lshl_add_u32 v3, v3, 23, v5
	v_or3_b32 v3, v4, v3, v0
.LBB2_175:                              ;   in Loop: Header=BB2_124 Depth=2
	s_or_b64 exec, exec, s[62:63]
.LBB2_176:                              ;   in Loop: Header=BB2_124 Depth=2
	s_or_b64 exec, exec, s[60:61]
.LBB2_177:                              ;   in Loop: Header=BB2_124 Depth=2
	s_or_b64 exec, exec, s[24:25]
	v_max_f32_e32 v0, v3, v3
	v_max_f32_e32 v1, v1, v1
	;; [unrolled: 1-line block ×3, first 2 shown]
	s_branch .LBB2_192
.LBB2_178:                              ;   in Loop: Header=BB2_124 Depth=2
                                        ; implicit-def: $vgpr3
	s_cbranch_execz .LBB2_192
; %bb.179:                              ;   in Loop: Header=BB2_124 Depth=2
	v_mov_b32_e32 v3, 0
	v_mov_b32_e32 v1, 0
	s_and_saveexec_b64 s[24:25], s[22:23]
	s_cbranch_execz .LBB2_185
; %bb.180:                              ;   in Loop: Header=BB2_124 Depth=2
	v_cmp_ne_u16_e32 vcc, s74, v28
	v_bfrev_b32_e32 v1, 1
	s_and_saveexec_b64 s[22:23], vcc
	s_cbranch_execz .LBB2_184
; %bb.181:                              ;   in Loop: Header=BB2_124 Depth=2
	v_and_b32_e32 v4, 0x7f, v28
	v_cmp_ne_u32_e32 vcc, s75, v4
	v_mov_b32_e32 v1, 0x7f800001
	s_and_saveexec_b64 s[60:61], vcc
	s_cbranch_execz .LBB2_183
; %bb.182:                              ;   in Loop: Header=BB2_124 Depth=2
	v_and_b32_e32 v0, 7, v28
	v_ffbh_u32_e32 v5, v0
	v_min_u32_e32 v5, 32, v5
	v_subrev_u32_e32 v26, 28, v5
	v_lshlrev_b64 v[26:27], v26, v[28:29]
	v_lshrrev_b32_e32 v1, 3, v4
	v_sub_u32_e32 v5, 29, v5
	v_and_b32_e32 v26, 7, v26
	v_cmp_gt_u32_e32 vcc, 8, v4
	v_cndmask_b32_e32 v1, v1, v5, vcc
	v_cndmask_b32_e32 v0, v0, v26, vcc
	v_lshlrev_b32_e32 v4, 16, v22
	v_bfrev_b32_e32 v5, 60
	v_lshlrev_b32_e32 v0, 20, v0
	v_and_b32_e32 v4, 0x80000000, v4
	v_lshl_add_u32 v1, v1, 23, v5
	v_or3_b32 v1, v4, v1, v0
.LBB2_183:                              ;   in Loop: Header=BB2_124 Depth=2
	s_or_b64 exec, exec, s[60:61]
.LBB2_184:                              ;   in Loop: Header=BB2_124 Depth=2
	s_or_b64 exec, exec, s[22:23]
.LBB2_185:                              ;   in Loop: Header=BB2_124 Depth=2
	s_or_b64 exec, exec, s[24:25]
	v_cmp_ne_u16_e32 vcc, 0, v2
	s_and_saveexec_b64 s[22:23], vcc
	s_cbranch_execz .LBB2_191
; %bb.186:                              ;   in Loop: Header=BB2_124 Depth=2
	v_cmp_ne_u16_e32 vcc, s74, v2
	v_bfrev_b32_e32 v3, 1
	s_and_saveexec_b64 s[24:25], vcc
	s_cbranch_execz .LBB2_190
; %bb.187:                              ;   in Loop: Header=BB2_124 Depth=2
	v_and_b32_e32 v4, 0x7f, v2
	v_cmp_ne_u32_e32 vcc, s75, v4
	v_mov_b32_e32 v3, 0x7f800001
	s_and_saveexec_b64 s[60:61], vcc
	s_cbranch_execz .LBB2_189
; %bb.188:                              ;   in Loop: Header=BB2_124 Depth=2
	v_and_b32_e32 v0, 7, v2
	v_ffbh_u32_e32 v3, v0
	v_min_u32_e32 v26, 32, v3
	v_subrev_u32_e32 v3, 28, v26
	v_lshlrev_b64 v[2:3], v3, v[2:3]
	v_lshrrev_b32_e32 v5, 3, v4
	v_sub_u32_e32 v3, 29, v26
	v_and_b32_e32 v2, 7, v2
	v_cmp_gt_u32_e32 vcc, 8, v4
	v_cndmask_b32_e32 v3, v5, v3, vcc
	v_cndmask_b32_e32 v0, v0, v2, vcc
	v_lshlrev_b32_e32 v2, 16, v18
	v_bfrev_b32_e32 v4, 60
	v_lshlrev_b32_e32 v0, 20, v0
	v_and_b32_e32 v2, 0x80000000, v2
	v_lshl_add_u32 v3, v3, 23, v4
	v_or3_b32 v3, v2, v3, v0
.LBB2_189:                              ;   in Loop: Header=BB2_124 Depth=2
	s_or_b64 exec, exec, s[60:61]
.LBB2_190:                              ;   in Loop: Header=BB2_124 Depth=2
	s_or_b64 exec, exec, s[24:25]
.LBB2_191:                              ;   in Loop: Header=BB2_124 Depth=2
	s_or_b64 exec, exec, s[22:23]
	v_max_f32_e32 v0, v3, v3
	v_max_f32_e32 v1, v1, v1
	v_min_f32_e32 v3, v1, v0
.LBB2_192:                              ;   in Loop: Header=BB2_124 Depth=2
	v_and_b32_sdwa v1, v3, s74 dst_sel:DWORD dst_unused:UNUSED_PAD src0_sel:BYTE_3 src1_sel:DWORD
	v_and_b32_e32 v4, 0x7f800000, v3
	v_mov_b32_e32 v5, v55
	v_and_b32_e32 v54, 0x7fffff, v3
	v_or_b32_e32 v0, 0x7e, v1
	v_cmp_ne_u64_e32 vcc, s[44:45], v[4:5]
	s_and_saveexec_b64 s[22:23], vcc
	s_xor_b64 s[24:25], exec, s[22:23]
	s_cbranch_execz .LBB2_202
; %bb.193:                              ;   in Loop: Header=BB2_124 Depth=2
	v_and_b32_e32 v4, 0x7fffffff, v3
	v_mov_b32_e32 v5, v55
	v_cmp_gt_u64_e32 vcc, s[46:47], v[4:5]
	s_and_saveexec_b64 s[60:61], vcc
	s_cbranch_execz .LBB2_201
; %bb.194:                              ;   in Loop: Header=BB2_124 Depth=2
	v_cmp_ne_u32_e32 vcc, 0, v3
	v_mov_b32_e32 v0, 0
	s_and_saveexec_b64 s[62:63], vcc
	s_cbranch_execz .LBB2_200
; %bb.195:                              ;   in Loop: Header=BB2_124 Depth=2
	v_bfe_u32 v0, v3, 23, 8
	v_sub_u32_e32 v3, 0x79, v0
	v_cmp_gt_u32_e32 vcc, s77, v0
	v_add_u32_e32 v2, 0xffffff81, v0
	v_cndmask_b32_e32 v3, 0, v3, vcc
	v_cmp_eq_u32_e32 vcc, 0, v0
	v_mov_b32_e32 v0, 0xffffff82
	v_cndmask_b32_e32 v0, v2, v0, vcc
	v_mov_b32_e32 v2, 0x78
	v_or_b32_e32 v4, 0x800000, v54
	v_cndmask_b32_e32 v5, v3, v2, vcc
	v_cndmask_b32_e32 v54, v4, v54, vcc
	v_add_u32_e32 v2, 20, v5
	v_lshlrev_b64 v[2:3], v2, -1
	v_add_u32_e32 v4, 19, v5
	v_lshrrev_b64 v[30:31], v5, v[54:55]
	v_not_b32_e32 v3, v3
	v_not_b32_e32 v2, v2
	v_lshlrev_b64 v[28:29], v4, 1
	v_lshrrev_b32_e32 v4, 23, v30
	v_and_b32_e32 v3, 0, v3
	v_and_b32_e32 v2, v54, v2
	v_add3_u32 v26, v5, v0, v4
	v_bfe_u32 v0, v30, 20, 1
	v_add_u32_e32 v0, -1, v0
	v_cmp_eq_u64_e32 vcc, v[2:3], v[28:29]
	v_cndmask_b32_e32 v0, 0, v0, vcc
	v_add_u32_e32 v0, v0, v30
	v_and_b32_e32 v0, 0xfffff, v0
	v_add_co_u32_e32 v2, vcc, v0, v30
	v_add_u32_e32 v5, 6, v26
	v_addc_co_u32_e32 v3, vcc, 0, v31, vcc
	v_cmp_ne_u32_e32 vcc, 0, v5
                                        ; implicit-def: $vgpr4
	s_and_saveexec_b64 s[22:23], vcc
	s_xor_b64 s[22:23], exec, s[22:23]
; %bb.196:                              ;   in Loop: Header=BB2_124 Depth=2
	v_add_u32_e32 v0, 7, v26
	v_cmp_lt_u64_e32 vcc, s[50:51], v[2:3]
	v_cndmask_b32_e32 v4, v5, v0, vcc
	v_cndmask_b32_e64 v0, 0, 1, vcc
	v_lshrrev_b64 v[2:3], v0, v[2:3]
; %bb.197:                              ;   in Loop: Header=BB2_124 Depth=2
	s_andn2_saveexec_b64 s[22:23], s[22:23]
; %bb.198:                              ;   in Loop: Header=BB2_124 Depth=2
	v_bfe_u32 v4, v2, 23, 1
; %bb.199:                              ;   in Loop: Header=BB2_124 Depth=2
	s_or_b64 exec, exec, s[22:23]
	v_lshrrev_b64 v[2:3], 20, v[2:3]
	v_cmp_gt_i32_e32 vcc, 16, v4
	v_cndmask_b32_e32 v3, 0, v3, vcc
	v_cndmask_b32_e32 v2, 7, v2, vcc
	v_min_i32_e32 v0, 15, v4
	v_cmp_eq_u32_e32 vcc, 0, v4
	v_cmp_eq_u64_e64 s[22:23], 0, v[2:3]
	v_lshlrev_b32_e32 v0, 3, v0
	v_and_or_b32 v0, v2, 7, v0
	s_and_b64 s[22:23], vcc, s[22:23]
	v_cndmask_b32_e64 v0, v0, 0, s[22:23]
	v_or_b32_e32 v0, v0, v1
.LBB2_200:                              ;   in Loop: Header=BB2_124 Depth=2
	s_or_b64 exec, exec, s[62:63]
.LBB2_201:                              ;   in Loop: Header=BB2_124 Depth=2
	s_or_b64 exec, exec, s[60:61]
                                        ; implicit-def: $vgpr3
.LBB2_202:                              ;   in Loop: Header=BB2_124 Depth=2
	s_andn2_saveexec_b64 s[22:23], s[24:25]
; %bb.203:                              ;   in Loop: Header=BB2_124 Depth=2
	v_or_b32_sdwa v1, v3, s75 dst_sel:DWORD dst_unused:UNUSED_PAD src0_sel:BYTE_3 src1_sel:DWORD
	v_cmp_eq_u64_e32 vcc, 0, v[54:55]
	v_cndmask_b32_e32 v0, v1, v0, vcc
; %bb.204:                              ;   in Loop: Header=BB2_124 Depth=2
	s_or_b64 exec, exec, s[22:23]
	v_lshrrev_b32_e32 v28, 16, v22
	v_lshrrev_b32_e32 v2, 16, v18
	v_cmp_ne_u16_sdwa s[22:23], v28, v55 src0_sel:BYTE_0 src1_sel:DWORD
	s_and_b64 vcc, exec, s[58:59]
	s_cbranch_vccz .LBB2_218
; %bb.205:                              ;   in Loop: Header=BB2_124 Depth=2
	v_mov_b32_e32 v3, 0
	v_mov_b32_e32 v1, 0
	s_and_saveexec_b64 s[24:25], s[22:23]
	s_cbranch_execz .LBB2_211
; %bb.206:                              ;   in Loop: Header=BB2_124 Depth=2
	v_cmp_ne_u16_sdwa vcc, v28, s74 src0_sel:BYTE_0 src1_sel:DWORD
	v_bfrev_b32_e32 v1, 1
	s_and_saveexec_b64 s[60:61], vcc
	s_cbranch_execz .LBB2_210
; %bb.207:                              ;   in Loop: Header=BB2_124 Depth=2
	v_bfe_u32 v4, v22, 16, 7
	v_cmp_ne_u32_e32 vcc, s75, v4
	v_mov_b32_e32 v1, 0x7f800001
	s_and_saveexec_b64 s[62:63], vcc
	s_cbranch_execz .LBB2_209
; %bb.208:                              ;   in Loop: Header=BB2_124 Depth=2
	v_and_b32_e32 v1, 7, v28
	v_ffbh_u32_e32 v26, v1
	v_min_u32_e32 v29, 32, v26
	v_subrev_u32_e32 v26, 28, v29
	v_lshlrev_b64 v[26:27], v26, v[28:29]
	v_lshrrev_b32_e32 v5, 3, v4
	v_sub_u32_e32 v27, 29, v29
	v_and_b32_e32 v26, 7, v26
	v_cmp_gt_u32_e32 vcc, 8, v4
	v_cndmask_b32_e32 v4, v5, v27, vcc
	v_cndmask_b32_e32 v1, v1, v26, vcc
	v_lshlrev_b32_e32 v5, 24, v28
	v_bfrev_b32_e32 v26, 60
	v_lshlrev_b32_e32 v1, 20, v1
	v_and_b32_e32 v5, 0x80000000, v5
	v_lshl_add_u32 v4, v4, 23, v26
	v_or3_b32 v1, v5, v4, v1
.LBB2_209:                              ;   in Loop: Header=BB2_124 Depth=2
	s_or_b64 exec, exec, s[62:63]
.LBB2_210:                              ;   in Loop: Header=BB2_124 Depth=2
	s_or_b64 exec, exec, s[60:61]
.LBB2_211:                              ;   in Loop: Header=BB2_124 Depth=2
	s_or_b64 exec, exec, s[24:25]
	v_cmp_ne_u16_sdwa vcc, v2, v55 src0_sel:BYTE_0 src1_sel:DWORD
	s_and_saveexec_b64 s[24:25], vcc
	s_cbranch_execz .LBB2_217
; %bb.212:                              ;   in Loop: Header=BB2_124 Depth=2
	v_cmp_ne_u16_sdwa vcc, v2, s74 src0_sel:BYTE_0 src1_sel:DWORD
	v_bfrev_b32_e32 v3, 1
	s_and_saveexec_b64 s[60:61], vcc
	s_cbranch_execz .LBB2_216
; %bb.213:                              ;   in Loop: Header=BB2_124 Depth=2
	v_bfe_u32 v4, v18, 16, 7
	v_cmp_ne_u32_e32 vcc, s75, v4
	v_mov_b32_e32 v3, 0x7f800001
	s_and_saveexec_b64 s[62:63], vcc
	s_cbranch_execz .LBB2_215
; %bb.214:                              ;   in Loop: Header=BB2_124 Depth=2
	v_and_b32_e32 v3, 7, v2
	v_ffbh_u32_e32 v26, v3
	v_min_u32_e32 v29, 32, v26
	v_subrev_u32_e32 v26, 28, v29
	v_lshlrev_b64 v[26:27], v26, v[2:3]
	v_lshrrev_b32_e32 v5, 3, v4
	v_sub_u32_e32 v27, 29, v29
	v_and_b32_e32 v26, 7, v26
	v_cmp_gt_u32_e32 vcc, 8, v4
	v_cndmask_b32_e32 v4, v5, v27, vcc
	v_cndmask_b32_e32 v3, v3, v26, vcc
	v_lshlrev_b32_e32 v5, 24, v2
	v_bfrev_b32_e32 v26, 60
	v_lshlrev_b32_e32 v3, 20, v3
	v_and_b32_e32 v5, 0x80000000, v5
	v_lshl_add_u32 v4, v4, 23, v26
	v_or3_b32 v3, v5, v4, v3
.LBB2_215:                              ;   in Loop: Header=BB2_124 Depth=2
	s_or_b64 exec, exec, s[62:63]
.LBB2_216:                              ;   in Loop: Header=BB2_124 Depth=2
	s_or_b64 exec, exec, s[60:61]
.LBB2_217:                              ;   in Loop: Header=BB2_124 Depth=2
	s_or_b64 exec, exec, s[24:25]
	v_max_f32_e32 v3, v3, v3
	v_max_f32_e32 v1, v1, v1
	;; [unrolled: 1-line block ×3, first 2 shown]
	s_branch .LBB2_232
.LBB2_218:                              ;   in Loop: Header=BB2_124 Depth=2
                                        ; implicit-def: $vgpr3
	s_cbranch_execz .LBB2_232
; %bb.219:                              ;   in Loop: Header=BB2_124 Depth=2
	v_mov_b32_e32 v3, 0
	v_mov_b32_e32 v1, 0
	s_and_saveexec_b64 s[24:25], s[22:23]
	s_cbranch_execz .LBB2_225
; %bb.220:                              ;   in Loop: Header=BB2_124 Depth=2
	v_cmp_ne_u16_sdwa vcc, v28, s74 src0_sel:BYTE_0 src1_sel:DWORD
	v_bfrev_b32_e32 v1, 1
	s_and_saveexec_b64 s[22:23], vcc
	s_cbranch_execz .LBB2_224
; %bb.221:                              ;   in Loop: Header=BB2_124 Depth=2
	v_bfe_u32 v4, v22, 16, 7
	v_cmp_ne_u32_e32 vcc, s75, v4
	v_mov_b32_e32 v1, 0x7f800001
	s_and_saveexec_b64 s[60:61], vcc
	s_cbranch_execz .LBB2_223
; %bb.222:                              ;   in Loop: Header=BB2_124 Depth=2
	v_and_b32_e32 v1, 7, v28
	v_ffbh_u32_e32 v26, v1
	v_min_u32_e32 v29, 32, v26
	v_subrev_u32_e32 v26, 28, v29
	v_lshlrev_b64 v[26:27], v26, v[28:29]
	v_lshrrev_b32_e32 v5, 3, v4
	v_sub_u32_e32 v27, 29, v29
	v_and_b32_e32 v26, 7, v26
	v_cmp_gt_u32_e32 vcc, 8, v4
	v_cndmask_b32_e32 v4, v5, v27, vcc
	v_cndmask_b32_e32 v1, v1, v26, vcc
	v_lshlrev_b32_e32 v5, 24, v28
	v_bfrev_b32_e32 v26, 60
	v_lshlrev_b32_e32 v1, 20, v1
	v_and_b32_e32 v5, 0x80000000, v5
	v_lshl_add_u32 v4, v4, 23, v26
	v_or3_b32 v1, v5, v4, v1
.LBB2_223:                              ;   in Loop: Header=BB2_124 Depth=2
	s_or_b64 exec, exec, s[60:61]
.LBB2_224:                              ;   in Loop: Header=BB2_124 Depth=2
	s_or_b64 exec, exec, s[22:23]
.LBB2_225:                              ;   in Loop: Header=BB2_124 Depth=2
	s_or_b64 exec, exec, s[24:25]
	v_cmp_ne_u16_sdwa s[24:25], v2, v55 src0_sel:BYTE_0 src1_sel:DWORD
	s_and_saveexec_b64 s[22:23], s[24:25]
	s_cbranch_execz .LBB2_231
; %bb.226:                              ;   in Loop: Header=BB2_124 Depth=2
	v_cmp_ne_u16_sdwa vcc, v2, s74 src0_sel:BYTE_0 src1_sel:DWORD
	v_bfrev_b32_e32 v3, 1
	s_and_saveexec_b64 s[24:25], vcc
	s_cbranch_execz .LBB2_230
; %bb.227:                              ;   in Loop: Header=BB2_124 Depth=2
	v_bfe_u32 v4, v18, 16, 7
	v_cmp_ne_u32_e32 vcc, s75, v4
	v_mov_b32_e32 v3, 0x7f800001
	s_and_saveexec_b64 s[60:61], vcc
	s_cbranch_execz .LBB2_229
; %bb.228:                              ;   in Loop: Header=BB2_124 Depth=2
	v_and_b32_e32 v3, 7, v2
	v_ffbh_u32_e32 v26, v3
	v_min_u32_e32 v28, 32, v26
	v_subrev_u32_e32 v26, 28, v28
	v_lshlrev_b64 v[26:27], v26, v[2:3]
	v_lshrrev_b32_e32 v5, 3, v4
	v_sub_u32_e32 v27, 29, v28
	v_and_b32_e32 v26, 7, v26
	v_cmp_gt_u32_e32 vcc, 8, v4
	v_cndmask_b32_e32 v4, v5, v27, vcc
	v_cndmask_b32_e32 v3, v3, v26, vcc
	v_lshlrev_b32_e32 v2, 24, v2
	v_bfrev_b32_e32 v5, 60
	v_lshlrev_b32_e32 v3, 20, v3
	v_and_b32_e32 v2, 0x80000000, v2
	v_lshl_add_u32 v4, v4, 23, v5
	v_or3_b32 v3, v2, v4, v3
.LBB2_229:                              ;   in Loop: Header=BB2_124 Depth=2
	s_or_b64 exec, exec, s[60:61]
.LBB2_230:                              ;   in Loop: Header=BB2_124 Depth=2
	s_or_b64 exec, exec, s[24:25]
.LBB2_231:                              ;   in Loop: Header=BB2_124 Depth=2
	s_or_b64 exec, exec, s[22:23]
	v_max_f32_e32 v2, v3, v3
	v_max_f32_e32 v1, v1, v1
	v_min_f32_e32 v3, v1, v2
.LBB2_232:                              ;   in Loop: Header=BB2_124 Depth=2
	v_and_b32_sdwa v1, v3, s74 dst_sel:DWORD dst_unused:UNUSED_PAD src0_sel:BYTE_3 src1_sel:DWORD
	v_and_b32_e32 v4, 0x7f800000, v3
	v_mov_b32_e32 v5, v55
	v_and_b32_e32 v54, 0x7fffff, v3
	v_or_b32_e32 v47, 0x7e, v1
	v_cmp_ne_u64_e32 vcc, s[44:45], v[4:5]
	s_and_saveexec_b64 s[22:23], vcc
	s_xor_b64 s[24:25], exec, s[22:23]
	s_cbranch_execz .LBB2_242
; %bb.233:                              ;   in Loop: Header=BB2_124 Depth=2
	v_and_b32_e32 v4, 0x7fffffff, v3
	v_mov_b32_e32 v5, v55
	v_cmp_gt_u64_e32 vcc, s[46:47], v[4:5]
	s_and_saveexec_b64 s[60:61], vcc
	s_cbranch_execz .LBB2_241
; %bb.234:                              ;   in Loop: Header=BB2_124 Depth=2
	v_cmp_ne_u32_e32 vcc, 0, v3
	v_mov_b32_e32 v47, 0
	s_and_saveexec_b64 s[62:63], vcc
	s_cbranch_execz .LBB2_240
; %bb.235:                              ;   in Loop: Header=BB2_124 Depth=2
	v_bfe_u32 v2, v3, 23, 8
	v_sub_u32_e32 v4, 0x79, v2
	v_cmp_gt_u32_e32 vcc, s77, v2
	v_add_u32_e32 v3, 0xffffff81, v2
	v_cndmask_b32_e32 v4, 0, v4, vcc
	v_cmp_eq_u32_e32 vcc, 0, v2
	v_mov_b32_e32 v2, 0xffffff82
	v_cndmask_b32_e32 v26, v3, v2, vcc
	v_mov_b32_e32 v2, 0x78
	v_or_b32_e32 v5, 0x800000, v54
	v_cndmask_b32_e32 v4, v4, v2, vcc
	v_cndmask_b32_e32 v54, v5, v54, vcc
	v_add_u32_e32 v2, 20, v4
	v_lshlrev_b64 v[2:3], v2, -1
	v_add_u32_e32 v5, 19, v4
	v_lshrrev_b64 v[30:31], v4, v[54:55]
	v_not_b32_e32 v3, v3
	v_not_b32_e32 v2, v2
	v_lshlrev_b64 v[28:29], v5, 1
	v_lshrrev_b32_e32 v5, 23, v30
	v_and_b32_e32 v3, 0, v3
	v_and_b32_e32 v2, v54, v2
	v_add3_u32 v26, v4, v26, v5
	v_bfe_u32 v4, v30, 20, 1
	v_add_u32_e32 v4, -1, v4
	v_cmp_eq_u64_e32 vcc, v[2:3], v[28:29]
	v_cndmask_b32_e32 v2, 0, v4, vcc
	v_add_u32_e32 v2, v2, v30
	v_and_b32_e32 v2, 0xfffff, v2
	v_add_co_u32_e32 v2, vcc, v2, v30
	v_add_u32_e32 v5, 6, v26
	v_addc_co_u32_e32 v3, vcc, 0, v31, vcc
	v_cmp_ne_u32_e32 vcc, 0, v5
                                        ; implicit-def: $vgpr4
	s_and_saveexec_b64 s[22:23], vcc
	s_xor_b64 s[22:23], exec, s[22:23]
; %bb.236:                              ;   in Loop: Header=BB2_124 Depth=2
	v_add_u32_e32 v4, 7, v26
	v_cmp_lt_u64_e32 vcc, s[50:51], v[2:3]
	v_cndmask_b32_e32 v4, v5, v4, vcc
	v_cndmask_b32_e64 v5, 0, 1, vcc
	v_lshrrev_b64 v[2:3], v5, v[2:3]
; %bb.237:                              ;   in Loop: Header=BB2_124 Depth=2
	s_andn2_saveexec_b64 s[22:23], s[22:23]
; %bb.238:                              ;   in Loop: Header=BB2_124 Depth=2
	v_bfe_u32 v4, v2, 23, 1
; %bb.239:                              ;   in Loop: Header=BB2_124 Depth=2
	s_or_b64 exec, exec, s[22:23]
	v_lshrrev_b64 v[2:3], 20, v[2:3]
	v_cmp_gt_i32_e32 vcc, 16, v4
	v_cndmask_b32_e32 v3, 0, v3, vcc
	v_cndmask_b32_e32 v2, 7, v2, vcc
	v_cmp_eq_u64_e64 s[22:23], 0, v[2:3]
	v_min_i32_e32 v3, 15, v4
	v_cmp_eq_u32_e32 vcc, 0, v4
	v_lshlrev_b32_e32 v3, 3, v3
	v_and_or_b32 v2, v2, 7, v3
	s_and_b64 s[22:23], vcc, s[22:23]
	v_cndmask_b32_e64 v2, v2, 0, s[22:23]
	v_or_b32_e32 v47, v2, v1
.LBB2_240:                              ;   in Loop: Header=BB2_124 Depth=2
	s_or_b64 exec, exec, s[62:63]
.LBB2_241:                              ;   in Loop: Header=BB2_124 Depth=2
	s_or_b64 exec, exec, s[60:61]
                                        ; implicit-def: $vgpr3
.LBB2_242:                              ;   in Loop: Header=BB2_124 Depth=2
	s_andn2_saveexec_b64 s[22:23], s[24:25]
; %bb.243:                              ;   in Loop: Header=BB2_124 Depth=2
	v_or_b32_sdwa v1, v3, s75 dst_sel:DWORD dst_unused:UNUSED_PAD src0_sel:BYTE_3 src1_sel:DWORD
	v_cmp_eq_u64_e32 vcc, 0, v[54:55]
	v_cndmask_b32_e32 v47, v1, v47, vcc
; %bb.244:                              ;   in Loop: Header=BB2_124 Depth=2
	s_or_b64 exec, exec, s[22:23]
	v_lshrrev_b32_e32 v28, 24, v22
	v_lshrrev_b32_e32 v2, 24, v18
	v_cmp_lt_u32_e64 s[22:23], s49, v22
	s_and_b64 vcc, exec, s[58:59]
	s_cbranch_vccz .LBB2_258
; %bb.245:                              ;   in Loop: Header=BB2_124 Depth=2
	v_mov_b32_e32 v3, 0
	v_mov_b32_e32 v1, 0
	s_and_saveexec_b64 s[24:25], s[22:23]
	s_cbranch_execz .LBB2_251
; %bb.246:                              ;   in Loop: Header=BB2_124 Depth=2
	v_cmp_ne_u32_e32 vcc, s74, v28
	v_bfrev_b32_e32 v1, 1
	s_and_saveexec_b64 s[60:61], vcc
	s_cbranch_execz .LBB2_250
; %bb.247:                              ;   in Loop: Header=BB2_124 Depth=2
	v_bfe_u32 v4, v22, 24, 7
	v_cmp_ne_u32_e32 vcc, s75, v4
	v_mov_b32_e32 v1, 0x7f800001
	s_and_saveexec_b64 s[62:63], vcc
	s_cbranch_execz .LBB2_249
; %bb.248:                              ;   in Loop: Header=BB2_124 Depth=2
	v_and_b32_e32 v1, 7, v28
	v_ffbh_u32_e32 v26, v1
	v_min_u32_e32 v29, 32, v26
	v_subrev_u32_e32 v26, 28, v29
	v_lshlrev_b64 v[26:27], v26, v[28:29]
	v_lshrrev_b32_e32 v5, 3, v4
	v_sub_u32_e32 v27, 29, v29
	v_and_b32_e32 v26, 7, v26
	v_cmp_gt_u32_e32 vcc, 8, v4
	v_cndmask_b32_e32 v4, v5, v27, vcc
	v_cndmask_b32_e32 v1, v1, v26, vcc
	v_lshlrev_b32_e32 v5, 24, v28
	v_bfrev_b32_e32 v26, 60
	v_lshlrev_b32_e32 v1, 20, v1
	v_and_b32_e32 v5, 0x80000000, v5
	v_lshl_add_u32 v4, v4, 23, v26
	v_or3_b32 v1, v5, v4, v1
.LBB2_249:                              ;   in Loop: Header=BB2_124 Depth=2
	s_or_b64 exec, exec, s[62:63]
.LBB2_250:                              ;   in Loop: Header=BB2_124 Depth=2
	s_or_b64 exec, exec, s[60:61]
.LBB2_251:                              ;   in Loop: Header=BB2_124 Depth=2
	s_or_b64 exec, exec, s[24:25]
	v_cmp_lt_u32_e32 vcc, s49, v18
	s_and_saveexec_b64 s[24:25], vcc
	s_cbranch_execz .LBB2_257
; %bb.252:                              ;   in Loop: Header=BB2_124 Depth=2
	v_cmp_ne_u32_e32 vcc, s74, v2
	v_bfrev_b32_e32 v3, 1
	s_and_saveexec_b64 s[60:61], vcc
	s_cbranch_execz .LBB2_256
; %bb.253:                              ;   in Loop: Header=BB2_124 Depth=2
	v_bfe_u32 v4, v18, 24, 7
	v_cmp_ne_u32_e32 vcc, s75, v4
	v_mov_b32_e32 v3, 0x7f800001
	s_and_saveexec_b64 s[62:63], vcc
	s_cbranch_execz .LBB2_255
; %bb.254:                              ;   in Loop: Header=BB2_124 Depth=2
	v_and_b32_e32 v3, 7, v2
	v_ffbh_u32_e32 v26, v3
	v_min_u32_e32 v29, 32, v26
	v_subrev_u32_e32 v26, 28, v29
	v_lshlrev_b64 v[26:27], v26, v[2:3]
	v_lshrrev_b32_e32 v5, 3, v4
	v_sub_u32_e32 v27, 29, v29
	v_and_b32_e32 v26, 7, v26
	v_cmp_gt_u32_e32 vcc, 8, v4
	v_cndmask_b32_e32 v4, v5, v27, vcc
	v_cndmask_b32_e32 v3, v3, v26, vcc
	v_lshlrev_b32_e32 v5, 24, v2
	v_bfrev_b32_e32 v26, 60
	v_lshlrev_b32_e32 v3, 20, v3
	v_and_b32_e32 v5, 0x80000000, v5
	v_lshl_add_u32 v4, v4, 23, v26
	v_or3_b32 v3, v5, v4, v3
.LBB2_255:                              ;   in Loop: Header=BB2_124 Depth=2
	s_or_b64 exec, exec, s[62:63]
.LBB2_256:                              ;   in Loop: Header=BB2_124 Depth=2
	s_or_b64 exec, exec, s[60:61]
.LBB2_257:                              ;   in Loop: Header=BB2_124 Depth=2
	s_or_b64 exec, exec, s[24:25]
	v_max_f32_e32 v3, v3, v3
	v_max_f32_e32 v1, v1, v1
	;; [unrolled: 1-line block ×3, first 2 shown]
	s_branch .LBB2_272
.LBB2_258:                              ;   in Loop: Header=BB2_124 Depth=2
                                        ; implicit-def: $vgpr3
	s_cbranch_execz .LBB2_272
; %bb.259:                              ;   in Loop: Header=BB2_124 Depth=2
	v_mov_b32_e32 v3, 0
	v_mov_b32_e32 v1, 0
	s_and_saveexec_b64 s[24:25], s[22:23]
	s_cbranch_execz .LBB2_265
; %bb.260:                              ;   in Loop: Header=BB2_124 Depth=2
	v_cmp_ne_u32_e32 vcc, s74, v28
	v_bfrev_b32_e32 v1, 1
	s_and_saveexec_b64 s[22:23], vcc
	s_cbranch_execz .LBB2_264
; %bb.261:                              ;   in Loop: Header=BB2_124 Depth=2
	v_bfe_u32 v4, v22, 24, 7
	v_cmp_ne_u32_e32 vcc, s75, v4
	v_mov_b32_e32 v1, 0x7f800001
	s_and_saveexec_b64 s[60:61], vcc
	s_cbranch_execz .LBB2_263
; %bb.262:                              ;   in Loop: Header=BB2_124 Depth=2
	v_and_b32_e32 v1, 7, v28
	v_ffbh_u32_e32 v26, v1
	v_min_u32_e32 v29, 32, v26
	v_subrev_u32_e32 v26, 28, v29
	v_lshlrev_b64 v[26:27], v26, v[28:29]
	v_lshrrev_b32_e32 v5, 3, v4
	v_sub_u32_e32 v27, 29, v29
	v_and_b32_e32 v26, 7, v26
	v_cmp_gt_u32_e32 vcc, 8, v4
	v_cndmask_b32_e32 v4, v5, v27, vcc
	v_cndmask_b32_e32 v1, v1, v26, vcc
	v_lshlrev_b32_e32 v5, 24, v28
	v_bfrev_b32_e32 v26, 60
	v_lshlrev_b32_e32 v1, 20, v1
	v_and_b32_e32 v5, 0x80000000, v5
	v_lshl_add_u32 v4, v4, 23, v26
	v_or3_b32 v1, v5, v4, v1
.LBB2_263:                              ;   in Loop: Header=BB2_124 Depth=2
	s_or_b64 exec, exec, s[60:61]
.LBB2_264:                              ;   in Loop: Header=BB2_124 Depth=2
	s_or_b64 exec, exec, s[22:23]
.LBB2_265:                              ;   in Loop: Header=BB2_124 Depth=2
	s_or_b64 exec, exec, s[24:25]
	v_cmp_lt_u32_e32 vcc, s49, v18
	s_and_saveexec_b64 s[22:23], vcc
	s_cbranch_execz .LBB2_271
; %bb.266:                              ;   in Loop: Header=BB2_124 Depth=2
	v_cmp_ne_u32_e32 vcc, s74, v2
	v_bfrev_b32_e32 v3, 1
	s_and_saveexec_b64 s[24:25], vcc
	s_cbranch_execz .LBB2_270
; %bb.267:                              ;   in Loop: Header=BB2_124 Depth=2
	v_bfe_u32 v4, v18, 24, 7
	v_cmp_ne_u32_e32 vcc, s75, v4
	v_mov_b32_e32 v3, 0x7f800001
	s_and_saveexec_b64 s[60:61], vcc
	s_cbranch_execz .LBB2_269
; %bb.268:                              ;   in Loop: Header=BB2_124 Depth=2
	v_and_b32_e32 v3, 7, v2
	v_ffbh_u32_e32 v26, v3
	v_min_u32_e32 v28, 32, v26
	v_subrev_u32_e32 v26, 28, v28
	v_lshlrev_b64 v[26:27], v26, v[2:3]
	v_lshrrev_b32_e32 v5, 3, v4
	v_sub_u32_e32 v27, 29, v28
	v_and_b32_e32 v26, 7, v26
	v_cmp_gt_u32_e32 vcc, 8, v4
	v_cndmask_b32_e32 v4, v5, v27, vcc
	v_cndmask_b32_e32 v3, v3, v26, vcc
	v_lshlrev_b32_e32 v2, 24, v2
	v_bfrev_b32_e32 v5, 60
	v_lshlrev_b32_e32 v3, 20, v3
	v_and_b32_e32 v2, 0x80000000, v2
	v_lshl_add_u32 v4, v4, 23, v5
	v_or3_b32 v3, v2, v4, v3
.LBB2_269:                              ;   in Loop: Header=BB2_124 Depth=2
	s_or_b64 exec, exec, s[60:61]
.LBB2_270:                              ;   in Loop: Header=BB2_124 Depth=2
	s_or_b64 exec, exec, s[24:25]
.LBB2_271:                              ;   in Loop: Header=BB2_124 Depth=2
	s_or_b64 exec, exec, s[22:23]
	v_max_f32_e32 v2, v3, v3
	v_max_f32_e32 v1, v1, v1
	v_min_f32_e32 v3, v1, v2
.LBB2_272:                              ;   in Loop: Header=BB2_124 Depth=2
	v_and_b32_sdwa v1, v3, s74 dst_sel:DWORD dst_unused:UNUSED_PAD src0_sel:BYTE_3 src1_sel:DWORD
	v_and_b32_e32 v4, 0x7f800000, v3
	v_mov_b32_e32 v5, v55
	v_and_b32_e32 v54, 0x7fffff, v3
	v_or_b32_e32 v42, 0x7e, v1
	v_cmp_ne_u64_e32 vcc, s[44:45], v[4:5]
	s_and_saveexec_b64 s[22:23], vcc
	s_xor_b64 s[24:25], exec, s[22:23]
	s_cbranch_execz .LBB2_282
; %bb.273:                              ;   in Loop: Header=BB2_124 Depth=2
	v_and_b32_e32 v4, 0x7fffffff, v3
	v_mov_b32_e32 v5, v55
	v_cmp_gt_u64_e32 vcc, s[46:47], v[4:5]
	s_and_saveexec_b64 s[60:61], vcc
	s_cbranch_execz .LBB2_281
; %bb.274:                              ;   in Loop: Header=BB2_124 Depth=2
	v_cmp_ne_u32_e32 vcc, 0, v3
	v_mov_b32_e32 v42, 0
	s_and_saveexec_b64 s[62:63], vcc
	s_cbranch_execz .LBB2_280
; %bb.275:                              ;   in Loop: Header=BB2_124 Depth=2
	v_bfe_u32 v2, v3, 23, 8
	v_sub_u32_e32 v4, 0x79, v2
	v_cmp_gt_u32_e32 vcc, s77, v2
	v_add_u32_e32 v3, 0xffffff81, v2
	v_cndmask_b32_e32 v4, 0, v4, vcc
	v_cmp_eq_u32_e32 vcc, 0, v2
	v_mov_b32_e32 v2, 0xffffff82
	v_cndmask_b32_e32 v26, v3, v2, vcc
	v_mov_b32_e32 v2, 0x78
	v_or_b32_e32 v5, 0x800000, v54
	v_cndmask_b32_e32 v4, v4, v2, vcc
	v_cndmask_b32_e32 v54, v5, v54, vcc
	v_add_u32_e32 v2, 20, v4
	v_lshlrev_b64 v[2:3], v2, -1
	v_add_u32_e32 v5, 19, v4
	v_lshrrev_b64 v[30:31], v4, v[54:55]
	v_not_b32_e32 v3, v3
	v_not_b32_e32 v2, v2
	v_lshlrev_b64 v[28:29], v5, 1
	v_lshrrev_b32_e32 v5, 23, v30
	v_and_b32_e32 v3, 0, v3
	v_and_b32_e32 v2, v54, v2
	v_add3_u32 v26, v4, v26, v5
	v_bfe_u32 v4, v30, 20, 1
	v_add_u32_e32 v4, -1, v4
	v_cmp_eq_u64_e32 vcc, v[2:3], v[28:29]
	v_cndmask_b32_e32 v2, 0, v4, vcc
	v_add_u32_e32 v2, v2, v30
	v_and_b32_e32 v2, 0xfffff, v2
	v_add_co_u32_e32 v2, vcc, v2, v30
	v_add_u32_e32 v5, 6, v26
	v_addc_co_u32_e32 v3, vcc, 0, v31, vcc
	v_cmp_ne_u32_e32 vcc, 0, v5
                                        ; implicit-def: $vgpr4
	s_and_saveexec_b64 s[22:23], vcc
	s_xor_b64 s[22:23], exec, s[22:23]
; %bb.276:                              ;   in Loop: Header=BB2_124 Depth=2
	v_add_u32_e32 v4, 7, v26
	v_cmp_lt_u64_e32 vcc, s[50:51], v[2:3]
	v_cndmask_b32_e32 v4, v5, v4, vcc
	v_cndmask_b32_e64 v5, 0, 1, vcc
	v_lshrrev_b64 v[2:3], v5, v[2:3]
; %bb.277:                              ;   in Loop: Header=BB2_124 Depth=2
	s_andn2_saveexec_b64 s[22:23], s[22:23]
; %bb.278:                              ;   in Loop: Header=BB2_124 Depth=2
	v_bfe_u32 v4, v2, 23, 1
; %bb.279:                              ;   in Loop: Header=BB2_124 Depth=2
	s_or_b64 exec, exec, s[22:23]
	v_lshrrev_b64 v[2:3], 20, v[2:3]
	v_cmp_gt_i32_e32 vcc, 16, v4
	v_cndmask_b32_e32 v3, 0, v3, vcc
	v_cndmask_b32_e32 v2, 7, v2, vcc
	v_cmp_eq_u64_e64 s[22:23], 0, v[2:3]
	v_min_i32_e32 v3, 15, v4
	v_cmp_eq_u32_e32 vcc, 0, v4
	v_lshlrev_b32_e32 v3, 3, v3
	v_and_or_b32 v2, v2, 7, v3
	s_and_b64 s[22:23], vcc, s[22:23]
	v_cndmask_b32_e64 v2, v2, 0, s[22:23]
	v_or_b32_e32 v42, v2, v1
.LBB2_280:                              ;   in Loop: Header=BB2_124 Depth=2
	s_or_b64 exec, exec, s[62:63]
.LBB2_281:                              ;   in Loop: Header=BB2_124 Depth=2
	s_or_b64 exec, exec, s[60:61]
                                        ; implicit-def: $vgpr3
.LBB2_282:                              ;   in Loop: Header=BB2_124 Depth=2
	s_andn2_saveexec_b64 s[22:23], s[24:25]
; %bb.283:                              ;   in Loop: Header=BB2_124 Depth=2
	v_or_b32_sdwa v1, v3, s75 dst_sel:DWORD dst_unused:UNUSED_PAD src0_sel:BYTE_3 src1_sel:DWORD
	v_cmp_eq_u64_e32 vcc, 0, v[54:55]
	v_cndmask_b32_e32 v42, v1, v42, vcc
; %bb.284:                              ;   in Loop: Header=BB2_124 Depth=2
	s_or_b64 exec, exec, s[22:23]
	v_mov_b32_e32 v54, v23
	v_mov_b32_e32 v2, v19
	;; [unrolled: 1-line block ×3, first 2 shown]
	v_cmp_ne_u16_sdwa s[22:23], v23, v55 src0_sel:BYTE_0 src1_sel:DWORD
	s_and_b64 vcc, exec, s[58:59]
	s_cbranch_vccz .LBB2_298
; %bb.285:                              ;   in Loop: Header=BB2_124 Depth=2
	v_mov_b32_e32 v4, 0
	v_mov_b32_e32 v1, 0
	s_and_saveexec_b64 s[24:25], s[22:23]
	s_cbranch_execz .LBB2_291
; %bb.286:                              ;   in Loop: Header=BB2_124 Depth=2
	v_cmp_ne_u16_sdwa vcc, v23, s74 src0_sel:BYTE_0 src1_sel:DWORD
	v_bfrev_b32_e32 v1, 1
	s_and_saveexec_b64 s[60:61], vcc
	s_cbranch_execz .LBB2_290
; %bb.287:                              ;   in Loop: Header=BB2_124 Depth=2
	v_and_b32_e32 v5, 0x7f, v23
	v_cmp_ne_u32_e32 vcc, s75, v5
	v_mov_b32_e32 v1, 0x7f800001
	s_and_saveexec_b64 s[62:63], vcc
	s_cbranch_execz .LBB2_289
; %bb.288:                              ;   in Loop: Header=BB2_124 Depth=2
	v_and_b32_e32 v1, 7, v23
	v_ffbh_u32_e32 v1, v1
	v_min_u32_e32 v1, 32, v1
	v_subrev_u32_e32 v27, 28, v1
	v_cmp_gt_u32_e32 vcc, 8, v5
	v_lshrrev_b32_e32 v26, 3, v5
	v_sub_u32_e32 v1, 29, v1
	v_cndmask_b32_e32 v5, 0, v27, vcc
	v_cndmask_b32_e32 v1, v26, v1, vcc
	v_lshlrev_b64 v[26:27], v5, v[54:55]
	v_lshlrev_b32_e32 v5, 20, v26
	v_lshlrev_b32_e32 v26, 24, v54
	v_bfrev_b32_e32 v27, 60
	v_and_b32_e32 v5, 0x700000, v5
	v_and_b32_e32 v26, 0x80000000, v26
	v_lshl_add_u32 v1, v1, 23, v27
	v_or3_b32 v1, v26, v1, v5
.LBB2_289:                              ;   in Loop: Header=BB2_124 Depth=2
	s_or_b64 exec, exec, s[62:63]
.LBB2_290:                              ;   in Loop: Header=BB2_124 Depth=2
	s_or_b64 exec, exec, s[60:61]
.LBB2_291:                              ;   in Loop: Header=BB2_124 Depth=2
	s_or_b64 exec, exec, s[24:25]
	v_cmp_ne_u16_sdwa vcc, v19, v55 src0_sel:BYTE_0 src1_sel:DWORD
	s_and_saveexec_b64 s[24:25], vcc
	s_cbranch_execz .LBB2_297
; %bb.292:                              ;   in Loop: Header=BB2_124 Depth=2
	v_cmp_ne_u16_sdwa vcc, v19, s74 src0_sel:BYTE_0 src1_sel:DWORD
	v_bfrev_b32_e32 v4, 1
	s_and_saveexec_b64 s[60:61], vcc
	s_cbranch_execz .LBB2_296
; %bb.293:                              ;   in Loop: Header=BB2_124 Depth=2
	v_and_b32_e32 v5, 0x7f, v19
	v_cmp_ne_u32_e32 vcc, s75, v5
	v_mov_b32_e32 v4, 0x7f800001
	s_and_saveexec_b64 s[62:63], vcc
	s_cbranch_execz .LBB2_295
; %bb.294:                              ;   in Loop: Header=BB2_124 Depth=2
	v_and_b32_e32 v4, 7, v19
	v_ffbh_u32_e32 v4, v4
	v_min_u32_e32 v4, 32, v4
	v_lshrrev_b32_e32 v26, 3, v5
	v_subrev_u32_e32 v27, 28, v4
	v_sub_u32_e32 v4, 29, v4
	v_cmp_gt_u32_e32 vcc, 8, v5
	v_cndmask_b32_e32 v26, v26, v4, vcc
	v_cndmask_b32_e32 v4, 0, v27, vcc
	v_lshlrev_b64 v[4:5], v4, v[2:3]
	v_lshlrev_b32_e32 v4, 20, v4
	v_lshlrev_b32_e32 v5, 24, v2
	v_bfrev_b32_e32 v27, 60
	v_and_b32_e32 v4, 0x700000, v4
	v_and_b32_e32 v5, 0x80000000, v5
	v_lshl_add_u32 v26, v26, 23, v27
	v_or3_b32 v4, v5, v26, v4
.LBB2_295:                              ;   in Loop: Header=BB2_124 Depth=2
	s_or_b64 exec, exec, s[62:63]
.LBB2_296:                              ;   in Loop: Header=BB2_124 Depth=2
	s_or_b64 exec, exec, s[60:61]
.LBB2_297:                              ;   in Loop: Header=BB2_124 Depth=2
	s_or_b64 exec, exec, s[24:25]
	v_max_f32_e32 v4, v4, v4
	v_max_f32_e32 v1, v1, v1
	;; [unrolled: 1-line block ×3, first 2 shown]
	s_branch .LBB2_312
.LBB2_298:                              ;   in Loop: Header=BB2_124 Depth=2
                                        ; implicit-def: $vgpr4
	s_cbranch_execz .LBB2_312
; %bb.299:                              ;   in Loop: Header=BB2_124 Depth=2
	v_mov_b32_e32 v4, 0
	v_mov_b32_e32 v1, 0
	s_and_saveexec_b64 s[24:25], s[22:23]
	s_cbranch_execz .LBB2_305
; %bb.300:                              ;   in Loop: Header=BB2_124 Depth=2
	v_cmp_ne_u16_sdwa vcc, v23, s74 src0_sel:BYTE_0 src1_sel:DWORD
	v_bfrev_b32_e32 v1, 1
	s_and_saveexec_b64 s[22:23], vcc
	s_cbranch_execz .LBB2_304
; %bb.301:                              ;   in Loop: Header=BB2_124 Depth=2
	v_and_b32_e32 v5, 0x7f, v23
	v_cmp_ne_u32_e32 vcc, s75, v5
	v_mov_b32_e32 v1, 0x7f800001
	s_and_saveexec_b64 s[60:61], vcc
	s_cbranch_execz .LBB2_303
; %bb.302:                              ;   in Loop: Header=BB2_124 Depth=2
	v_and_b32_e32 v1, 7, v23
	v_ffbh_u32_e32 v1, v1
	v_min_u32_e32 v1, 32, v1
	v_subrev_u32_e32 v27, 28, v1
	v_cmp_gt_u32_e32 vcc, 8, v5
	v_lshrrev_b32_e32 v26, 3, v5
	v_sub_u32_e32 v1, 29, v1
	v_cndmask_b32_e32 v5, 0, v27, vcc
	v_cndmask_b32_e32 v1, v26, v1, vcc
	v_lshlrev_b64 v[26:27], v5, v[54:55]
	v_lshlrev_b32_e32 v5, 20, v26
	v_lshlrev_b32_e32 v26, 24, v54
	v_bfrev_b32_e32 v27, 60
	v_and_b32_e32 v5, 0x700000, v5
	v_and_b32_e32 v26, 0x80000000, v26
	v_lshl_add_u32 v1, v1, 23, v27
	v_or3_b32 v1, v26, v1, v5
.LBB2_303:                              ;   in Loop: Header=BB2_124 Depth=2
	s_or_b64 exec, exec, s[60:61]
.LBB2_304:                              ;   in Loop: Header=BB2_124 Depth=2
	s_or_b64 exec, exec, s[22:23]
.LBB2_305:                              ;   in Loop: Header=BB2_124 Depth=2
	s_or_b64 exec, exec, s[24:25]
	v_cmp_ne_u16_sdwa s[24:25], v19, v55 src0_sel:BYTE_0 src1_sel:DWORD
	s_and_saveexec_b64 s[22:23], s[24:25]
	s_cbranch_execz .LBB2_311
; %bb.306:                              ;   in Loop: Header=BB2_124 Depth=2
	v_cmp_ne_u16_sdwa vcc, v19, s74 src0_sel:BYTE_0 src1_sel:DWORD
	v_bfrev_b32_e32 v4, 1
	s_and_saveexec_b64 s[24:25], vcc
	s_cbranch_execz .LBB2_310
; %bb.307:                              ;   in Loop: Header=BB2_124 Depth=2
	v_and_b32_e32 v5, 0x7f, v19
	v_cmp_ne_u32_e32 vcc, s75, v5
	v_mov_b32_e32 v4, 0x7f800001
	s_and_saveexec_b64 s[60:61], vcc
	s_cbranch_execz .LBB2_309
; %bb.308:                              ;   in Loop: Header=BB2_124 Depth=2
	v_and_b32_e32 v4, 7, v19
	v_ffbh_u32_e32 v4, v4
	v_min_u32_e32 v4, 32, v4
	v_lshrrev_b32_e32 v26, 3, v5
	v_subrev_u32_e32 v27, 28, v4
	v_sub_u32_e32 v4, 29, v4
	v_cmp_gt_u32_e32 vcc, 8, v5
	v_cndmask_b32_e32 v26, v26, v4, vcc
	v_cndmask_b32_e32 v4, 0, v27, vcc
	v_lshlrev_b64 v[4:5], v4, v[2:3]
	v_lshlrev_b32_e32 v3, 20, v4
	v_lshlrev_b32_e32 v4, 24, v2
	v_bfrev_b32_e32 v5, 60
	v_and_b32_e32 v3, 0x700000, v3
	v_and_b32_e32 v4, 0x80000000, v4
	v_lshl_add_u32 v5, v26, 23, v5
	v_or3_b32 v4, v4, v5, v3
.LBB2_309:                              ;   in Loop: Header=BB2_124 Depth=2
	s_or_b64 exec, exec, s[60:61]
.LBB2_310:                              ;   in Loop: Header=BB2_124 Depth=2
	s_or_b64 exec, exec, s[24:25]
.LBB2_311:                              ;   in Loop: Header=BB2_124 Depth=2
	s_or_b64 exec, exec, s[22:23]
	v_max_f32_e32 v3, v4, v4
	v_max_f32_e32 v1, v1, v1
	v_min_f32_e32 v4, v1, v3
.LBB2_312:                              ;   in Loop: Header=BB2_124 Depth=2
	v_and_b32_sdwa v1, v4, s74 dst_sel:DWORD dst_unused:UNUSED_PAD src0_sel:BYTE_3 src1_sel:DWORD
	v_and_b32_e32 v26, 0x7f800000, v4
	v_mov_b32_e32 v27, v55
	v_and_b32_e32 v30, 0x7fffff, v4
	v_mov_b32_e32 v31, v55
	v_or_b32_e32 v50, 0x7e, v1
	v_cmp_ne_u64_e32 vcc, s[44:45], v[26:27]
	s_and_saveexec_b64 s[22:23], vcc
	s_xor_b64 s[24:25], exec, s[22:23]
	s_cbranch_execz .LBB2_322
; %bb.313:                              ;   in Loop: Header=BB2_124 Depth=2
	v_and_b32_e32 v26, 0x7fffffff, v4
	v_mov_b32_e32 v27, v55
	v_cmp_gt_u64_e32 vcc, s[46:47], v[26:27]
	s_and_saveexec_b64 s[60:61], vcc
	s_cbranch_execz .LBB2_321
; %bb.314:                              ;   in Loop: Header=BB2_124 Depth=2
	v_cmp_ne_u32_e32 vcc, 0, v4
	v_mov_b32_e32 v50, 0
	s_and_saveexec_b64 s[62:63], vcc
	s_cbranch_execz .LBB2_320
; %bb.315:                              ;   in Loop: Header=BB2_124 Depth=2
	v_bfe_u32 v3, v4, 23, 8
	v_sub_u32_e32 v5, 0x79, v3
	v_cmp_gt_u32_e32 vcc, s77, v3
	v_add_u32_e32 v4, 0xffffff81, v3
	v_cndmask_b32_e32 v5, 0, v5, vcc
	v_cmp_eq_u32_e32 vcc, 0, v3
	v_mov_b32_e32 v3, 0xffffff82
	v_cndmask_b32_e32 v3, v4, v3, vcc
	v_mov_b32_e32 v4, 0x78
	v_cndmask_b32_e32 v34, v5, v4, vcc
	v_add_u32_e32 v4, 20, v34
	v_or_b32_e32 v26, 0x800000, v30
	v_lshlrev_b64 v[4:5], v4, -1
	v_cndmask_b32_e32 v30, v26, v30, vcc
	v_not_b32_e32 v4, v4
	v_and_b32_e32 v26, v30, v4
	v_add_u32_e32 v4, 19, v34
	v_lshrrev_b64 v[30:31], v34, v[30:31]
	v_not_b32_e32 v5, v5
	v_lshlrev_b64 v[28:29], v4, 1
	v_lshrrev_b32_e32 v4, 23, v30
	v_and_b32_e32 v27, 0, v5
	v_add3_u32 v5, v34, v3, v4
	v_bfe_u32 v3, v30, 20, 1
	v_add_u32_e32 v3, -1, v3
	v_cmp_eq_u64_e32 vcc, v[26:27], v[28:29]
	v_cndmask_b32_e32 v3, 0, v3, vcc
	v_add_u32_e32 v3, v3, v30
	v_and_b32_e32 v3, 0xfffff, v3
	v_add_co_u32_e32 v30, vcc, v3, v30
	v_add_u32_e32 v4, 6, v5
	v_addc_co_u32_e32 v31, vcc, 0, v31, vcc
	v_cmp_ne_u32_e32 vcc, 0, v4
                                        ; implicit-def: $vgpr3
	s_and_saveexec_b64 s[22:23], vcc
	s_xor_b64 s[22:23], exec, s[22:23]
; %bb.316:                              ;   in Loop: Header=BB2_124 Depth=2
	v_add_u32_e32 v3, 7, v5
	v_cmp_lt_u64_e32 vcc, s[50:51], v[30:31]
	v_cndmask_b32_e32 v3, v4, v3, vcc
	v_cndmask_b32_e64 v4, 0, 1, vcc
	v_lshrrev_b64 v[30:31], v4, v[30:31]
; %bb.317:                              ;   in Loop: Header=BB2_124 Depth=2
	s_andn2_saveexec_b64 s[22:23], s[22:23]
; %bb.318:                              ;   in Loop: Header=BB2_124 Depth=2
	v_bfe_u32 v3, v30, 23, 1
; %bb.319:                              ;   in Loop: Header=BB2_124 Depth=2
	s_or_b64 exec, exec, s[22:23]
	v_lshrrev_b64 v[4:5], 20, v[30:31]
	v_cmp_gt_i32_e32 vcc, 16, v3
	v_cndmask_b32_e32 v5, 0, v5, vcc
	v_cndmask_b32_e32 v4, 7, v4, vcc
	v_cmp_eq_u32_e32 vcc, 0, v3
	v_min_i32_e32 v3, 15, v3
	v_cmp_eq_u64_e64 s[22:23], 0, v[4:5]
	v_lshlrev_b32_e32 v3, 3, v3
	v_and_or_b32 v3, v4, 7, v3
	s_and_b64 s[22:23], vcc, s[22:23]
	v_cndmask_b32_e64 v3, v3, 0, s[22:23]
	v_or_b32_e32 v50, v3, v1
.LBB2_320:                              ;   in Loop: Header=BB2_124 Depth=2
	s_or_b64 exec, exec, s[62:63]
.LBB2_321:                              ;   in Loop: Header=BB2_124 Depth=2
	s_or_b64 exec, exec, s[60:61]
                                        ; implicit-def: $vgpr4
                                        ; implicit-def: $vgpr30_vgpr31
.LBB2_322:                              ;   in Loop: Header=BB2_124 Depth=2
	s_andn2_saveexec_b64 s[22:23], s[24:25]
; %bb.323:                              ;   in Loop: Header=BB2_124 Depth=2
	v_or_b32_sdwa v1, v4, s75 dst_sel:DWORD dst_unused:UNUSED_PAD src0_sel:BYTE_3 src1_sel:DWORD
	v_cmp_eq_u64_e32 vcc, 0, v[30:31]
	v_cndmask_b32_e32 v50, v1, v50, vcc
; %bb.324:                              ;   in Loop: Header=BB2_124 Depth=2
	s_or_b64 exec, exec, s[22:23]
	v_lshrrev_b16_e32 v30, 8, v54
	v_lshrrev_b16_e32 v28, 8, v2
	v_cmp_ne_u16_e64 s[22:23], 0, v30
	s_and_b64 vcc, exec, s[58:59]
	s_cbranch_vccz .LBB2_338
; %bb.325:                              ;   in Loop: Header=BB2_124 Depth=2
	v_mov_b32_e32 v3, 0
	v_mov_b32_e32 v1, 0
	s_and_saveexec_b64 s[24:25], s[22:23]
	s_cbranch_execz .LBB2_331
; %bb.326:                              ;   in Loop: Header=BB2_124 Depth=2
	v_cmp_ne_u16_e32 vcc, s74, v30
	v_bfrev_b32_e32 v1, 1
	s_and_saveexec_b64 s[60:61], vcc
	s_cbranch_execz .LBB2_330
; %bb.327:                              ;   in Loop: Header=BB2_124 Depth=2
	v_and_b32_e32 v4, 0x7f, v30
	v_cmp_ne_u32_e32 vcc, s75, v4
	v_mov_b32_e32 v1, 0x7f800001
	s_and_saveexec_b64 s[62:63], vcc
	s_cbranch_execz .LBB2_329
; %bb.328:                              ;   in Loop: Header=BB2_124 Depth=2
	v_and_b32_e32 v1, 7, v30
	v_ffbh_u32_e32 v26, v1
	v_min_u32_e32 v29, 32, v26
	v_subrev_u32_e32 v26, 28, v29
	v_lshlrev_b64 v[26:27], v26, v[30:31]
	v_lshrrev_b32_e32 v5, 3, v4
	v_sub_u32_e32 v27, 29, v29
	v_and_b32_e32 v26, 7, v26
	v_cmp_gt_u32_e32 vcc, 8, v4
	v_cndmask_b32_e32 v4, v5, v27, vcc
	v_cndmask_b32_e32 v1, v1, v26, vcc
	v_lshlrev_b32_e32 v5, 16, v54
	v_bfrev_b32_e32 v26, 60
	v_lshlrev_b32_e32 v1, 20, v1
	v_and_b32_e32 v5, 0x80000000, v5
	v_lshl_add_u32 v4, v4, 23, v26
	v_or3_b32 v1, v5, v4, v1
.LBB2_329:                              ;   in Loop: Header=BB2_124 Depth=2
	s_or_b64 exec, exec, s[62:63]
.LBB2_330:                              ;   in Loop: Header=BB2_124 Depth=2
	s_or_b64 exec, exec, s[60:61]
.LBB2_331:                              ;   in Loop: Header=BB2_124 Depth=2
	s_or_b64 exec, exec, s[24:25]
	v_cmp_ne_u16_e32 vcc, 0, v28
	s_and_saveexec_b64 s[24:25], vcc
	s_cbranch_execz .LBB2_337
; %bb.332:                              ;   in Loop: Header=BB2_124 Depth=2
	v_cmp_ne_u16_e32 vcc, s74, v28
	v_bfrev_b32_e32 v3, 1
	s_and_saveexec_b64 s[60:61], vcc
	s_cbranch_execz .LBB2_336
; %bb.333:                              ;   in Loop: Header=BB2_124 Depth=2
	v_and_b32_e32 v4, 0x7f, v28
	v_cmp_ne_u32_e32 vcc, s75, v4
	v_mov_b32_e32 v3, 0x7f800001
	s_and_saveexec_b64 s[62:63], vcc
	s_cbranch_execz .LBB2_335
; %bb.334:                              ;   in Loop: Header=BB2_124 Depth=2
	v_and_b32_e32 v3, 7, v28
	v_ffbh_u32_e32 v26, v3
	v_min_u32_e32 v29, 32, v26
	v_subrev_u32_e32 v26, 28, v29
	v_lshlrev_b64 v[26:27], v26, v[28:29]
	v_lshrrev_b32_e32 v5, 3, v4
	v_sub_u32_e32 v27, 29, v29
	v_and_b32_e32 v26, 7, v26
	v_cmp_gt_u32_e32 vcc, 8, v4
	v_cndmask_b32_e32 v4, v5, v27, vcc
	v_cndmask_b32_e32 v3, v3, v26, vcc
	v_lshlrev_b32_e32 v5, 16, v2
	v_bfrev_b32_e32 v26, 60
	v_lshlrev_b32_e32 v3, 20, v3
	v_and_b32_e32 v5, 0x80000000, v5
	v_lshl_add_u32 v4, v4, 23, v26
	v_or3_b32 v3, v5, v4, v3
.LBB2_335:                              ;   in Loop: Header=BB2_124 Depth=2
	s_or_b64 exec, exec, s[62:63]
.LBB2_336:                              ;   in Loop: Header=BB2_124 Depth=2
	s_or_b64 exec, exec, s[60:61]
.LBB2_337:                              ;   in Loop: Header=BB2_124 Depth=2
	s_or_b64 exec, exec, s[24:25]
	v_max_f32_e32 v3, v3, v3
	v_max_f32_e32 v1, v1, v1
	v_max_f32_e32 v3, v1, v3
	s_branch .LBB2_352
.LBB2_338:                              ;   in Loop: Header=BB2_124 Depth=2
                                        ; implicit-def: $vgpr3
	s_cbranch_execz .LBB2_352
; %bb.339:                              ;   in Loop: Header=BB2_124 Depth=2
	v_mov_b32_e32 v3, 0
	v_mov_b32_e32 v1, 0
	s_and_saveexec_b64 s[24:25], s[22:23]
	s_cbranch_execz .LBB2_345
; %bb.340:                              ;   in Loop: Header=BB2_124 Depth=2
	v_cmp_ne_u16_e32 vcc, s74, v30
	v_bfrev_b32_e32 v1, 1
	s_and_saveexec_b64 s[22:23], vcc
	s_cbranch_execz .LBB2_344
; %bb.341:                              ;   in Loop: Header=BB2_124 Depth=2
	v_and_b32_e32 v4, 0x7f, v30
	v_cmp_ne_u32_e32 vcc, s75, v4
	v_mov_b32_e32 v1, 0x7f800001
	s_and_saveexec_b64 s[60:61], vcc
	s_cbranch_execz .LBB2_343
; %bb.342:                              ;   in Loop: Header=BB2_124 Depth=2
	v_and_b32_e32 v1, 7, v30
	v_ffbh_u32_e32 v26, v1
	v_min_u32_e32 v29, 32, v26
	v_subrev_u32_e32 v26, 28, v29
	v_lshlrev_b64 v[26:27], v26, v[30:31]
	v_lshrrev_b32_e32 v5, 3, v4
	v_sub_u32_e32 v27, 29, v29
	v_and_b32_e32 v26, 7, v26
	v_cmp_gt_u32_e32 vcc, 8, v4
	v_cndmask_b32_e32 v4, v5, v27, vcc
	v_cndmask_b32_e32 v1, v1, v26, vcc
	v_lshlrev_b32_e32 v5, 16, v54
	v_bfrev_b32_e32 v26, 60
	v_lshlrev_b32_e32 v1, 20, v1
	v_and_b32_e32 v5, 0x80000000, v5
	v_lshl_add_u32 v4, v4, 23, v26
	v_or3_b32 v1, v5, v4, v1
.LBB2_343:                              ;   in Loop: Header=BB2_124 Depth=2
	s_or_b64 exec, exec, s[60:61]
.LBB2_344:                              ;   in Loop: Header=BB2_124 Depth=2
	s_or_b64 exec, exec, s[22:23]
.LBB2_345:                              ;   in Loop: Header=BB2_124 Depth=2
	s_or_b64 exec, exec, s[24:25]
	v_cmp_ne_u16_e32 vcc, 0, v28
	s_and_saveexec_b64 s[22:23], vcc
	s_cbranch_execz .LBB2_351
; %bb.346:                              ;   in Loop: Header=BB2_124 Depth=2
	v_cmp_ne_u16_e32 vcc, s74, v28
	v_bfrev_b32_e32 v3, 1
	s_and_saveexec_b64 s[24:25], vcc
	s_cbranch_execz .LBB2_350
; %bb.347:                              ;   in Loop: Header=BB2_124 Depth=2
	v_and_b32_e32 v4, 0x7f, v28
	v_cmp_ne_u32_e32 vcc, s75, v4
	v_mov_b32_e32 v3, 0x7f800001
	s_and_saveexec_b64 s[60:61], vcc
	s_cbranch_execz .LBB2_349
; %bb.348:                              ;   in Loop: Header=BB2_124 Depth=2
	v_and_b32_e32 v3, 7, v28
	v_ffbh_u32_e32 v26, v3
	v_min_u32_e32 v29, 32, v26
	v_subrev_u32_e32 v26, 28, v29
	v_lshlrev_b64 v[26:27], v26, v[28:29]
	v_lshrrev_b32_e32 v5, 3, v4
	v_sub_u32_e32 v27, 29, v29
	v_and_b32_e32 v26, 7, v26
	v_cmp_gt_u32_e32 vcc, 8, v4
	v_cndmask_b32_e32 v4, v5, v27, vcc
	v_cndmask_b32_e32 v3, v3, v26, vcc
	v_lshlrev_b32_e32 v2, 16, v2
	v_bfrev_b32_e32 v5, 60
	v_lshlrev_b32_e32 v3, 20, v3
	v_and_b32_e32 v2, 0x80000000, v2
	v_lshl_add_u32 v4, v4, 23, v5
	v_or3_b32 v3, v2, v4, v3
.LBB2_349:                              ;   in Loop: Header=BB2_124 Depth=2
	s_or_b64 exec, exec, s[60:61]
.LBB2_350:                              ;   in Loop: Header=BB2_124 Depth=2
	s_or_b64 exec, exec, s[24:25]
.LBB2_351:                              ;   in Loop: Header=BB2_124 Depth=2
	s_or_b64 exec, exec, s[22:23]
	v_max_f32_e32 v2, v3, v3
	v_max_f32_e32 v1, v1, v1
	v_min_f32_e32 v3, v1, v2
.LBB2_352:                              ;   in Loop: Header=BB2_124 Depth=2
	v_and_b32_sdwa v1, v3, s74 dst_sel:DWORD dst_unused:UNUSED_PAD src0_sel:BYTE_3 src1_sel:DWORD
	v_and_b32_e32 v4, 0x7f800000, v3
	v_mov_b32_e32 v5, v55
	v_and_b32_e32 v54, 0x7fffff, v3
	v_or_b32_e32 v30, 0x7e, v1
	v_cmp_ne_u64_e32 vcc, s[44:45], v[4:5]
	s_and_saveexec_b64 s[22:23], vcc
	s_xor_b64 s[24:25], exec, s[22:23]
	s_cbranch_execz .LBB2_362
; %bb.353:                              ;   in Loop: Header=BB2_124 Depth=2
	v_and_b32_e32 v4, 0x7fffffff, v3
	v_mov_b32_e32 v5, v55
	v_cmp_gt_u64_e32 vcc, s[46:47], v[4:5]
	s_and_saveexec_b64 s[60:61], vcc
	s_cbranch_execz .LBB2_361
; %bb.354:                              ;   in Loop: Header=BB2_124 Depth=2
	v_cmp_ne_u32_e32 vcc, 0, v3
	v_mov_b32_e32 v30, 0
	s_and_saveexec_b64 s[62:63], vcc
	s_cbranch_execz .LBB2_360
; %bb.355:                              ;   in Loop: Header=BB2_124 Depth=2
	v_bfe_u32 v2, v3, 23, 8
	v_sub_u32_e32 v4, 0x79, v2
	v_cmp_gt_u32_e32 vcc, s77, v2
	v_add_u32_e32 v3, 0xffffff81, v2
	v_cndmask_b32_e32 v4, 0, v4, vcc
	v_cmp_eq_u32_e32 vcc, 0, v2
	v_mov_b32_e32 v2, 0xffffff82
	v_cndmask_b32_e32 v26, v3, v2, vcc
	v_mov_b32_e32 v2, 0x78
	v_or_b32_e32 v5, 0x800000, v54
	v_cndmask_b32_e32 v4, v4, v2, vcc
	v_cndmask_b32_e32 v54, v5, v54, vcc
	v_add_u32_e32 v2, 20, v4
	v_lshlrev_b64 v[2:3], v2, -1
	v_add_u32_e32 v5, 19, v4
	v_lshrrev_b64 v[30:31], v4, v[54:55]
	v_not_b32_e32 v3, v3
	v_not_b32_e32 v2, v2
	v_lshlrev_b64 v[28:29], v5, 1
	v_lshrrev_b32_e32 v5, 23, v30
	v_and_b32_e32 v3, 0, v3
	v_and_b32_e32 v2, v54, v2
	v_add3_u32 v26, v4, v26, v5
	v_bfe_u32 v4, v30, 20, 1
	v_add_u32_e32 v4, -1, v4
	v_cmp_eq_u64_e32 vcc, v[2:3], v[28:29]
	v_cndmask_b32_e32 v2, 0, v4, vcc
	v_add_u32_e32 v2, v2, v30
	v_and_b32_e32 v2, 0xfffff, v2
	v_add_co_u32_e32 v2, vcc, v2, v30
	v_add_u32_e32 v5, 6, v26
	v_addc_co_u32_e32 v3, vcc, 0, v31, vcc
	v_cmp_ne_u32_e32 vcc, 0, v5
                                        ; implicit-def: $vgpr4
	s_and_saveexec_b64 s[22:23], vcc
	s_xor_b64 s[22:23], exec, s[22:23]
; %bb.356:                              ;   in Loop: Header=BB2_124 Depth=2
	v_add_u32_e32 v4, 7, v26
	v_cmp_lt_u64_e32 vcc, s[50:51], v[2:3]
	v_cndmask_b32_e32 v4, v5, v4, vcc
	v_cndmask_b32_e64 v5, 0, 1, vcc
	v_lshrrev_b64 v[2:3], v5, v[2:3]
; %bb.357:                              ;   in Loop: Header=BB2_124 Depth=2
	s_andn2_saveexec_b64 s[22:23], s[22:23]
; %bb.358:                              ;   in Loop: Header=BB2_124 Depth=2
	v_bfe_u32 v4, v2, 23, 1
; %bb.359:                              ;   in Loop: Header=BB2_124 Depth=2
	s_or_b64 exec, exec, s[22:23]
	v_lshrrev_b64 v[2:3], 20, v[2:3]
	v_cmp_gt_i32_e32 vcc, 16, v4
	v_cndmask_b32_e32 v3, 0, v3, vcc
	v_cndmask_b32_e32 v2, 7, v2, vcc
	v_cmp_eq_u64_e64 s[22:23], 0, v[2:3]
	v_min_i32_e32 v3, 15, v4
	v_cmp_eq_u32_e32 vcc, 0, v4
	v_lshlrev_b32_e32 v3, 3, v3
	v_and_or_b32 v2, v2, 7, v3
	s_and_b64 s[22:23], vcc, s[22:23]
	v_cndmask_b32_e64 v2, v2, 0, s[22:23]
	v_or_b32_e32 v30, v2, v1
.LBB2_360:                              ;   in Loop: Header=BB2_124 Depth=2
	s_or_b64 exec, exec, s[62:63]
.LBB2_361:                              ;   in Loop: Header=BB2_124 Depth=2
	s_or_b64 exec, exec, s[60:61]
                                        ; implicit-def: $vgpr3
.LBB2_362:                              ;   in Loop: Header=BB2_124 Depth=2
	s_andn2_saveexec_b64 s[22:23], s[24:25]
; %bb.363:                              ;   in Loop: Header=BB2_124 Depth=2
	v_or_b32_sdwa v1, v3, s75 dst_sel:DWORD dst_unused:UNUSED_PAD src0_sel:BYTE_3 src1_sel:DWORD
	v_cmp_eq_u64_e32 vcc, 0, v[54:55]
	v_cndmask_b32_e32 v30, v1, v30, vcc
; %bb.364:                              ;   in Loop: Header=BB2_124 Depth=2
	s_or_b64 exec, exec, s[22:23]
	v_lshrrev_b32_e32 v28, 16, v23
	v_lshrrev_b32_e32 v2, 16, v19
	v_cmp_ne_u16_sdwa s[22:23], v28, v55 src0_sel:BYTE_0 src1_sel:DWORD
	s_and_b64 vcc, exec, s[58:59]
	s_cbranch_vccz .LBB2_378
; %bb.365:                              ;   in Loop: Header=BB2_124 Depth=2
	v_mov_b32_e32 v3, 0
	v_mov_b32_e32 v1, 0
	s_and_saveexec_b64 s[24:25], s[22:23]
	s_cbranch_execz .LBB2_371
; %bb.366:                              ;   in Loop: Header=BB2_124 Depth=2
	v_cmp_ne_u16_sdwa vcc, v28, s74 src0_sel:BYTE_0 src1_sel:DWORD
	v_bfrev_b32_e32 v1, 1
	s_and_saveexec_b64 s[60:61], vcc
	s_cbranch_execz .LBB2_370
; %bb.367:                              ;   in Loop: Header=BB2_124 Depth=2
	v_bfe_u32 v4, v23, 16, 7
	v_cmp_ne_u32_e32 vcc, s75, v4
	v_mov_b32_e32 v1, 0x7f800001
	s_and_saveexec_b64 s[62:63], vcc
	s_cbranch_execz .LBB2_369
; %bb.368:                              ;   in Loop: Header=BB2_124 Depth=2
	v_and_b32_e32 v1, 7, v28
	v_ffbh_u32_e32 v26, v1
	v_min_u32_e32 v29, 32, v26
	v_subrev_u32_e32 v26, 28, v29
	v_lshlrev_b64 v[26:27], v26, v[28:29]
	v_lshrrev_b32_e32 v5, 3, v4
	v_sub_u32_e32 v27, 29, v29
	v_and_b32_e32 v26, 7, v26
	v_cmp_gt_u32_e32 vcc, 8, v4
	v_cndmask_b32_e32 v4, v5, v27, vcc
	v_cndmask_b32_e32 v1, v1, v26, vcc
	v_lshlrev_b32_e32 v5, 24, v28
	v_bfrev_b32_e32 v26, 60
	v_lshlrev_b32_e32 v1, 20, v1
	v_and_b32_e32 v5, 0x80000000, v5
	v_lshl_add_u32 v4, v4, 23, v26
	v_or3_b32 v1, v5, v4, v1
.LBB2_369:                              ;   in Loop: Header=BB2_124 Depth=2
	s_or_b64 exec, exec, s[62:63]
.LBB2_370:                              ;   in Loop: Header=BB2_124 Depth=2
	s_or_b64 exec, exec, s[60:61]
.LBB2_371:                              ;   in Loop: Header=BB2_124 Depth=2
	s_or_b64 exec, exec, s[24:25]
	v_cmp_ne_u16_sdwa vcc, v2, v55 src0_sel:BYTE_0 src1_sel:DWORD
	s_and_saveexec_b64 s[24:25], vcc
	s_cbranch_execz .LBB2_377
; %bb.372:                              ;   in Loop: Header=BB2_124 Depth=2
	v_cmp_ne_u16_sdwa vcc, v2, s74 src0_sel:BYTE_0 src1_sel:DWORD
	v_bfrev_b32_e32 v3, 1
	s_and_saveexec_b64 s[60:61], vcc
	s_cbranch_execz .LBB2_376
; %bb.373:                              ;   in Loop: Header=BB2_124 Depth=2
	v_bfe_u32 v4, v19, 16, 7
	v_cmp_ne_u32_e32 vcc, s75, v4
	v_mov_b32_e32 v3, 0x7f800001
	s_and_saveexec_b64 s[62:63], vcc
	s_cbranch_execz .LBB2_375
; %bb.374:                              ;   in Loop: Header=BB2_124 Depth=2
	v_and_b32_e32 v3, 7, v2
	v_ffbh_u32_e32 v26, v3
	v_min_u32_e32 v29, 32, v26
	v_subrev_u32_e32 v26, 28, v29
	v_lshlrev_b64 v[26:27], v26, v[2:3]
	v_lshrrev_b32_e32 v5, 3, v4
	v_sub_u32_e32 v27, 29, v29
	v_and_b32_e32 v26, 7, v26
	v_cmp_gt_u32_e32 vcc, 8, v4
	v_cndmask_b32_e32 v4, v5, v27, vcc
	v_cndmask_b32_e32 v3, v3, v26, vcc
	v_lshlrev_b32_e32 v5, 24, v2
	v_bfrev_b32_e32 v26, 60
	v_lshlrev_b32_e32 v3, 20, v3
	v_and_b32_e32 v5, 0x80000000, v5
	v_lshl_add_u32 v4, v4, 23, v26
	v_or3_b32 v3, v5, v4, v3
.LBB2_375:                              ;   in Loop: Header=BB2_124 Depth=2
	s_or_b64 exec, exec, s[62:63]
.LBB2_376:                              ;   in Loop: Header=BB2_124 Depth=2
	s_or_b64 exec, exec, s[60:61]
.LBB2_377:                              ;   in Loop: Header=BB2_124 Depth=2
	s_or_b64 exec, exec, s[24:25]
	v_max_f32_e32 v3, v3, v3
	v_max_f32_e32 v1, v1, v1
	;; [unrolled: 1-line block ×3, first 2 shown]
	s_branch .LBB2_392
.LBB2_378:                              ;   in Loop: Header=BB2_124 Depth=2
                                        ; implicit-def: $vgpr3
	s_cbranch_execz .LBB2_392
; %bb.379:                              ;   in Loop: Header=BB2_124 Depth=2
	v_mov_b32_e32 v3, 0
	v_mov_b32_e32 v1, 0
	s_and_saveexec_b64 s[24:25], s[22:23]
	s_cbranch_execz .LBB2_385
; %bb.380:                              ;   in Loop: Header=BB2_124 Depth=2
	v_cmp_ne_u16_sdwa vcc, v28, s74 src0_sel:BYTE_0 src1_sel:DWORD
	v_bfrev_b32_e32 v1, 1
	s_and_saveexec_b64 s[22:23], vcc
	s_cbranch_execz .LBB2_384
; %bb.381:                              ;   in Loop: Header=BB2_124 Depth=2
	v_bfe_u32 v4, v23, 16, 7
	v_cmp_ne_u32_e32 vcc, s75, v4
	v_mov_b32_e32 v1, 0x7f800001
	s_and_saveexec_b64 s[60:61], vcc
	s_cbranch_execz .LBB2_383
; %bb.382:                              ;   in Loop: Header=BB2_124 Depth=2
	v_and_b32_e32 v1, 7, v28
	v_ffbh_u32_e32 v26, v1
	v_min_u32_e32 v29, 32, v26
	v_subrev_u32_e32 v26, 28, v29
	v_lshlrev_b64 v[26:27], v26, v[28:29]
	v_lshrrev_b32_e32 v5, 3, v4
	v_sub_u32_e32 v27, 29, v29
	v_and_b32_e32 v26, 7, v26
	v_cmp_gt_u32_e32 vcc, 8, v4
	v_cndmask_b32_e32 v4, v5, v27, vcc
	v_cndmask_b32_e32 v1, v1, v26, vcc
	v_lshlrev_b32_e32 v5, 24, v28
	v_bfrev_b32_e32 v26, 60
	v_lshlrev_b32_e32 v1, 20, v1
	v_and_b32_e32 v5, 0x80000000, v5
	v_lshl_add_u32 v4, v4, 23, v26
	v_or3_b32 v1, v5, v4, v1
.LBB2_383:                              ;   in Loop: Header=BB2_124 Depth=2
	s_or_b64 exec, exec, s[60:61]
.LBB2_384:                              ;   in Loop: Header=BB2_124 Depth=2
	s_or_b64 exec, exec, s[22:23]
.LBB2_385:                              ;   in Loop: Header=BB2_124 Depth=2
	s_or_b64 exec, exec, s[24:25]
	v_cmp_ne_u16_sdwa s[24:25], v2, v55 src0_sel:BYTE_0 src1_sel:DWORD
	s_and_saveexec_b64 s[22:23], s[24:25]
	s_cbranch_execz .LBB2_391
; %bb.386:                              ;   in Loop: Header=BB2_124 Depth=2
	v_cmp_ne_u16_sdwa vcc, v2, s74 src0_sel:BYTE_0 src1_sel:DWORD
	v_bfrev_b32_e32 v3, 1
	s_and_saveexec_b64 s[24:25], vcc
	s_cbranch_execz .LBB2_390
; %bb.387:                              ;   in Loop: Header=BB2_124 Depth=2
	v_bfe_u32 v4, v19, 16, 7
	v_cmp_ne_u32_e32 vcc, s75, v4
	v_mov_b32_e32 v3, 0x7f800001
	s_and_saveexec_b64 s[60:61], vcc
	s_cbranch_execz .LBB2_389
; %bb.388:                              ;   in Loop: Header=BB2_124 Depth=2
	v_and_b32_e32 v3, 7, v2
	v_ffbh_u32_e32 v26, v3
	v_min_u32_e32 v28, 32, v26
	v_subrev_u32_e32 v26, 28, v28
	v_lshlrev_b64 v[26:27], v26, v[2:3]
	v_lshrrev_b32_e32 v5, 3, v4
	v_sub_u32_e32 v27, 29, v28
	v_and_b32_e32 v26, 7, v26
	v_cmp_gt_u32_e32 vcc, 8, v4
	v_cndmask_b32_e32 v4, v5, v27, vcc
	v_cndmask_b32_e32 v3, v3, v26, vcc
	v_lshlrev_b32_e32 v2, 24, v2
	v_bfrev_b32_e32 v5, 60
	v_lshlrev_b32_e32 v3, 20, v3
	v_and_b32_e32 v2, 0x80000000, v2
	v_lshl_add_u32 v4, v4, 23, v5
	v_or3_b32 v3, v2, v4, v3
.LBB2_389:                              ;   in Loop: Header=BB2_124 Depth=2
	s_or_b64 exec, exec, s[60:61]
.LBB2_390:                              ;   in Loop: Header=BB2_124 Depth=2
	s_or_b64 exec, exec, s[24:25]
.LBB2_391:                              ;   in Loop: Header=BB2_124 Depth=2
	s_or_b64 exec, exec, s[22:23]
	v_max_f32_e32 v2, v3, v3
	v_max_f32_e32 v1, v1, v1
	v_min_f32_e32 v3, v1, v2
.LBB2_392:                              ;   in Loop: Header=BB2_124 Depth=2
	v_and_b32_sdwa v1, v3, s74 dst_sel:DWORD dst_unused:UNUSED_PAD src0_sel:BYTE_3 src1_sel:DWORD
	v_and_b32_e32 v4, 0x7f800000, v3
	v_mov_b32_e32 v5, v55
	v_and_b32_e32 v54, 0x7fffff, v3
	v_or_b32_e32 v31, 0x7e, v1
	v_cmp_ne_u64_e32 vcc, s[44:45], v[4:5]
	s_and_saveexec_b64 s[22:23], vcc
	s_xor_b64 s[24:25], exec, s[22:23]
	s_cbranch_execz .LBB2_402
; %bb.393:                              ;   in Loop: Header=BB2_124 Depth=2
	v_and_b32_e32 v4, 0x7fffffff, v3
	v_mov_b32_e32 v5, v55
	v_cmp_gt_u64_e32 vcc, s[46:47], v[4:5]
	s_and_saveexec_b64 s[60:61], vcc
	s_cbranch_execz .LBB2_401
; %bb.394:                              ;   in Loop: Header=BB2_124 Depth=2
	v_cmp_ne_u32_e32 vcc, 0, v3
	v_mov_b32_e32 v31, 0
	s_and_saveexec_b64 s[62:63], vcc
	s_cbranch_execz .LBB2_400
; %bb.395:                              ;   in Loop: Header=BB2_124 Depth=2
	v_bfe_u32 v2, v3, 23, 8
	v_sub_u32_e32 v4, 0x79, v2
	v_cmp_gt_u32_e32 vcc, s77, v2
	v_add_u32_e32 v3, 0xffffff81, v2
	v_cndmask_b32_e32 v4, 0, v4, vcc
	v_cmp_eq_u32_e32 vcc, 0, v2
	v_mov_b32_e32 v2, 0xffffff82
	v_cndmask_b32_e32 v26, v3, v2, vcc
	v_mov_b32_e32 v2, 0x78
	v_or_b32_e32 v5, 0x800000, v54
	v_cndmask_b32_e32 v4, v4, v2, vcc
	v_cndmask_b32_e32 v54, v5, v54, vcc
	v_add_u32_e32 v2, 20, v4
	v_lshlrev_b64 v[2:3], v2, -1
	v_add_u32_e32 v5, 19, v4
	v_lshrrev_b64 v[38:39], v4, v[54:55]
	v_not_b32_e32 v3, v3
	v_not_b32_e32 v2, v2
	v_lshlrev_b64 v[28:29], v5, 1
	v_lshrrev_b32_e32 v5, 23, v38
	v_and_b32_e32 v3, 0, v3
	v_and_b32_e32 v2, v54, v2
	v_add3_u32 v26, v4, v26, v5
	v_bfe_u32 v4, v38, 20, 1
	v_add_u32_e32 v4, -1, v4
	v_cmp_eq_u64_e32 vcc, v[2:3], v[28:29]
	v_cndmask_b32_e32 v2, 0, v4, vcc
	v_add_u32_e32 v2, v2, v38
	v_and_b32_e32 v2, 0xfffff, v2
	v_add_co_u32_e32 v2, vcc, v2, v38
	v_add_u32_e32 v5, 6, v26
	v_addc_co_u32_e32 v3, vcc, 0, v39, vcc
	v_cmp_ne_u32_e32 vcc, 0, v5
                                        ; implicit-def: $vgpr4
	s_and_saveexec_b64 s[22:23], vcc
	s_xor_b64 s[22:23], exec, s[22:23]
; %bb.396:                              ;   in Loop: Header=BB2_124 Depth=2
	v_add_u32_e32 v4, 7, v26
	v_cmp_lt_u64_e32 vcc, s[50:51], v[2:3]
	v_cndmask_b32_e32 v4, v5, v4, vcc
	v_cndmask_b32_e64 v5, 0, 1, vcc
	v_lshrrev_b64 v[2:3], v5, v[2:3]
; %bb.397:                              ;   in Loop: Header=BB2_124 Depth=2
	s_andn2_saveexec_b64 s[22:23], s[22:23]
; %bb.398:                              ;   in Loop: Header=BB2_124 Depth=2
	v_bfe_u32 v4, v2, 23, 1
; %bb.399:                              ;   in Loop: Header=BB2_124 Depth=2
	s_or_b64 exec, exec, s[22:23]
	v_lshrrev_b64 v[2:3], 20, v[2:3]
	v_cmp_gt_i32_e32 vcc, 16, v4
	v_cndmask_b32_e32 v3, 0, v3, vcc
	v_cndmask_b32_e32 v2, 7, v2, vcc
	v_cmp_eq_u64_e64 s[22:23], 0, v[2:3]
	v_min_i32_e32 v3, 15, v4
	v_lshlrev_b32_e32 v3, 3, v3
	v_cmp_eq_u32_e32 vcc, 0, v4
	v_and_b32_e32 v3, 0xf8, v3
	v_and_or_b32 v2, v2, 7, v3
	s_and_b64 s[22:23], vcc, s[22:23]
	v_cndmask_b32_e64 v2, v2, 0, s[22:23]
	v_or_b32_e32 v31, v2, v1
.LBB2_400:                              ;   in Loop: Header=BB2_124 Depth=2
	s_or_b64 exec, exec, s[62:63]
.LBB2_401:                              ;   in Loop: Header=BB2_124 Depth=2
	s_or_b64 exec, exec, s[60:61]
                                        ; implicit-def: $vgpr3
.LBB2_402:                              ;   in Loop: Header=BB2_124 Depth=2
	s_andn2_saveexec_b64 s[22:23], s[24:25]
; %bb.403:                              ;   in Loop: Header=BB2_124 Depth=2
	v_or_b32_sdwa v1, v3, s75 dst_sel:DWORD dst_unused:UNUSED_PAD src0_sel:BYTE_3 src1_sel:DWORD
	v_cmp_eq_u64_e32 vcc, 0, v[54:55]
	v_cndmask_b32_e32 v31, v1, v31, vcc
; %bb.404:                              ;   in Loop: Header=BB2_124 Depth=2
	s_or_b64 exec, exec, s[22:23]
	v_lshrrev_b32_e32 v28, 24, v23
	v_lshrrev_b32_e32 v2, 24, v19
	v_cmp_lt_u64_e64 s[22:23], s[48:49], v[22:23]
	s_and_b64 vcc, exec, s[58:59]
	s_cbranch_vccz .LBB2_418
; %bb.405:                              ;   in Loop: Header=BB2_124 Depth=2
	v_mov_b32_e32 v3, 0
	v_mov_b32_e32 v1, 0
	s_and_saveexec_b64 s[24:25], s[22:23]
	s_cbranch_execz .LBB2_411
; %bb.406:                              ;   in Loop: Header=BB2_124 Depth=2
	v_cmp_ne_u32_e32 vcc, s74, v28
	v_bfrev_b32_e32 v1, 1
	s_and_saveexec_b64 s[60:61], vcc
	s_cbranch_execz .LBB2_410
; %bb.407:                              ;   in Loop: Header=BB2_124 Depth=2
	v_bfe_u32 v4, v23, 24, 7
	v_cmp_ne_u32_e32 vcc, s75, v4
	v_mov_b32_e32 v1, 0x7f800001
	s_and_saveexec_b64 s[62:63], vcc
	s_cbranch_execz .LBB2_409
; %bb.408:                              ;   in Loop: Header=BB2_124 Depth=2
	v_and_b32_e32 v1, 7, v28
	v_ffbh_u32_e32 v22, v1
	v_min_u32_e32 v22, 32, v22
	v_subrev_u32_e32 v26, 28, v22
	v_lshlrev_b64 v[26:27], v26, v[28:29]
	v_lshrrev_b32_e32 v5, 3, v4
	v_sub_u32_e32 v22, 29, v22
	v_and_b32_e32 v26, 7, v26
	v_cmp_gt_u32_e32 vcc, 8, v4
	v_cndmask_b32_e32 v4, v5, v22, vcc
	v_cndmask_b32_e32 v1, v1, v26, vcc
	v_lshlrev_b32_e32 v5, 24, v28
	v_bfrev_b32_e32 v22, 60
	v_lshlrev_b32_e32 v1, 20, v1
	v_and_b32_e32 v5, 0x80000000, v5
	v_lshl_add_u32 v4, v4, 23, v22
	v_or3_b32 v1, v5, v4, v1
.LBB2_409:                              ;   in Loop: Header=BB2_124 Depth=2
	s_or_b64 exec, exec, s[62:63]
.LBB2_410:                              ;   in Loop: Header=BB2_124 Depth=2
	s_or_b64 exec, exec, s[60:61]
.LBB2_411:                              ;   in Loop: Header=BB2_124 Depth=2
	s_or_b64 exec, exec, s[24:25]
	v_cmp_lt_u64_e32 vcc, s[48:49], v[18:19]
	s_and_saveexec_b64 s[24:25], vcc
	s_cbranch_execz .LBB2_417
; %bb.412:                              ;   in Loop: Header=BB2_124 Depth=2
	v_cmp_ne_u32_e32 vcc, s74, v2
	v_bfrev_b32_e32 v3, 1
	s_and_saveexec_b64 s[60:61], vcc
	s_cbranch_execz .LBB2_416
; %bb.413:                              ;   in Loop: Header=BB2_124 Depth=2
	v_bfe_u32 v4, v19, 24, 7
	v_cmp_ne_u32_e32 vcc, s75, v4
	v_mov_b32_e32 v3, 0x7f800001
	s_and_saveexec_b64 s[62:63], vcc
	s_cbranch_execz .LBB2_415
; %bb.414:                              ;   in Loop: Header=BB2_124 Depth=2
	v_and_b32_e32 v3, 7, v2
	v_ffbh_u32_e32 v22, v3
	v_min_u32_e32 v22, 32, v22
	v_subrev_u32_e32 v26, 28, v22
	v_lshlrev_b64 v[26:27], v26, v[2:3]
	v_lshrrev_b32_e32 v5, 3, v4
	v_sub_u32_e32 v22, 29, v22
	v_and_b32_e32 v26, 7, v26
	v_cmp_gt_u32_e32 vcc, 8, v4
	v_cndmask_b32_e32 v4, v5, v22, vcc
	v_cndmask_b32_e32 v3, v3, v26, vcc
	v_lshlrev_b32_e32 v5, 24, v2
	v_bfrev_b32_e32 v22, 60
	v_lshlrev_b32_e32 v3, 20, v3
	v_and_b32_e32 v5, 0x80000000, v5
	v_lshl_add_u32 v4, v4, 23, v22
	v_or3_b32 v3, v5, v4, v3
.LBB2_415:                              ;   in Loop: Header=BB2_124 Depth=2
	s_or_b64 exec, exec, s[62:63]
.LBB2_416:                              ;   in Loop: Header=BB2_124 Depth=2
	s_or_b64 exec, exec, s[60:61]
.LBB2_417:                              ;   in Loop: Header=BB2_124 Depth=2
	s_or_b64 exec, exec, s[24:25]
	v_max_f32_e32 v3, v3, v3
	v_max_f32_e32 v1, v1, v1
	;; [unrolled: 1-line block ×3, first 2 shown]
	s_branch .LBB2_432
.LBB2_418:                              ;   in Loop: Header=BB2_124 Depth=2
                                        ; implicit-def: $vgpr3
	s_cbranch_execz .LBB2_432
; %bb.419:                              ;   in Loop: Header=BB2_124 Depth=2
	v_mov_b32_e32 v3, 0
	v_mov_b32_e32 v1, 0
	s_and_saveexec_b64 s[24:25], s[22:23]
	s_cbranch_execz .LBB2_425
; %bb.420:                              ;   in Loop: Header=BB2_124 Depth=2
	v_cmp_ne_u32_e32 vcc, s74, v28
	v_bfrev_b32_e32 v1, 1
	s_and_saveexec_b64 s[22:23], vcc
	s_cbranch_execz .LBB2_424
; %bb.421:                              ;   in Loop: Header=BB2_124 Depth=2
	v_bfe_u32 v4, v23, 24, 7
	v_cmp_ne_u32_e32 vcc, s75, v4
	v_mov_b32_e32 v1, 0x7f800001
	s_and_saveexec_b64 s[60:61], vcc
	s_cbranch_execz .LBB2_423
; %bb.422:                              ;   in Loop: Header=BB2_124 Depth=2
	v_and_b32_e32 v1, 7, v28
	v_ffbh_u32_e32 v22, v1
	v_min_u32_e32 v26, 32, v22
	v_subrev_u32_e32 v22, 28, v26
	v_lshlrev_b64 v[22:23], v22, v[28:29]
	v_lshrrev_b32_e32 v5, 3, v4
	v_sub_u32_e32 v23, 29, v26
	v_and_b32_e32 v22, 7, v22
	v_cmp_gt_u32_e32 vcc, 8, v4
	v_cndmask_b32_e32 v4, v5, v23, vcc
	v_cndmask_b32_e32 v1, v1, v22, vcc
	v_lshlrev_b32_e32 v5, 24, v28
	v_bfrev_b32_e32 v22, 60
	v_lshlrev_b32_e32 v1, 20, v1
	v_and_b32_e32 v5, 0x80000000, v5
	v_lshl_add_u32 v4, v4, 23, v22
	v_or3_b32 v1, v5, v4, v1
.LBB2_423:                              ;   in Loop: Header=BB2_124 Depth=2
	s_or_b64 exec, exec, s[60:61]
.LBB2_424:                              ;   in Loop: Header=BB2_124 Depth=2
	s_or_b64 exec, exec, s[22:23]
.LBB2_425:                              ;   in Loop: Header=BB2_124 Depth=2
	s_or_b64 exec, exec, s[24:25]
	v_cmp_lt_u64_e32 vcc, s[48:49], v[18:19]
	s_and_saveexec_b64 s[22:23], vcc
	s_cbranch_execz .LBB2_431
; %bb.426:                              ;   in Loop: Header=BB2_124 Depth=2
	v_cmp_ne_u32_e32 vcc, s74, v2
	v_bfrev_b32_e32 v3, 1
	s_and_saveexec_b64 s[24:25], vcc
	s_cbranch_execz .LBB2_430
; %bb.427:                              ;   in Loop: Header=BB2_124 Depth=2
	v_bfe_u32 v4, v19, 24, 7
	v_cmp_ne_u32_e32 vcc, s75, v4
	v_mov_b32_e32 v3, 0x7f800001
	s_and_saveexec_b64 s[60:61], vcc
	s_cbranch_execz .LBB2_429
; %bb.428:                              ;   in Loop: Header=BB2_124 Depth=2
	v_and_b32_e32 v3, 7, v2
	v_ffbh_u32_e32 v18, v3
	v_min_u32_e32 v22, 32, v18
	v_subrev_u32_e32 v18, 28, v22
	v_lshlrev_b64 v[18:19], v18, v[2:3]
	v_lshrrev_b32_e32 v5, 3, v4
	v_sub_u32_e32 v19, 29, v22
	v_and_b32_e32 v18, 7, v18
	v_cmp_gt_u32_e32 vcc, 8, v4
	v_cndmask_b32_e32 v4, v5, v19, vcc
	v_cndmask_b32_e32 v3, v3, v18, vcc
	v_lshlrev_b32_e32 v2, 24, v2
	v_bfrev_b32_e32 v5, 60
	v_lshlrev_b32_e32 v3, 20, v3
	v_and_b32_e32 v2, 0x80000000, v2
	v_lshl_add_u32 v4, v4, 23, v5
	v_or3_b32 v3, v2, v4, v3
.LBB2_429:                              ;   in Loop: Header=BB2_124 Depth=2
	s_or_b64 exec, exec, s[60:61]
.LBB2_430:                              ;   in Loop: Header=BB2_124 Depth=2
	s_or_b64 exec, exec, s[24:25]
.LBB2_431:                              ;   in Loop: Header=BB2_124 Depth=2
	s_or_b64 exec, exec, s[22:23]
	v_max_f32_e32 v2, v3, v3
	v_max_f32_e32 v1, v1, v1
	v_min_f32_e32 v3, v1, v2
.LBB2_432:                              ;   in Loop: Header=BB2_124 Depth=2
	v_and_b32_sdwa v1, v3, s74 dst_sel:DWORD dst_unused:UNUSED_PAD src0_sel:BYTE_3 src1_sel:DWORD
	v_and_b32_e32 v4, 0x7f800000, v3
	v_mov_b32_e32 v5, v55
	v_and_b32_e32 v54, 0x7fffff, v3
	v_or_b32_e32 v23, 0x7e, v1
	v_cmp_ne_u64_e32 vcc, s[44:45], v[4:5]
	s_and_saveexec_b64 s[22:23], vcc
	s_xor_b64 s[24:25], exec, s[22:23]
	s_cbranch_execnz .LBB2_448
; %bb.433:                              ;   in Loop: Header=BB2_124 Depth=2
	s_andn2_saveexec_b64 s[22:23], s[24:25]
	s_cbranch_execnz .LBB2_457
.LBB2_434:                              ;   in Loop: Header=BB2_124 Depth=2
	s_or_b64 exec, exec, s[22:23]
	v_cmp_ne_u16_sdwa s[22:23], v24, v55 src0_sel:BYTE_0 src1_sel:DWORD
	s_and_b64 vcc, exec, s[58:59]
	s_cbranch_vccz .LBB2_458
.LBB2_435:                              ;   in Loop: Header=BB2_124 Depth=2
	v_mov_b32_e32 v2, 0
	v_mov_b32_e32 v1, 0
	s_and_saveexec_b64 s[24:25], s[22:23]
	s_cbranch_execz .LBB2_441
; %bb.436:                              ;   in Loop: Header=BB2_124 Depth=2
	v_cmp_ne_u16_sdwa vcc, v24, s74 src0_sel:BYTE_0 src1_sel:DWORD
	v_bfrev_b32_e32 v1, 1
	s_and_saveexec_b64 s[60:61], vcc
	s_cbranch_execz .LBB2_440
; %bb.437:                              ;   in Loop: Header=BB2_124 Depth=2
	v_and_b32_e32 v3, 0x7f, v24
	v_cmp_ne_u32_e32 vcc, s75, v3
	v_mov_b32_e32 v1, 0x7f800001
	s_and_saveexec_b64 s[62:63], vcc
	s_cbranch_execz .LBB2_439
; %bb.438:                              ;   in Loop: Header=BB2_124 Depth=2
	v_and_b32_e32 v1, 7, v24
	v_ffbh_u32_e32 v1, v1
	v_min_u32_e32 v1, 32, v1
	v_subrev_u32_e32 v5, 28, v1
	v_cmp_gt_u32_e32 vcc, 8, v3
	v_lshrrev_b32_e32 v4, 3, v3
	v_sub_u32_e32 v1, 29, v1
	v_cndmask_b32_e32 v3, 0, v5, vcc
	v_cndmask_b32_e32 v1, v4, v1, vcc
	v_lshlrev_b64 v[4:5], v3, v[24:25]
	v_lshlrev_b32_e32 v3, 20, v4
	v_lshlrev_b32_e32 v4, 24, v24
	v_bfrev_b32_e32 v5, 60
	v_and_b32_e32 v3, 0x700000, v3
	v_and_b32_e32 v4, 0x80000000, v4
	v_lshl_add_u32 v1, v1, 23, v5
	v_or3_b32 v1, v4, v1, v3
.LBB2_439:                              ;   in Loop: Header=BB2_124 Depth=2
	s_or_b64 exec, exec, s[62:63]
.LBB2_440:                              ;   in Loop: Header=BB2_124 Depth=2
	s_or_b64 exec, exec, s[60:61]
.LBB2_441:                              ;   in Loop: Header=BB2_124 Depth=2
	s_or_b64 exec, exec, s[24:25]
	v_cmp_ne_u16_sdwa vcc, v20, v55 src0_sel:BYTE_0 src1_sel:DWORD
	s_and_saveexec_b64 s[24:25], vcc
	s_cbranch_execz .LBB2_447
; %bb.442:                              ;   in Loop: Header=BB2_124 Depth=2
	v_cmp_ne_u16_sdwa vcc, v20, s74 src0_sel:BYTE_0 src1_sel:DWORD
	v_bfrev_b32_e32 v2, 1
	s_and_saveexec_b64 s[60:61], vcc
	s_cbranch_execz .LBB2_446
; %bb.443:                              ;   in Loop: Header=BB2_124 Depth=2
	v_and_b32_e32 v3, 0x7f, v20
	v_cmp_ne_u32_e32 vcc, s75, v3
	v_mov_b32_e32 v2, 0x7f800001
	s_and_saveexec_b64 s[62:63], vcc
	s_cbranch_execz .LBB2_445
; %bb.444:                              ;   in Loop: Header=BB2_124 Depth=2
	v_and_b32_e32 v2, 7, v20
	v_ffbh_u32_e32 v2, v2
	v_min_u32_e32 v2, 32, v2
	v_lshrrev_b32_e32 v4, 3, v3
	v_subrev_u32_e32 v5, 28, v2
	v_sub_u32_e32 v2, 29, v2
	v_cmp_gt_u32_e32 vcc, 8, v3
	v_cndmask_b32_e32 v4, v4, v2, vcc
	v_cndmask_b32_e32 v2, 0, v5, vcc
	v_lshlrev_b64 v[2:3], v2, v[20:21]
	v_lshlrev_b32_e32 v2, 20, v2
	v_lshlrev_b32_e32 v3, 24, v20
	v_bfrev_b32_e32 v5, 60
	v_and_b32_e32 v2, 0x700000, v2
	v_and_b32_e32 v3, 0x80000000, v3
	v_lshl_add_u32 v4, v4, 23, v5
	v_or3_b32 v2, v3, v4, v2
.LBB2_445:                              ;   in Loop: Header=BB2_124 Depth=2
	s_or_b64 exec, exec, s[62:63]
.LBB2_446:                              ;   in Loop: Header=BB2_124 Depth=2
	s_or_b64 exec, exec, s[60:61]
.LBB2_447:                              ;   in Loop: Header=BB2_124 Depth=2
	s_or_b64 exec, exec, s[24:25]
	v_max_f32_e32 v2, v2, v2
	v_max_f32_e32 v1, v1, v1
	;; [unrolled: 1-line block ×3, first 2 shown]
	s_branch .LBB2_472
.LBB2_448:                              ;   in Loop: Header=BB2_124 Depth=2
	v_and_b32_e32 v4, 0x7fffffff, v3
	v_mov_b32_e32 v5, v55
	v_cmp_gt_u64_e32 vcc, s[46:47], v[4:5]
	s_and_saveexec_b64 s[60:61], vcc
	s_cbranch_execz .LBB2_456
; %bb.449:                              ;   in Loop: Header=BB2_124 Depth=2
	v_cmp_ne_u32_e32 vcc, 0, v3
	v_mov_b32_e32 v23, 0
	s_and_saveexec_b64 s[62:63], vcc
	s_cbranch_execz .LBB2_455
; %bb.450:                              ;   in Loop: Header=BB2_124 Depth=2
	v_bfe_u32 v2, v3, 23, 8
	v_sub_u32_e32 v4, 0x79, v2
	v_cmp_gt_u32_e32 vcc, s77, v2
	v_add_u32_e32 v3, 0xffffff81, v2
	v_cndmask_b32_e32 v4, 0, v4, vcc
	v_cmp_eq_u32_e32 vcc, 0, v2
	v_mov_b32_e32 v2, 0xffffff82
	v_cndmask_b32_e32 v18, v3, v2, vcc
	v_mov_b32_e32 v2, 0x78
	v_or_b32_e32 v5, 0x800000, v54
	v_cndmask_b32_e32 v4, v4, v2, vcc
	v_cndmask_b32_e32 v54, v5, v54, vcc
	v_add_u32_e32 v2, 20, v4
	v_lshlrev_b64 v[2:3], v2, -1
	v_add_u32_e32 v5, 19, v4
	v_lshrrev_b64 v[26:27], v4, v[54:55]
	v_not_b32_e32 v3, v3
	v_not_b32_e32 v2, v2
	v_lshlrev_b64 v[22:23], v5, 1
	v_lshrrev_b32_e32 v5, 23, v26
	v_and_b32_e32 v3, 0, v3
	v_and_b32_e32 v2, v54, v2
	v_add3_u32 v18, v4, v18, v5
	v_bfe_u32 v4, v26, 20, 1
	v_add_u32_e32 v4, -1, v4
	v_cmp_eq_u64_e32 vcc, v[2:3], v[22:23]
	v_cndmask_b32_e32 v2, 0, v4, vcc
	v_add_u32_e32 v2, v2, v26
	v_and_b32_e32 v2, 0xfffff, v2
	v_add_co_u32_e32 v2, vcc, v2, v26
	v_add_u32_e32 v5, 6, v18
	v_addc_co_u32_e32 v3, vcc, 0, v27, vcc
	v_cmp_ne_u32_e32 vcc, 0, v5
                                        ; implicit-def: $vgpr4
	s_and_saveexec_b64 s[22:23], vcc
	s_xor_b64 s[22:23], exec, s[22:23]
; %bb.451:                              ;   in Loop: Header=BB2_124 Depth=2
	v_add_u32_e32 v4, 7, v18
	v_cmp_lt_u64_e32 vcc, s[50:51], v[2:3]
	v_cndmask_b32_e32 v4, v5, v4, vcc
	v_cndmask_b32_e64 v5, 0, 1, vcc
	v_lshrrev_b64 v[2:3], v5, v[2:3]
; %bb.452:                              ;   in Loop: Header=BB2_124 Depth=2
	s_andn2_saveexec_b64 s[22:23], s[22:23]
; %bb.453:                              ;   in Loop: Header=BB2_124 Depth=2
	v_bfe_u32 v4, v2, 23, 1
; %bb.454:                              ;   in Loop: Header=BB2_124 Depth=2
	s_or_b64 exec, exec, s[22:23]
	v_lshrrev_b64 v[2:3], 20, v[2:3]
	v_cmp_gt_i32_e32 vcc, 16, v4
	v_cndmask_b32_e32 v3, 0, v3, vcc
	v_cndmask_b32_e32 v2, 7, v2, vcc
	v_cmp_eq_u64_e64 s[22:23], 0, v[2:3]
	v_min_i32_e32 v3, 15, v4
	v_lshlrev_b32_e32 v3, 3, v3
	v_cmp_eq_u32_e32 vcc, 0, v4
	v_and_b32_e32 v3, 0xf8, v3
	v_and_or_b32 v2, v2, 7, v3
	s_and_b64 s[22:23], vcc, s[22:23]
	v_cndmask_b32_e64 v2, v2, 0, s[22:23]
	v_or_b32_e32 v23, v2, v1
.LBB2_455:                              ;   in Loop: Header=BB2_124 Depth=2
	s_or_b64 exec, exec, s[62:63]
.LBB2_456:                              ;   in Loop: Header=BB2_124 Depth=2
	s_or_b64 exec, exec, s[60:61]
                                        ; implicit-def: $vgpr3
	s_andn2_saveexec_b64 s[22:23], s[24:25]
	s_cbranch_execz .LBB2_434
.LBB2_457:                              ;   in Loop: Header=BB2_124 Depth=2
	v_or_b32_sdwa v1, v3, s75 dst_sel:DWORD dst_unused:UNUSED_PAD src0_sel:BYTE_3 src1_sel:DWORD
	v_cmp_eq_u64_e32 vcc, 0, v[54:55]
	v_cndmask_b32_e32 v23, v1, v23, vcc
	s_or_b64 exec, exec, s[22:23]
	v_cmp_ne_u16_sdwa s[22:23], v24, v55 src0_sel:BYTE_0 src1_sel:DWORD
	s_and_b64 vcc, exec, s[58:59]
	s_cbranch_vccnz .LBB2_435
.LBB2_458:                              ;   in Loop: Header=BB2_124 Depth=2
                                        ; implicit-def: $vgpr2
	s_cbranch_execz .LBB2_472
; %bb.459:                              ;   in Loop: Header=BB2_124 Depth=2
	v_mov_b32_e32 v2, 0
	v_mov_b32_e32 v1, 0
	s_and_saveexec_b64 s[24:25], s[22:23]
	s_cbranch_execz .LBB2_465
; %bb.460:                              ;   in Loop: Header=BB2_124 Depth=2
	v_cmp_ne_u16_sdwa vcc, v24, s74 src0_sel:BYTE_0 src1_sel:DWORD
	v_bfrev_b32_e32 v1, 1
	s_and_saveexec_b64 s[22:23], vcc
	s_cbranch_execz .LBB2_464
; %bb.461:                              ;   in Loop: Header=BB2_124 Depth=2
	v_and_b32_e32 v3, 0x7f, v24
	v_cmp_ne_u32_e32 vcc, s75, v3
	v_mov_b32_e32 v1, 0x7f800001
	s_and_saveexec_b64 s[60:61], vcc
	s_cbranch_execz .LBB2_463
; %bb.462:                              ;   in Loop: Header=BB2_124 Depth=2
	v_and_b32_e32 v1, 7, v24
	v_ffbh_u32_e32 v1, v1
	v_min_u32_e32 v1, 32, v1
	v_subrev_u32_e32 v5, 28, v1
	v_cmp_gt_u32_e32 vcc, 8, v3
	v_lshrrev_b32_e32 v4, 3, v3
	v_sub_u32_e32 v1, 29, v1
	v_cndmask_b32_e32 v3, 0, v5, vcc
	v_cndmask_b32_e32 v1, v4, v1, vcc
	v_lshlrev_b64 v[4:5], v3, v[24:25]
	v_lshlrev_b32_e32 v3, 20, v4
	v_lshlrev_b32_e32 v4, 24, v24
	v_bfrev_b32_e32 v5, 60
	v_and_b32_e32 v3, 0x700000, v3
	v_and_b32_e32 v4, 0x80000000, v4
	v_lshl_add_u32 v1, v1, 23, v5
	v_or3_b32 v1, v4, v1, v3
.LBB2_463:                              ;   in Loop: Header=BB2_124 Depth=2
	s_or_b64 exec, exec, s[60:61]
.LBB2_464:                              ;   in Loop: Header=BB2_124 Depth=2
	s_or_b64 exec, exec, s[22:23]
.LBB2_465:                              ;   in Loop: Header=BB2_124 Depth=2
	s_or_b64 exec, exec, s[24:25]
	v_cmp_ne_u16_sdwa s[24:25], v20, v55 src0_sel:BYTE_0 src1_sel:DWORD
	s_and_saveexec_b64 s[22:23], s[24:25]
	s_cbranch_execz .LBB2_471
; %bb.466:                              ;   in Loop: Header=BB2_124 Depth=2
	v_cmp_ne_u16_sdwa vcc, v20, s74 src0_sel:BYTE_0 src1_sel:DWORD
	v_bfrev_b32_e32 v2, 1
	s_and_saveexec_b64 s[24:25], vcc
	s_cbranch_execz .LBB2_470
; %bb.467:                              ;   in Loop: Header=BB2_124 Depth=2
	v_and_b32_e32 v3, 0x7f, v20
	v_cmp_ne_u32_e32 vcc, s75, v3
	v_mov_b32_e32 v2, 0x7f800001
	s_and_saveexec_b64 s[60:61], vcc
	s_cbranch_execz .LBB2_469
; %bb.468:                              ;   in Loop: Header=BB2_124 Depth=2
	v_and_b32_e32 v2, 7, v20
	v_ffbh_u32_e32 v2, v2
	v_min_u32_e32 v2, 32, v2
	v_lshrrev_b32_e32 v4, 3, v3
	v_subrev_u32_e32 v5, 28, v2
	v_sub_u32_e32 v2, 29, v2
	v_cmp_gt_u32_e32 vcc, 8, v3
	v_cndmask_b32_e32 v4, v4, v2, vcc
	v_cndmask_b32_e32 v2, 0, v5, vcc
	v_lshlrev_b64 v[2:3], v2, v[20:21]
	v_lshlrev_b32_e32 v2, 20, v2
	v_lshlrev_b32_e32 v3, 24, v20
	v_bfrev_b32_e32 v5, 60
	v_and_b32_e32 v2, 0x700000, v2
	v_and_b32_e32 v3, 0x80000000, v3
	v_lshl_add_u32 v4, v4, 23, v5
	v_or3_b32 v2, v3, v4, v2
.LBB2_469:                              ;   in Loop: Header=BB2_124 Depth=2
	s_or_b64 exec, exec, s[60:61]
.LBB2_470:                              ;   in Loop: Header=BB2_124 Depth=2
	s_or_b64 exec, exec, s[24:25]
.LBB2_471:                              ;   in Loop: Header=BB2_124 Depth=2
	s_or_b64 exec, exec, s[22:23]
	v_max_f32_e32 v2, v2, v2
	v_max_f32_e32 v1, v1, v1
	v_min_f32_e32 v2, v1, v2
.LBB2_472:                              ;   in Loop: Header=BB2_124 Depth=2
	v_and_b32_sdwa v1, v2, s74 dst_sel:DWORD dst_unused:UNUSED_PAD src0_sel:BYTE_3 src1_sel:DWORD
	v_and_b32_e32 v4, 0x7f800000, v2
	v_mov_b32_e32 v5, v55
	v_and_b32_e32 v54, 0x7fffff, v2
	v_or_b32_e32 v28, 0x7e, v1
	v_cmp_ne_u64_e32 vcc, s[44:45], v[4:5]
	s_and_saveexec_b64 s[22:23], vcc
	s_xor_b64 s[24:25], exec, s[22:23]
	s_cbranch_execz .LBB2_482
; %bb.473:                              ;   in Loop: Header=BB2_124 Depth=2
	v_and_b32_e32 v4, 0x7fffffff, v2
	v_mov_b32_e32 v5, v55
	v_cmp_gt_u64_e32 vcc, s[46:47], v[4:5]
	s_and_saveexec_b64 s[60:61], vcc
	s_cbranch_execz .LBB2_481
; %bb.474:                              ;   in Loop: Header=BB2_124 Depth=2
	v_cmp_ne_u32_e32 vcc, 0, v2
	v_mov_b32_e32 v28, 0
	s_and_saveexec_b64 s[62:63], vcc
	s_cbranch_execz .LBB2_480
; %bb.475:                              ;   in Loop: Header=BB2_124 Depth=2
	v_bfe_u32 v2, v2, 23, 8
	v_sub_u32_e32 v4, 0x79, v2
	v_cmp_gt_u32_e32 vcc, s77, v2
	v_add_u32_e32 v3, 0xffffff81, v2
	v_cndmask_b32_e32 v4, 0, v4, vcc
	v_cmp_eq_u32_e32 vcc, 0, v2
	v_mov_b32_e32 v2, 0xffffff82
	v_cndmask_b32_e32 v18, v3, v2, vcc
	v_mov_b32_e32 v2, 0x78
	v_or_b32_e32 v5, 0x800000, v54
	v_cndmask_b32_e32 v4, v4, v2, vcc
	v_cndmask_b32_e32 v54, v5, v54, vcc
	v_add_u32_e32 v2, 20, v4
	v_lshlrev_b64 v[2:3], v2, -1
	v_add_u32_e32 v5, 19, v4
	v_lshrrev_b64 v[28:29], v4, v[54:55]
	v_not_b32_e32 v3, v3
	v_not_b32_e32 v2, v2
	v_lshlrev_b64 v[26:27], v5, 1
	v_lshrrev_b32_e32 v5, 23, v28
	v_and_b32_e32 v3, 0, v3
	v_and_b32_e32 v2, v54, v2
	v_add3_u32 v18, v4, v18, v5
	v_bfe_u32 v4, v28, 20, 1
	v_add_u32_e32 v4, -1, v4
	v_cmp_eq_u64_e32 vcc, v[2:3], v[26:27]
	v_cndmask_b32_e32 v2, 0, v4, vcc
	v_add_u32_e32 v2, v2, v28
	v_and_b32_e32 v2, 0xfffff, v2
	v_add_co_u32_e32 v2, vcc, v2, v28
	v_add_u32_e32 v5, 6, v18
	v_addc_co_u32_e32 v3, vcc, 0, v29, vcc
	v_cmp_ne_u32_e32 vcc, 0, v5
                                        ; implicit-def: $vgpr4
	s_and_saveexec_b64 s[22:23], vcc
	s_xor_b64 s[22:23], exec, s[22:23]
; %bb.476:                              ;   in Loop: Header=BB2_124 Depth=2
	v_add_u32_e32 v4, 7, v18
	v_cmp_lt_u64_e32 vcc, s[50:51], v[2:3]
	v_cndmask_b32_e32 v4, v5, v4, vcc
	v_cndmask_b32_e64 v5, 0, 1, vcc
	v_lshrrev_b64 v[2:3], v5, v[2:3]
; %bb.477:                              ;   in Loop: Header=BB2_124 Depth=2
	s_andn2_saveexec_b64 s[22:23], s[22:23]
; %bb.478:                              ;   in Loop: Header=BB2_124 Depth=2
	v_bfe_u32 v4, v2, 23, 1
; %bb.479:                              ;   in Loop: Header=BB2_124 Depth=2
	s_or_b64 exec, exec, s[22:23]
	v_lshrrev_b64 v[2:3], 20, v[2:3]
	v_cmp_gt_i32_e32 vcc, 16, v4
	v_cndmask_b32_e32 v3, 0, v3, vcc
	v_cndmask_b32_e32 v2, 7, v2, vcc
	v_cmp_eq_u64_e64 s[22:23], 0, v[2:3]
	v_min_i32_e32 v3, 15, v4
	v_cmp_eq_u32_e32 vcc, 0, v4
	v_lshlrev_b32_e32 v3, 3, v3
	v_and_or_b32 v2, v2, 7, v3
	s_and_b64 s[22:23], vcc, s[22:23]
	v_cndmask_b32_e64 v2, v2, 0, s[22:23]
	v_or_b32_e32 v28, v2, v1
.LBB2_480:                              ;   in Loop: Header=BB2_124 Depth=2
	s_or_b64 exec, exec, s[62:63]
.LBB2_481:                              ;   in Loop: Header=BB2_124 Depth=2
	s_or_b64 exec, exec, s[60:61]
                                        ; implicit-def: $vgpr2
.LBB2_482:                              ;   in Loop: Header=BB2_124 Depth=2
	s_andn2_saveexec_b64 s[22:23], s[24:25]
; %bb.483:                              ;   in Loop: Header=BB2_124 Depth=2
	v_or_b32_sdwa v1, v2, s75 dst_sel:DWORD dst_unused:UNUSED_PAD src0_sel:BYTE_3 src1_sel:DWORD
	v_cmp_eq_u64_e32 vcc, 0, v[54:55]
	v_cndmask_b32_e32 v28, v1, v28, vcc
; %bb.484:                              ;   in Loop: Header=BB2_124 Depth=2
	s_or_b64 exec, exec, s[22:23]
	v_lshrrev_b16_e32 v18, 8, v24
	v_lshrrev_b16_e32 v2, 8, v20
	v_cmp_ne_u16_e64 s[22:23], 0, v18
	s_and_b64 vcc, exec, s[58:59]
	s_cbranch_vccz .LBB2_498
; %bb.485:                              ;   in Loop: Header=BB2_124 Depth=2
	v_mov_b32_e32 v3, 0
	v_mov_b32_e32 v1, 0
	s_and_saveexec_b64 s[24:25], s[22:23]
	s_cbranch_execz .LBB2_491
; %bb.486:                              ;   in Loop: Header=BB2_124 Depth=2
	v_cmp_ne_u16_e32 vcc, s74, v18
	v_bfrev_b32_e32 v1, 1
	s_and_saveexec_b64 s[60:61], vcc
	s_cbranch_execz .LBB2_490
; %bb.487:                              ;   in Loop: Header=BB2_124 Depth=2
	v_and_b32_e32 v4, 0x7f, v18
	v_cmp_ne_u32_e32 vcc, s75, v4
	v_mov_b32_e32 v1, 0x7f800001
	s_and_saveexec_b64 s[62:63], vcc
	s_cbranch_execz .LBB2_489
; %bb.488:                              ;   in Loop: Header=BB2_124 Depth=2
	v_and_b32_e32 v1, 7, v18
	v_ffbh_u32_e32 v19, v1
	v_min_u32_e32 v19, 32, v19
	v_subrev_u32_e32 v22, 28, v19
	v_lshlrev_b64 v[26:27], v22, v[18:19]
	v_lshrrev_b32_e32 v5, 3, v4
	v_sub_u32_e32 v19, 29, v19
	v_and_b32_e32 v22, 7, v26
	v_cmp_gt_u32_e32 vcc, 8, v4
	v_cndmask_b32_e32 v4, v5, v19, vcc
	v_cndmask_b32_e32 v1, v1, v22, vcc
	v_lshlrev_b32_e32 v5, 16, v24
	v_bfrev_b32_e32 v19, 60
	v_lshlrev_b32_e32 v1, 20, v1
	v_and_b32_e32 v5, 0x80000000, v5
	v_lshl_add_u32 v4, v4, 23, v19
	v_or3_b32 v1, v5, v4, v1
.LBB2_489:                              ;   in Loop: Header=BB2_124 Depth=2
	s_or_b64 exec, exec, s[62:63]
.LBB2_490:                              ;   in Loop: Header=BB2_124 Depth=2
	s_or_b64 exec, exec, s[60:61]
.LBB2_491:                              ;   in Loop: Header=BB2_124 Depth=2
	s_or_b64 exec, exec, s[24:25]
	v_cmp_ne_u16_e32 vcc, 0, v2
	s_and_saveexec_b64 s[24:25], vcc
	s_cbranch_execz .LBB2_497
; %bb.492:                              ;   in Loop: Header=BB2_124 Depth=2
	v_cmp_ne_u16_e32 vcc, s74, v2
	v_bfrev_b32_e32 v3, 1
	s_and_saveexec_b64 s[60:61], vcc
	s_cbranch_execz .LBB2_496
; %bb.493:                              ;   in Loop: Header=BB2_124 Depth=2
	v_and_b32_e32 v4, 0x7f, v2
	v_cmp_ne_u32_e32 vcc, s75, v4
	v_mov_b32_e32 v3, 0x7f800001
	s_and_saveexec_b64 s[62:63], vcc
	s_cbranch_execz .LBB2_495
; %bb.494:                              ;   in Loop: Header=BB2_124 Depth=2
	v_and_b32_e32 v3, 7, v2
	v_ffbh_u32_e32 v19, v3
	v_min_u32_e32 v19, 32, v19
	v_subrev_u32_e32 v22, 28, v19
	v_lshlrev_b64 v[26:27], v22, v[2:3]
	v_lshrrev_b32_e32 v5, 3, v4
	v_sub_u32_e32 v19, 29, v19
	v_and_b32_e32 v22, 7, v26
	v_cmp_gt_u32_e32 vcc, 8, v4
	v_cndmask_b32_e32 v4, v5, v19, vcc
	v_cndmask_b32_e32 v3, v3, v22, vcc
	v_lshlrev_b32_e32 v5, 16, v20
	v_bfrev_b32_e32 v19, 60
	v_lshlrev_b32_e32 v3, 20, v3
	v_and_b32_e32 v5, 0x80000000, v5
	v_lshl_add_u32 v4, v4, 23, v19
	v_or3_b32 v3, v5, v4, v3
.LBB2_495:                              ;   in Loop: Header=BB2_124 Depth=2
	s_or_b64 exec, exec, s[62:63]
.LBB2_496:                              ;   in Loop: Header=BB2_124 Depth=2
	s_or_b64 exec, exec, s[60:61]
.LBB2_497:                              ;   in Loop: Header=BB2_124 Depth=2
	s_or_b64 exec, exec, s[24:25]
	v_max_f32_e32 v3, v3, v3
	v_max_f32_e32 v1, v1, v1
	;; [unrolled: 1-line block ×3, first 2 shown]
	s_branch .LBB2_512
.LBB2_498:                              ;   in Loop: Header=BB2_124 Depth=2
                                        ; implicit-def: $vgpr3
	s_cbranch_execz .LBB2_512
; %bb.499:                              ;   in Loop: Header=BB2_124 Depth=2
	v_mov_b32_e32 v3, 0
	v_mov_b32_e32 v1, 0
	s_and_saveexec_b64 s[24:25], s[22:23]
	s_cbranch_execz .LBB2_505
; %bb.500:                              ;   in Loop: Header=BB2_124 Depth=2
	v_cmp_ne_u16_e32 vcc, s74, v18
	v_bfrev_b32_e32 v1, 1
	s_and_saveexec_b64 s[22:23], vcc
	s_cbranch_execz .LBB2_504
; %bb.501:                              ;   in Loop: Header=BB2_124 Depth=2
	v_and_b32_e32 v4, 0x7f, v18
	v_cmp_ne_u32_e32 vcc, s75, v4
	v_mov_b32_e32 v1, 0x7f800001
	s_and_saveexec_b64 s[60:61], vcc
	s_cbranch_execz .LBB2_503
; %bb.502:                              ;   in Loop: Header=BB2_124 Depth=2
	v_and_b32_e32 v1, 7, v18
	v_ffbh_u32_e32 v19, v1
	v_min_u32_e32 v22, 32, v19
	v_subrev_u32_e32 v19, 28, v22
	v_lshlrev_b64 v[18:19], v19, v[18:19]
	v_lshrrev_b32_e32 v5, 3, v4
	v_sub_u32_e32 v19, 29, v22
	v_and_b32_e32 v18, 7, v18
	v_cmp_gt_u32_e32 vcc, 8, v4
	v_cndmask_b32_e32 v4, v5, v19, vcc
	v_cndmask_b32_e32 v1, v1, v18, vcc
	v_lshlrev_b32_e32 v5, 16, v24
	v_bfrev_b32_e32 v18, 60
	v_lshlrev_b32_e32 v1, 20, v1
	v_and_b32_e32 v5, 0x80000000, v5
	v_lshl_add_u32 v4, v4, 23, v18
	v_or3_b32 v1, v5, v4, v1
.LBB2_503:                              ;   in Loop: Header=BB2_124 Depth=2
	s_or_b64 exec, exec, s[60:61]
.LBB2_504:                              ;   in Loop: Header=BB2_124 Depth=2
	s_or_b64 exec, exec, s[22:23]
.LBB2_505:                              ;   in Loop: Header=BB2_124 Depth=2
	s_or_b64 exec, exec, s[24:25]
	v_cmp_ne_u16_e32 vcc, 0, v2
	s_and_saveexec_b64 s[22:23], vcc
	s_cbranch_execz .LBB2_511
; %bb.506:                              ;   in Loop: Header=BB2_124 Depth=2
	v_cmp_ne_u16_e32 vcc, s74, v2
	v_bfrev_b32_e32 v3, 1
	s_and_saveexec_b64 s[24:25], vcc
	s_cbranch_execz .LBB2_510
; %bb.507:                              ;   in Loop: Header=BB2_124 Depth=2
	v_and_b32_e32 v4, 0x7f, v2
	v_cmp_ne_u32_e32 vcc, s75, v4
	v_mov_b32_e32 v3, 0x7f800001
	s_and_saveexec_b64 s[60:61], vcc
	s_cbranch_execz .LBB2_509
; %bb.508:                              ;   in Loop: Header=BB2_124 Depth=2
	v_and_b32_e32 v5, 7, v2
	v_ffbh_u32_e32 v3, v5
	v_min_u32_e32 v19, 32, v3
	v_subrev_u32_e32 v3, 28, v19
	v_lshlrev_b64 v[2:3], v3, v[2:3]
	v_lshrrev_b32_e32 v18, 3, v4
	v_sub_u32_e32 v3, 29, v19
	v_and_b32_e32 v2, 7, v2
	v_cmp_gt_u32_e32 vcc, 8, v4
	v_cndmask_b32_e32 v3, v18, v3, vcc
	v_cndmask_b32_e32 v2, v5, v2, vcc
	v_lshlrev_b32_e32 v4, 16, v20
	v_bfrev_b32_e32 v5, 60
	v_lshlrev_b32_e32 v2, 20, v2
	v_and_b32_e32 v4, 0x80000000, v4
	v_lshl_add_u32 v3, v3, 23, v5
	v_or3_b32 v3, v4, v3, v2
.LBB2_509:                              ;   in Loop: Header=BB2_124 Depth=2
	s_or_b64 exec, exec, s[60:61]
.LBB2_510:                              ;   in Loop: Header=BB2_124 Depth=2
	s_or_b64 exec, exec, s[24:25]
.LBB2_511:                              ;   in Loop: Header=BB2_124 Depth=2
	s_or_b64 exec, exec, s[22:23]
	v_max_f32_e32 v2, v3, v3
	v_max_f32_e32 v1, v1, v1
	v_min_f32_e32 v3, v1, v2
.LBB2_512:                              ;   in Loop: Header=BB2_124 Depth=2
	v_and_b32_sdwa v1, v3, s74 dst_sel:DWORD dst_unused:UNUSED_PAD src0_sel:BYTE_3 src1_sel:DWORD
	v_and_b32_e32 v4, 0x7f800000, v3
	v_mov_b32_e32 v5, v55
	v_and_b32_e32 v54, 0x7fffff, v3
	v_or_b32_e32 v51, 0x7e, v1
	v_cmp_ne_u64_e32 vcc, s[44:45], v[4:5]
	s_and_saveexec_b64 s[22:23], vcc
	s_xor_b64 s[24:25], exec, s[22:23]
	s_cbranch_execz .LBB2_522
; %bb.513:                              ;   in Loop: Header=BB2_124 Depth=2
	v_and_b32_e32 v4, 0x7fffffff, v3
	v_mov_b32_e32 v5, v55
	v_cmp_gt_u64_e32 vcc, s[46:47], v[4:5]
	s_and_saveexec_b64 s[60:61], vcc
	s_cbranch_execz .LBB2_521
; %bb.514:                              ;   in Loop: Header=BB2_124 Depth=2
	v_cmp_ne_u32_e32 vcc, 0, v3
	v_mov_b32_e32 v51, 0
	s_and_saveexec_b64 s[62:63], vcc
	s_cbranch_execz .LBB2_520
; %bb.515:                              ;   in Loop: Header=BB2_124 Depth=2
	v_bfe_u32 v2, v3, 23, 8
	v_sub_u32_e32 v4, 0x79, v2
	v_cmp_gt_u32_e32 vcc, s77, v2
	v_add_u32_e32 v3, 0xffffff81, v2
	v_cndmask_b32_e32 v4, 0, v4, vcc
	v_cmp_eq_u32_e32 vcc, 0, v2
	v_mov_b32_e32 v2, 0xffffff82
	v_cndmask_b32_e32 v18, v3, v2, vcc
	v_mov_b32_e32 v2, 0x78
	v_or_b32_e32 v5, 0x800000, v54
	v_cndmask_b32_e32 v4, v4, v2, vcc
	v_cndmask_b32_e32 v54, v5, v54, vcc
	v_add_u32_e32 v2, 20, v4
	v_lshlrev_b64 v[2:3], v2, -1
	v_add_u32_e32 v5, 19, v4
	v_lshrrev_b64 v[38:39], v4, v[54:55]
	v_not_b32_e32 v3, v3
	v_not_b32_e32 v2, v2
	v_lshlrev_b64 v[26:27], v5, 1
	v_lshrrev_b32_e32 v5, 23, v38
	v_and_b32_e32 v3, 0, v3
	v_and_b32_e32 v2, v54, v2
	v_add3_u32 v18, v4, v18, v5
	v_bfe_u32 v4, v38, 20, 1
	v_add_u32_e32 v4, -1, v4
	v_cmp_eq_u64_e32 vcc, v[2:3], v[26:27]
	v_cndmask_b32_e32 v2, 0, v4, vcc
	v_add_u32_e32 v2, v2, v38
	v_and_b32_e32 v2, 0xfffff, v2
	v_add_co_u32_e32 v2, vcc, v2, v38
	v_add_u32_e32 v5, 6, v18
	v_addc_co_u32_e32 v3, vcc, 0, v39, vcc
	v_cmp_ne_u32_e32 vcc, 0, v5
                                        ; implicit-def: $vgpr4
	s_and_saveexec_b64 s[22:23], vcc
	s_xor_b64 s[22:23], exec, s[22:23]
; %bb.516:                              ;   in Loop: Header=BB2_124 Depth=2
	v_add_u32_e32 v4, 7, v18
	v_cmp_lt_u64_e32 vcc, s[50:51], v[2:3]
	v_cndmask_b32_e32 v4, v5, v4, vcc
	v_cndmask_b32_e64 v5, 0, 1, vcc
	v_lshrrev_b64 v[2:3], v5, v[2:3]
; %bb.517:                              ;   in Loop: Header=BB2_124 Depth=2
	s_andn2_saveexec_b64 s[22:23], s[22:23]
; %bb.518:                              ;   in Loop: Header=BB2_124 Depth=2
	v_bfe_u32 v4, v2, 23, 1
; %bb.519:                              ;   in Loop: Header=BB2_124 Depth=2
	s_or_b64 exec, exec, s[22:23]
	v_lshrrev_b64 v[2:3], 20, v[2:3]
	v_cmp_gt_i32_e32 vcc, 16, v4
	v_cndmask_b32_e32 v3, 0, v3, vcc
	v_cndmask_b32_e32 v2, 7, v2, vcc
	v_cmp_eq_u64_e64 s[22:23], 0, v[2:3]
	v_min_i32_e32 v3, 15, v4
	v_cmp_eq_u32_e32 vcc, 0, v4
	v_lshlrev_b32_e32 v3, 3, v3
	v_and_or_b32 v2, v2, 7, v3
	s_and_b64 s[22:23], vcc, s[22:23]
	v_cndmask_b32_e64 v2, v2, 0, s[22:23]
	v_or_b32_e32 v51, v2, v1
.LBB2_520:                              ;   in Loop: Header=BB2_124 Depth=2
	s_or_b64 exec, exec, s[62:63]
.LBB2_521:                              ;   in Loop: Header=BB2_124 Depth=2
	s_or_b64 exec, exec, s[60:61]
                                        ; implicit-def: $vgpr3
.LBB2_522:                              ;   in Loop: Header=BB2_124 Depth=2
	s_andn2_saveexec_b64 s[22:23], s[24:25]
; %bb.523:                              ;   in Loop: Header=BB2_124 Depth=2
	v_or_b32_sdwa v1, v3, s75 dst_sel:DWORD dst_unused:UNUSED_PAD src0_sel:BYTE_3 src1_sel:DWORD
	v_cmp_eq_u64_e32 vcc, 0, v[54:55]
	v_cndmask_b32_e32 v51, v1, v51, vcc
; %bb.524:                              ;   in Loop: Header=BB2_124 Depth=2
	s_or_b64 exec, exec, s[22:23]
	v_lshrrev_b32_e32 v18, 16, v24
	v_lshrrev_b32_e32 v2, 16, v20
	v_cmp_ne_u16_sdwa s[22:23], v18, v55 src0_sel:BYTE_0 src1_sel:DWORD
	s_and_b64 vcc, exec, s[58:59]
	s_cbranch_vccz .LBB2_538
; %bb.525:                              ;   in Loop: Header=BB2_124 Depth=2
	v_mov_b32_e32 v3, 0
	v_mov_b32_e32 v1, 0
	s_and_saveexec_b64 s[24:25], s[22:23]
	s_cbranch_execz .LBB2_531
; %bb.526:                              ;   in Loop: Header=BB2_124 Depth=2
	v_cmp_ne_u16_sdwa vcc, v18, s74 src0_sel:BYTE_0 src1_sel:DWORD
	v_bfrev_b32_e32 v1, 1
	s_and_saveexec_b64 s[60:61], vcc
	s_cbranch_execz .LBB2_530
; %bb.527:                              ;   in Loop: Header=BB2_124 Depth=2
	v_bfe_u32 v4, v24, 16, 7
	v_cmp_ne_u32_e32 vcc, s75, v4
	v_mov_b32_e32 v1, 0x7f800001
	s_and_saveexec_b64 s[62:63], vcc
	s_cbranch_execz .LBB2_529
; %bb.528:                              ;   in Loop: Header=BB2_124 Depth=2
	v_and_b32_e32 v1, 7, v18
	v_ffbh_u32_e32 v19, v1
	v_min_u32_e32 v19, 32, v19
	v_subrev_u32_e32 v22, 28, v19
	v_lshlrev_b64 v[26:27], v22, v[18:19]
	v_lshrrev_b32_e32 v5, 3, v4
	v_sub_u32_e32 v19, 29, v19
	v_and_b32_e32 v22, 7, v26
	v_cmp_gt_u32_e32 vcc, 8, v4
	v_cndmask_b32_e32 v4, v5, v19, vcc
	v_cndmask_b32_e32 v1, v1, v22, vcc
	v_lshlrev_b32_e32 v5, 24, v18
	v_bfrev_b32_e32 v19, 60
	v_lshlrev_b32_e32 v1, 20, v1
	v_and_b32_e32 v5, 0x80000000, v5
	v_lshl_add_u32 v4, v4, 23, v19
	v_or3_b32 v1, v5, v4, v1
.LBB2_529:                              ;   in Loop: Header=BB2_124 Depth=2
	s_or_b64 exec, exec, s[62:63]
.LBB2_530:                              ;   in Loop: Header=BB2_124 Depth=2
	s_or_b64 exec, exec, s[60:61]
.LBB2_531:                              ;   in Loop: Header=BB2_124 Depth=2
	s_or_b64 exec, exec, s[24:25]
	v_cmp_ne_u16_sdwa vcc, v2, v55 src0_sel:BYTE_0 src1_sel:DWORD
	s_and_saveexec_b64 s[24:25], vcc
	s_cbranch_execz .LBB2_537
; %bb.532:                              ;   in Loop: Header=BB2_124 Depth=2
	v_cmp_ne_u16_sdwa vcc, v2, s74 src0_sel:BYTE_0 src1_sel:DWORD
	v_bfrev_b32_e32 v3, 1
	s_and_saveexec_b64 s[60:61], vcc
	s_cbranch_execz .LBB2_536
; %bb.533:                              ;   in Loop: Header=BB2_124 Depth=2
	v_bfe_u32 v4, v20, 16, 7
	v_cmp_ne_u32_e32 vcc, s75, v4
	v_mov_b32_e32 v3, 0x7f800001
	s_and_saveexec_b64 s[62:63], vcc
	s_cbranch_execz .LBB2_535
; %bb.534:                              ;   in Loop: Header=BB2_124 Depth=2
	v_and_b32_e32 v3, 7, v2
	v_ffbh_u32_e32 v19, v3
	v_min_u32_e32 v19, 32, v19
	v_subrev_u32_e32 v22, 28, v19
	v_lshlrev_b64 v[26:27], v22, v[2:3]
	v_lshrrev_b32_e32 v5, 3, v4
	v_sub_u32_e32 v19, 29, v19
	v_and_b32_e32 v22, 7, v26
	v_cmp_gt_u32_e32 vcc, 8, v4
	v_cndmask_b32_e32 v4, v5, v19, vcc
	v_cndmask_b32_e32 v3, v3, v22, vcc
	v_lshlrev_b32_e32 v5, 24, v2
	v_bfrev_b32_e32 v19, 60
	v_lshlrev_b32_e32 v3, 20, v3
	v_and_b32_e32 v5, 0x80000000, v5
	v_lshl_add_u32 v4, v4, 23, v19
	v_or3_b32 v3, v5, v4, v3
.LBB2_535:                              ;   in Loop: Header=BB2_124 Depth=2
	s_or_b64 exec, exec, s[62:63]
.LBB2_536:                              ;   in Loop: Header=BB2_124 Depth=2
	s_or_b64 exec, exec, s[60:61]
.LBB2_537:                              ;   in Loop: Header=BB2_124 Depth=2
	s_or_b64 exec, exec, s[24:25]
	v_max_f32_e32 v3, v3, v3
	v_max_f32_e32 v1, v1, v1
	;; [unrolled: 1-line block ×3, first 2 shown]
	s_branch .LBB2_552
.LBB2_538:                              ;   in Loop: Header=BB2_124 Depth=2
                                        ; implicit-def: $vgpr3
	s_cbranch_execz .LBB2_552
; %bb.539:                              ;   in Loop: Header=BB2_124 Depth=2
	v_mov_b32_e32 v3, 0
	v_mov_b32_e32 v1, 0
	s_and_saveexec_b64 s[24:25], s[22:23]
	s_cbranch_execz .LBB2_545
; %bb.540:                              ;   in Loop: Header=BB2_124 Depth=2
	v_cmp_ne_u16_sdwa vcc, v18, s74 src0_sel:BYTE_0 src1_sel:DWORD
	v_bfrev_b32_e32 v1, 1
	s_and_saveexec_b64 s[22:23], vcc
	s_cbranch_execz .LBB2_544
; %bb.541:                              ;   in Loop: Header=BB2_124 Depth=2
	v_bfe_u32 v4, v24, 16, 7
	v_cmp_ne_u32_e32 vcc, s75, v4
	v_mov_b32_e32 v1, 0x7f800001
	s_and_saveexec_b64 s[60:61], vcc
	s_cbranch_execz .LBB2_543
; %bb.542:                              ;   in Loop: Header=BB2_124 Depth=2
	v_and_b32_e32 v1, 7, v18
	v_ffbh_u32_e32 v19, v1
	v_min_u32_e32 v19, 32, v19
	v_subrev_u32_e32 v22, 28, v19
	v_lshlrev_b64 v[26:27], v22, v[18:19]
	v_lshrrev_b32_e32 v5, 3, v4
	v_sub_u32_e32 v19, 29, v19
	v_and_b32_e32 v22, 7, v26
	v_cmp_gt_u32_e32 vcc, 8, v4
	v_cndmask_b32_e32 v4, v5, v19, vcc
	v_cndmask_b32_e32 v1, v1, v22, vcc
	v_lshlrev_b32_e32 v5, 24, v18
	v_bfrev_b32_e32 v18, 60
	v_lshlrev_b32_e32 v1, 20, v1
	v_and_b32_e32 v5, 0x80000000, v5
	v_lshl_add_u32 v4, v4, 23, v18
	v_or3_b32 v1, v5, v4, v1
.LBB2_543:                              ;   in Loop: Header=BB2_124 Depth=2
	s_or_b64 exec, exec, s[60:61]
.LBB2_544:                              ;   in Loop: Header=BB2_124 Depth=2
	s_or_b64 exec, exec, s[22:23]
.LBB2_545:                              ;   in Loop: Header=BB2_124 Depth=2
	s_or_b64 exec, exec, s[24:25]
	v_cmp_ne_u16_sdwa s[24:25], v2, v55 src0_sel:BYTE_0 src1_sel:DWORD
	s_and_saveexec_b64 s[22:23], s[24:25]
	s_cbranch_execz .LBB2_551
; %bb.546:                              ;   in Loop: Header=BB2_124 Depth=2
	v_cmp_ne_u16_sdwa vcc, v2, s74 src0_sel:BYTE_0 src1_sel:DWORD
	v_bfrev_b32_e32 v3, 1
	s_and_saveexec_b64 s[24:25], vcc
	s_cbranch_execz .LBB2_550
; %bb.547:                              ;   in Loop: Header=BB2_124 Depth=2
	v_bfe_u32 v4, v20, 16, 7
	v_cmp_ne_u32_e32 vcc, s75, v4
	v_mov_b32_e32 v3, 0x7f800001
	s_and_saveexec_b64 s[60:61], vcc
	s_cbranch_execz .LBB2_549
; %bb.548:                              ;   in Loop: Header=BB2_124 Depth=2
	v_and_b32_e32 v3, 7, v2
	v_ffbh_u32_e32 v18, v3
	v_min_u32_e32 v22, 32, v18
	v_subrev_u32_e32 v18, 28, v22
	v_lshlrev_b64 v[18:19], v18, v[2:3]
	v_lshrrev_b32_e32 v5, 3, v4
	v_sub_u32_e32 v19, 29, v22
	v_and_b32_e32 v18, 7, v18
	v_cmp_gt_u32_e32 vcc, 8, v4
	v_cndmask_b32_e32 v4, v5, v19, vcc
	v_cndmask_b32_e32 v3, v3, v18, vcc
	v_lshlrev_b32_e32 v2, 24, v2
	v_bfrev_b32_e32 v5, 60
	v_lshlrev_b32_e32 v3, 20, v3
	v_and_b32_e32 v2, 0x80000000, v2
	v_lshl_add_u32 v4, v4, 23, v5
	v_or3_b32 v3, v2, v4, v3
.LBB2_549:                              ;   in Loop: Header=BB2_124 Depth=2
	s_or_b64 exec, exec, s[60:61]
.LBB2_550:                              ;   in Loop: Header=BB2_124 Depth=2
	s_or_b64 exec, exec, s[24:25]
.LBB2_551:                              ;   in Loop: Header=BB2_124 Depth=2
	s_or_b64 exec, exec, s[22:23]
	v_max_f32_e32 v2, v3, v3
	v_max_f32_e32 v1, v1, v1
	v_min_f32_e32 v3, v1, v2
.LBB2_552:                              ;   in Loop: Header=BB2_124 Depth=2
	v_and_b32_sdwa v1, v3, s74 dst_sel:DWORD dst_unused:UNUSED_PAD src0_sel:BYTE_3 src1_sel:DWORD
	v_and_b32_e32 v4, 0x7f800000, v3
	v_mov_b32_e32 v5, v55
	v_and_b32_e32 v54, 0x7fffff, v3
	v_or_b32_e32 v52, 0x7e, v1
	v_cmp_ne_u64_e32 vcc, s[44:45], v[4:5]
	s_and_saveexec_b64 s[22:23], vcc
	s_xor_b64 s[24:25], exec, s[22:23]
	s_cbranch_execz .LBB2_562
; %bb.553:                              ;   in Loop: Header=BB2_124 Depth=2
	v_and_b32_e32 v4, 0x7fffffff, v3
	v_mov_b32_e32 v5, v55
	v_cmp_gt_u64_e32 vcc, s[46:47], v[4:5]
	s_and_saveexec_b64 s[60:61], vcc
	s_cbranch_execz .LBB2_561
; %bb.554:                              ;   in Loop: Header=BB2_124 Depth=2
	v_cmp_ne_u32_e32 vcc, 0, v3
	v_mov_b32_e32 v52, 0
	s_and_saveexec_b64 s[62:63], vcc
	s_cbranch_execz .LBB2_560
; %bb.555:                              ;   in Loop: Header=BB2_124 Depth=2
	v_bfe_u32 v2, v3, 23, 8
	v_sub_u32_e32 v4, 0x79, v2
	v_cmp_gt_u32_e32 vcc, s77, v2
	v_add_u32_e32 v3, 0xffffff81, v2
	v_cndmask_b32_e32 v4, 0, v4, vcc
	v_cmp_eq_u32_e32 vcc, 0, v2
	v_mov_b32_e32 v2, 0xffffff82
	v_cndmask_b32_e32 v18, v3, v2, vcc
	v_mov_b32_e32 v2, 0x78
	v_or_b32_e32 v5, 0x800000, v54
	v_cndmask_b32_e32 v4, v4, v2, vcc
	v_cndmask_b32_e32 v54, v5, v54, vcc
	v_add_u32_e32 v2, 20, v4
	v_lshlrev_b64 v[2:3], v2, -1
	v_add_u32_e32 v5, 19, v4
	v_lshrrev_b64 v[38:39], v4, v[54:55]
	v_not_b32_e32 v3, v3
	v_not_b32_e32 v2, v2
	v_lshlrev_b64 v[26:27], v5, 1
	v_lshrrev_b32_e32 v5, 23, v38
	v_and_b32_e32 v3, 0, v3
	v_and_b32_e32 v2, v54, v2
	v_add3_u32 v18, v4, v18, v5
	v_bfe_u32 v4, v38, 20, 1
	v_add_u32_e32 v4, -1, v4
	v_cmp_eq_u64_e32 vcc, v[2:3], v[26:27]
	v_cndmask_b32_e32 v2, 0, v4, vcc
	v_add_u32_e32 v2, v2, v38
	v_and_b32_e32 v2, 0xfffff, v2
	v_add_co_u32_e32 v2, vcc, v2, v38
	v_add_u32_e32 v5, 6, v18
	v_addc_co_u32_e32 v3, vcc, 0, v39, vcc
	v_cmp_ne_u32_e32 vcc, 0, v5
                                        ; implicit-def: $vgpr4
	s_and_saveexec_b64 s[22:23], vcc
	s_xor_b64 s[22:23], exec, s[22:23]
; %bb.556:                              ;   in Loop: Header=BB2_124 Depth=2
	v_add_u32_e32 v4, 7, v18
	v_cmp_lt_u64_e32 vcc, s[50:51], v[2:3]
	v_cndmask_b32_e32 v4, v5, v4, vcc
	v_cndmask_b32_e64 v5, 0, 1, vcc
	v_lshrrev_b64 v[2:3], v5, v[2:3]
; %bb.557:                              ;   in Loop: Header=BB2_124 Depth=2
	s_andn2_saveexec_b64 s[22:23], s[22:23]
; %bb.558:                              ;   in Loop: Header=BB2_124 Depth=2
	v_bfe_u32 v4, v2, 23, 1
; %bb.559:                              ;   in Loop: Header=BB2_124 Depth=2
	s_or_b64 exec, exec, s[22:23]
	v_lshrrev_b64 v[2:3], 20, v[2:3]
	v_cmp_gt_i32_e32 vcc, 16, v4
	v_cndmask_b32_e32 v3, 0, v3, vcc
	v_cndmask_b32_e32 v2, 7, v2, vcc
	v_cmp_eq_u64_e64 s[22:23], 0, v[2:3]
	v_min_i32_e32 v3, 15, v4
	v_cmp_eq_u32_e32 vcc, 0, v4
	v_lshlrev_b32_e32 v3, 3, v3
	v_and_or_b32 v2, v2, 7, v3
	s_and_b64 s[22:23], vcc, s[22:23]
	v_cndmask_b32_e64 v2, v2, 0, s[22:23]
	v_or_b32_e32 v52, v2, v1
.LBB2_560:                              ;   in Loop: Header=BB2_124 Depth=2
	s_or_b64 exec, exec, s[62:63]
.LBB2_561:                              ;   in Loop: Header=BB2_124 Depth=2
	s_or_b64 exec, exec, s[60:61]
                                        ; implicit-def: $vgpr3
.LBB2_562:                              ;   in Loop: Header=BB2_124 Depth=2
	s_andn2_saveexec_b64 s[22:23], s[24:25]
; %bb.563:                              ;   in Loop: Header=BB2_124 Depth=2
	v_or_b32_sdwa v1, v3, s75 dst_sel:DWORD dst_unused:UNUSED_PAD src0_sel:BYTE_3 src1_sel:DWORD
	v_cmp_eq_u64_e32 vcc, 0, v[54:55]
	v_cndmask_b32_e32 v52, v1, v52, vcc
; %bb.564:                              ;   in Loop: Header=BB2_124 Depth=2
	s_or_b64 exec, exec, s[22:23]
	v_lshrrev_b32_e32 v18, 24, v24
	v_lshrrev_b32_e32 v2, 24, v20
	v_cmp_lt_u32_e64 s[22:23], s49, v24
	s_and_b64 vcc, exec, s[58:59]
	s_cbranch_vccz .LBB2_578
; %bb.565:                              ;   in Loop: Header=BB2_124 Depth=2
	v_mov_b32_e32 v3, 0
	v_mov_b32_e32 v1, 0
	s_and_saveexec_b64 s[24:25], s[22:23]
	s_cbranch_execz .LBB2_571
; %bb.566:                              ;   in Loop: Header=BB2_124 Depth=2
	v_cmp_ne_u32_e32 vcc, s74, v18
	v_bfrev_b32_e32 v1, 1
	s_and_saveexec_b64 s[60:61], vcc
	s_cbranch_execz .LBB2_570
; %bb.567:                              ;   in Loop: Header=BB2_124 Depth=2
	v_bfe_u32 v4, v24, 24, 7
	v_cmp_ne_u32_e32 vcc, s75, v4
	v_mov_b32_e32 v1, 0x7f800001
	s_and_saveexec_b64 s[62:63], vcc
	s_cbranch_execz .LBB2_569
; %bb.568:                              ;   in Loop: Header=BB2_124 Depth=2
	v_and_b32_e32 v1, 7, v18
	v_ffbh_u32_e32 v19, v1
	v_min_u32_e32 v19, 32, v19
	v_subrev_u32_e32 v22, 28, v19
	v_lshlrev_b64 v[26:27], v22, v[18:19]
	v_lshrrev_b32_e32 v5, 3, v4
	v_sub_u32_e32 v19, 29, v19
	v_and_b32_e32 v22, 7, v26
	v_cmp_gt_u32_e32 vcc, 8, v4
	v_cndmask_b32_e32 v4, v5, v19, vcc
	v_cndmask_b32_e32 v1, v1, v22, vcc
	v_lshlrev_b32_e32 v5, 24, v18
	v_bfrev_b32_e32 v19, 60
	v_lshlrev_b32_e32 v1, 20, v1
	v_and_b32_e32 v5, 0x80000000, v5
	v_lshl_add_u32 v4, v4, 23, v19
	v_or3_b32 v1, v5, v4, v1
.LBB2_569:                              ;   in Loop: Header=BB2_124 Depth=2
	s_or_b64 exec, exec, s[62:63]
.LBB2_570:                              ;   in Loop: Header=BB2_124 Depth=2
	s_or_b64 exec, exec, s[60:61]
.LBB2_571:                              ;   in Loop: Header=BB2_124 Depth=2
	s_or_b64 exec, exec, s[24:25]
	v_cmp_lt_u32_e32 vcc, s49, v20
	s_and_saveexec_b64 s[24:25], vcc
	s_cbranch_execz .LBB2_577
; %bb.572:                              ;   in Loop: Header=BB2_124 Depth=2
	v_cmp_ne_u32_e32 vcc, s74, v2
	v_bfrev_b32_e32 v3, 1
	s_and_saveexec_b64 s[60:61], vcc
	s_cbranch_execz .LBB2_576
; %bb.573:                              ;   in Loop: Header=BB2_124 Depth=2
	v_bfe_u32 v4, v20, 24, 7
	v_cmp_ne_u32_e32 vcc, s75, v4
	v_mov_b32_e32 v3, 0x7f800001
	s_and_saveexec_b64 s[62:63], vcc
	s_cbranch_execz .LBB2_575
; %bb.574:                              ;   in Loop: Header=BB2_124 Depth=2
	v_and_b32_e32 v3, 7, v2
	v_ffbh_u32_e32 v19, v3
	v_min_u32_e32 v19, 32, v19
	v_subrev_u32_e32 v22, 28, v19
	v_lshlrev_b64 v[26:27], v22, v[2:3]
	v_lshrrev_b32_e32 v5, 3, v4
	v_sub_u32_e32 v19, 29, v19
	v_and_b32_e32 v22, 7, v26
	v_cmp_gt_u32_e32 vcc, 8, v4
	v_cndmask_b32_e32 v4, v5, v19, vcc
	v_cndmask_b32_e32 v3, v3, v22, vcc
	v_lshlrev_b32_e32 v5, 24, v2
	v_bfrev_b32_e32 v19, 60
	v_lshlrev_b32_e32 v3, 20, v3
	v_and_b32_e32 v5, 0x80000000, v5
	v_lshl_add_u32 v4, v4, 23, v19
	v_or3_b32 v3, v5, v4, v3
.LBB2_575:                              ;   in Loop: Header=BB2_124 Depth=2
	s_or_b64 exec, exec, s[62:63]
.LBB2_576:                              ;   in Loop: Header=BB2_124 Depth=2
	s_or_b64 exec, exec, s[60:61]
.LBB2_577:                              ;   in Loop: Header=BB2_124 Depth=2
	s_or_b64 exec, exec, s[24:25]
	v_max_f32_e32 v3, v3, v3
	v_max_f32_e32 v1, v1, v1
	;; [unrolled: 1-line block ×3, first 2 shown]
	s_branch .LBB2_592
.LBB2_578:                              ;   in Loop: Header=BB2_124 Depth=2
                                        ; implicit-def: $vgpr3
	s_cbranch_execz .LBB2_592
; %bb.579:                              ;   in Loop: Header=BB2_124 Depth=2
	v_mov_b32_e32 v3, 0
	v_mov_b32_e32 v1, 0
	s_and_saveexec_b64 s[24:25], s[22:23]
	s_cbranch_execz .LBB2_585
; %bb.580:                              ;   in Loop: Header=BB2_124 Depth=2
	v_cmp_ne_u32_e32 vcc, s74, v18
	v_bfrev_b32_e32 v1, 1
	s_and_saveexec_b64 s[22:23], vcc
	s_cbranch_execz .LBB2_584
; %bb.581:                              ;   in Loop: Header=BB2_124 Depth=2
	v_bfe_u32 v4, v24, 24, 7
	v_cmp_ne_u32_e32 vcc, s75, v4
	v_mov_b32_e32 v1, 0x7f800001
	s_and_saveexec_b64 s[60:61], vcc
	s_cbranch_execz .LBB2_583
; %bb.582:                              ;   in Loop: Header=BB2_124 Depth=2
	v_and_b32_e32 v1, 7, v18
	v_ffbh_u32_e32 v19, v1
	v_min_u32_e32 v19, 32, v19
	v_subrev_u32_e32 v22, 28, v19
	v_lshlrev_b64 v[26:27], v22, v[18:19]
	v_lshrrev_b32_e32 v5, 3, v4
	v_sub_u32_e32 v19, 29, v19
	v_and_b32_e32 v22, 7, v26
	v_cmp_gt_u32_e32 vcc, 8, v4
	v_cndmask_b32_e32 v4, v5, v19, vcc
	v_cndmask_b32_e32 v1, v1, v22, vcc
	v_lshlrev_b32_e32 v5, 24, v18
	v_bfrev_b32_e32 v18, 60
	v_lshlrev_b32_e32 v1, 20, v1
	v_and_b32_e32 v5, 0x80000000, v5
	v_lshl_add_u32 v4, v4, 23, v18
	v_or3_b32 v1, v5, v4, v1
.LBB2_583:                              ;   in Loop: Header=BB2_124 Depth=2
	s_or_b64 exec, exec, s[60:61]
.LBB2_584:                              ;   in Loop: Header=BB2_124 Depth=2
	s_or_b64 exec, exec, s[22:23]
.LBB2_585:                              ;   in Loop: Header=BB2_124 Depth=2
	s_or_b64 exec, exec, s[24:25]
	v_cmp_lt_u32_e32 vcc, s49, v20
	s_and_saveexec_b64 s[22:23], vcc
	s_cbranch_execz .LBB2_591
; %bb.586:                              ;   in Loop: Header=BB2_124 Depth=2
	v_cmp_ne_u32_e32 vcc, s74, v2
	v_bfrev_b32_e32 v3, 1
	s_and_saveexec_b64 s[24:25], vcc
	s_cbranch_execz .LBB2_590
; %bb.587:                              ;   in Loop: Header=BB2_124 Depth=2
	v_bfe_u32 v4, v20, 24, 7
	v_cmp_ne_u32_e32 vcc, s75, v4
	v_mov_b32_e32 v3, 0x7f800001
	s_and_saveexec_b64 s[60:61], vcc
	s_cbranch_execz .LBB2_589
; %bb.588:                              ;   in Loop: Header=BB2_124 Depth=2
	v_and_b32_e32 v3, 7, v2
	v_ffbh_u32_e32 v18, v3
	v_min_u32_e32 v22, 32, v18
	v_subrev_u32_e32 v18, 28, v22
	v_lshlrev_b64 v[18:19], v18, v[2:3]
	v_lshrrev_b32_e32 v5, 3, v4
	v_sub_u32_e32 v19, 29, v22
	v_and_b32_e32 v18, 7, v18
	v_cmp_gt_u32_e32 vcc, 8, v4
	v_cndmask_b32_e32 v4, v5, v19, vcc
	v_cndmask_b32_e32 v3, v3, v18, vcc
	v_lshlrev_b32_e32 v2, 24, v2
	v_bfrev_b32_e32 v5, 60
	v_lshlrev_b32_e32 v3, 20, v3
	v_and_b32_e32 v2, 0x80000000, v2
	v_lshl_add_u32 v4, v4, 23, v5
	v_or3_b32 v3, v2, v4, v3
.LBB2_589:                              ;   in Loop: Header=BB2_124 Depth=2
	s_or_b64 exec, exec, s[60:61]
.LBB2_590:                              ;   in Loop: Header=BB2_124 Depth=2
	s_or_b64 exec, exec, s[24:25]
.LBB2_591:                              ;   in Loop: Header=BB2_124 Depth=2
	s_or_b64 exec, exec, s[22:23]
	v_max_f32_e32 v2, v3, v3
	v_max_f32_e32 v1, v1, v1
	v_min_f32_e32 v3, v1, v2
.LBB2_592:                              ;   in Loop: Header=BB2_124 Depth=2
	v_and_b32_sdwa v1, v3, s74 dst_sel:DWORD dst_unused:UNUSED_PAD src0_sel:BYTE_3 src1_sel:DWORD
	v_and_b32_e32 v4, 0x7f800000, v3
	v_mov_b32_e32 v5, v55
	v_and_b32_e32 v54, 0x7fffff, v3
	v_or_b32_e32 v46, 0x7e, v1
	v_cmp_ne_u64_e32 vcc, s[44:45], v[4:5]
	s_and_saveexec_b64 s[22:23], vcc
	s_xor_b64 s[24:25], exec, s[22:23]
	s_cbranch_execz .LBB2_602
; %bb.593:                              ;   in Loop: Header=BB2_124 Depth=2
	v_and_b32_e32 v4, 0x7fffffff, v3
	v_mov_b32_e32 v5, v55
	v_cmp_gt_u64_e32 vcc, s[46:47], v[4:5]
	s_and_saveexec_b64 s[60:61], vcc
	s_cbranch_execz .LBB2_601
; %bb.594:                              ;   in Loop: Header=BB2_124 Depth=2
	v_cmp_ne_u32_e32 vcc, 0, v3
	v_mov_b32_e32 v46, 0
	s_and_saveexec_b64 s[62:63], vcc
	s_cbranch_execz .LBB2_600
; %bb.595:                              ;   in Loop: Header=BB2_124 Depth=2
	v_bfe_u32 v2, v3, 23, 8
	v_sub_u32_e32 v4, 0x79, v2
	v_cmp_gt_u32_e32 vcc, s77, v2
	v_add_u32_e32 v3, 0xffffff81, v2
	v_cndmask_b32_e32 v4, 0, v4, vcc
	v_cmp_eq_u32_e32 vcc, 0, v2
	v_mov_b32_e32 v2, 0xffffff82
	v_cndmask_b32_e32 v18, v3, v2, vcc
	v_mov_b32_e32 v2, 0x78
	v_or_b32_e32 v5, 0x800000, v54
	v_cndmask_b32_e32 v4, v4, v2, vcc
	v_cndmask_b32_e32 v54, v5, v54, vcc
	v_add_u32_e32 v2, 20, v4
	v_lshlrev_b64 v[2:3], v2, -1
	v_add_u32_e32 v5, 19, v4
	v_lshrrev_b64 v[38:39], v4, v[54:55]
	v_not_b32_e32 v3, v3
	v_not_b32_e32 v2, v2
	v_lshlrev_b64 v[26:27], v5, 1
	v_lshrrev_b32_e32 v5, 23, v38
	v_and_b32_e32 v3, 0, v3
	v_and_b32_e32 v2, v54, v2
	v_add3_u32 v18, v4, v18, v5
	v_bfe_u32 v4, v38, 20, 1
	v_add_u32_e32 v4, -1, v4
	v_cmp_eq_u64_e32 vcc, v[2:3], v[26:27]
	v_cndmask_b32_e32 v2, 0, v4, vcc
	v_add_u32_e32 v2, v2, v38
	v_and_b32_e32 v2, 0xfffff, v2
	v_add_co_u32_e32 v2, vcc, v2, v38
	v_add_u32_e32 v5, 6, v18
	v_addc_co_u32_e32 v3, vcc, 0, v39, vcc
	v_cmp_ne_u32_e32 vcc, 0, v5
                                        ; implicit-def: $vgpr4
	s_and_saveexec_b64 s[22:23], vcc
	s_xor_b64 s[22:23], exec, s[22:23]
; %bb.596:                              ;   in Loop: Header=BB2_124 Depth=2
	v_add_u32_e32 v4, 7, v18
	v_cmp_lt_u64_e32 vcc, s[50:51], v[2:3]
	v_cndmask_b32_e32 v4, v5, v4, vcc
	v_cndmask_b32_e64 v5, 0, 1, vcc
	v_lshrrev_b64 v[2:3], v5, v[2:3]
; %bb.597:                              ;   in Loop: Header=BB2_124 Depth=2
	s_andn2_saveexec_b64 s[22:23], s[22:23]
; %bb.598:                              ;   in Loop: Header=BB2_124 Depth=2
	v_bfe_u32 v4, v2, 23, 1
; %bb.599:                              ;   in Loop: Header=BB2_124 Depth=2
	s_or_b64 exec, exec, s[22:23]
	v_lshrrev_b64 v[2:3], 20, v[2:3]
	v_cmp_gt_i32_e32 vcc, 16, v4
	v_cndmask_b32_e32 v3, 0, v3, vcc
	v_cndmask_b32_e32 v2, 7, v2, vcc
	v_cmp_eq_u64_e64 s[22:23], 0, v[2:3]
	v_min_i32_e32 v3, 15, v4
	v_cmp_eq_u32_e32 vcc, 0, v4
	v_lshlrev_b32_e32 v3, 3, v3
	v_and_or_b32 v2, v2, 7, v3
	s_and_b64 s[22:23], vcc, s[22:23]
	v_cndmask_b32_e64 v2, v2, 0, s[22:23]
	v_or_b32_e32 v46, v2, v1
.LBB2_600:                              ;   in Loop: Header=BB2_124 Depth=2
	s_or_b64 exec, exec, s[62:63]
.LBB2_601:                              ;   in Loop: Header=BB2_124 Depth=2
	s_or_b64 exec, exec, s[60:61]
                                        ; implicit-def: $vgpr3
.LBB2_602:                              ;   in Loop: Header=BB2_124 Depth=2
	s_andn2_saveexec_b64 s[22:23], s[24:25]
; %bb.603:                              ;   in Loop: Header=BB2_124 Depth=2
	v_or_b32_sdwa v1, v3, s75 dst_sel:DWORD dst_unused:UNUSED_PAD src0_sel:BYTE_3 src1_sel:DWORD
	v_cmp_eq_u64_e32 vcc, 0, v[54:55]
	v_cndmask_b32_e32 v46, v1, v46, vcc
; %bb.604:                              ;   in Loop: Header=BB2_124 Depth=2
	s_or_b64 exec, exec, s[22:23]
	v_mov_b32_e32 v54, v25
	v_mov_b32_e32 v18, v21
	;; [unrolled: 1-line block ×3, first 2 shown]
	v_cmp_ne_u16_sdwa s[22:23], v25, v55 src0_sel:BYTE_0 src1_sel:DWORD
	s_and_b64 vcc, exec, s[58:59]
	s_cbranch_vccz .LBB2_618
; %bb.605:                              ;   in Loop: Header=BB2_124 Depth=2
	v_mov_b32_e32 v2, 0
	v_mov_b32_e32 v1, 0
	s_and_saveexec_b64 s[24:25], s[22:23]
	s_cbranch_execz .LBB2_611
; %bb.606:                              ;   in Loop: Header=BB2_124 Depth=2
	v_cmp_ne_u16_sdwa vcc, v25, s74 src0_sel:BYTE_0 src1_sel:DWORD
	v_bfrev_b32_e32 v1, 1
	s_and_saveexec_b64 s[60:61], vcc
	s_cbranch_execz .LBB2_610
; %bb.607:                              ;   in Loop: Header=BB2_124 Depth=2
	v_and_b32_e32 v3, 0x7f, v25
	v_cmp_ne_u32_e32 vcc, s75, v3
	v_mov_b32_e32 v1, 0x7f800001
	s_and_saveexec_b64 s[62:63], vcc
	s_cbranch_execz .LBB2_609
; %bb.608:                              ;   in Loop: Header=BB2_124 Depth=2
	v_and_b32_e32 v1, 7, v25
	v_ffbh_u32_e32 v1, v1
	v_min_u32_e32 v1, 32, v1
	v_subrev_u32_e32 v5, 28, v1
	v_cmp_gt_u32_e32 vcc, 8, v3
	v_lshrrev_b32_e32 v4, 3, v3
	v_sub_u32_e32 v1, 29, v1
	v_cndmask_b32_e32 v3, 0, v5, vcc
	v_cndmask_b32_e32 v1, v4, v1, vcc
	v_lshlrev_b64 v[4:5], v3, v[54:55]
	v_lshlrev_b32_e32 v3, 20, v4
	v_lshlrev_b32_e32 v4, 24, v54
	v_bfrev_b32_e32 v5, 60
	v_and_b32_e32 v3, 0x700000, v3
	v_and_b32_e32 v4, 0x80000000, v4
	v_lshl_add_u32 v1, v1, 23, v5
	v_or3_b32 v1, v4, v1, v3
.LBB2_609:                              ;   in Loop: Header=BB2_124 Depth=2
	s_or_b64 exec, exec, s[62:63]
.LBB2_610:                              ;   in Loop: Header=BB2_124 Depth=2
	s_or_b64 exec, exec, s[60:61]
.LBB2_611:                              ;   in Loop: Header=BB2_124 Depth=2
	s_or_b64 exec, exec, s[24:25]
	v_cmp_ne_u16_sdwa vcc, v21, v55 src0_sel:BYTE_0 src1_sel:DWORD
	s_and_saveexec_b64 s[24:25], vcc
	s_cbranch_execz .LBB2_617
; %bb.612:                              ;   in Loop: Header=BB2_124 Depth=2
	v_cmp_ne_u16_sdwa vcc, v21, s74 src0_sel:BYTE_0 src1_sel:DWORD
	v_bfrev_b32_e32 v2, 1
	s_and_saveexec_b64 s[60:61], vcc
	s_cbranch_execz .LBB2_616
; %bb.613:                              ;   in Loop: Header=BB2_124 Depth=2
	v_and_b32_e32 v3, 0x7f, v21
	v_cmp_ne_u32_e32 vcc, s75, v3
	v_mov_b32_e32 v2, 0x7f800001
	s_and_saveexec_b64 s[62:63], vcc
	s_cbranch_execz .LBB2_615
; %bb.614:                              ;   in Loop: Header=BB2_124 Depth=2
	v_and_b32_e32 v2, 7, v21
	v_ffbh_u32_e32 v2, v2
	v_min_u32_e32 v2, 32, v2
	v_lshrrev_b32_e32 v4, 3, v3
	v_subrev_u32_e32 v5, 28, v2
	v_sub_u32_e32 v2, 29, v2
	v_cmp_gt_u32_e32 vcc, 8, v3
	v_cndmask_b32_e32 v4, v4, v2, vcc
	v_cndmask_b32_e32 v2, 0, v5, vcc
	v_lshlrev_b64 v[2:3], v2, v[18:19]
	v_lshlrev_b32_e32 v2, 20, v2
	v_lshlrev_b32_e32 v3, 24, v18
	v_bfrev_b32_e32 v5, 60
	v_and_b32_e32 v2, 0x700000, v2
	v_and_b32_e32 v3, 0x80000000, v3
	v_lshl_add_u32 v4, v4, 23, v5
	v_or3_b32 v2, v3, v4, v2
.LBB2_615:                              ;   in Loop: Header=BB2_124 Depth=2
	s_or_b64 exec, exec, s[62:63]
.LBB2_616:                              ;   in Loop: Header=BB2_124 Depth=2
	s_or_b64 exec, exec, s[60:61]
.LBB2_617:                              ;   in Loop: Header=BB2_124 Depth=2
	s_or_b64 exec, exec, s[24:25]
	v_max_f32_e32 v2, v2, v2
	v_max_f32_e32 v1, v1, v1
	;; [unrolled: 1-line block ×3, first 2 shown]
	s_branch .LBB2_632
.LBB2_618:                              ;   in Loop: Header=BB2_124 Depth=2
                                        ; implicit-def: $vgpr4
	s_cbranch_execz .LBB2_632
; %bb.619:                              ;   in Loop: Header=BB2_124 Depth=2
	v_mov_b32_e32 v2, 0
	v_mov_b32_e32 v1, 0
	s_and_saveexec_b64 s[24:25], s[22:23]
	s_cbranch_execz .LBB2_625
; %bb.620:                              ;   in Loop: Header=BB2_124 Depth=2
	v_cmp_ne_u16_sdwa vcc, v25, s74 src0_sel:BYTE_0 src1_sel:DWORD
	v_bfrev_b32_e32 v1, 1
	s_and_saveexec_b64 s[22:23], vcc
	s_cbranch_execz .LBB2_624
; %bb.621:                              ;   in Loop: Header=BB2_124 Depth=2
	v_and_b32_e32 v3, 0x7f, v25
	v_cmp_ne_u32_e32 vcc, s75, v3
	v_mov_b32_e32 v1, 0x7f800001
	s_and_saveexec_b64 s[60:61], vcc
	s_cbranch_execz .LBB2_623
; %bb.622:                              ;   in Loop: Header=BB2_124 Depth=2
	v_and_b32_e32 v1, 7, v25
	v_ffbh_u32_e32 v1, v1
	v_min_u32_e32 v1, 32, v1
	v_subrev_u32_e32 v5, 28, v1
	v_cmp_gt_u32_e32 vcc, 8, v3
	v_lshrrev_b32_e32 v4, 3, v3
	v_sub_u32_e32 v1, 29, v1
	v_cndmask_b32_e32 v3, 0, v5, vcc
	v_cndmask_b32_e32 v1, v4, v1, vcc
	v_lshlrev_b64 v[4:5], v3, v[54:55]
	v_lshlrev_b32_e32 v3, 20, v4
	v_lshlrev_b32_e32 v4, 24, v54
	v_bfrev_b32_e32 v5, 60
	v_and_b32_e32 v3, 0x700000, v3
	v_and_b32_e32 v4, 0x80000000, v4
	v_lshl_add_u32 v1, v1, 23, v5
	v_or3_b32 v1, v4, v1, v3
.LBB2_623:                              ;   in Loop: Header=BB2_124 Depth=2
	s_or_b64 exec, exec, s[60:61]
.LBB2_624:                              ;   in Loop: Header=BB2_124 Depth=2
	s_or_b64 exec, exec, s[22:23]
.LBB2_625:                              ;   in Loop: Header=BB2_124 Depth=2
	s_or_b64 exec, exec, s[24:25]
	v_cmp_ne_u16_sdwa s[24:25], v21, v55 src0_sel:BYTE_0 src1_sel:DWORD
	s_and_saveexec_b64 s[22:23], s[24:25]
	s_cbranch_execz .LBB2_631
; %bb.626:                              ;   in Loop: Header=BB2_124 Depth=2
	v_cmp_ne_u16_sdwa vcc, v21, s74 src0_sel:BYTE_0 src1_sel:DWORD
	v_bfrev_b32_e32 v2, 1
	s_and_saveexec_b64 s[24:25], vcc
	s_cbranch_execz .LBB2_630
; %bb.627:                              ;   in Loop: Header=BB2_124 Depth=2
	v_and_b32_e32 v3, 0x7f, v21
	v_cmp_ne_u32_e32 vcc, s75, v3
	v_mov_b32_e32 v2, 0x7f800001
	s_and_saveexec_b64 s[60:61], vcc
	s_cbranch_execz .LBB2_629
; %bb.628:                              ;   in Loop: Header=BB2_124 Depth=2
	v_and_b32_e32 v2, 7, v21
	v_ffbh_u32_e32 v2, v2
	v_min_u32_e32 v2, 32, v2
	v_lshrrev_b32_e32 v4, 3, v3
	v_subrev_u32_e32 v5, 28, v2
	v_sub_u32_e32 v2, 29, v2
	v_cmp_gt_u32_e32 vcc, 8, v3
	v_cndmask_b32_e32 v4, v4, v2, vcc
	v_cndmask_b32_e32 v2, 0, v5, vcc
	v_lshlrev_b64 v[2:3], v2, v[18:19]
	v_lshlrev_b32_e32 v2, 20, v2
	v_lshlrev_b32_e32 v3, 24, v18
	v_bfrev_b32_e32 v5, 60
	v_and_b32_e32 v2, 0x700000, v2
	v_and_b32_e32 v3, 0x80000000, v3
	v_lshl_add_u32 v4, v4, 23, v5
	v_or3_b32 v2, v3, v4, v2
.LBB2_629:                              ;   in Loop: Header=BB2_124 Depth=2
	s_or_b64 exec, exec, s[60:61]
.LBB2_630:                              ;   in Loop: Header=BB2_124 Depth=2
	s_or_b64 exec, exec, s[24:25]
.LBB2_631:                              ;   in Loop: Header=BB2_124 Depth=2
	s_or_b64 exec, exec, s[22:23]
	v_max_f32_e32 v2, v2, v2
	v_max_f32_e32 v1, v1, v1
	v_min_f32_e32 v4, v1, v2
.LBB2_632:                              ;   in Loop: Header=BB2_124 Depth=2
	v_and_b32_sdwa v1, v4, s74 dst_sel:DWORD dst_unused:UNUSED_PAD src0_sel:BYTE_3 src1_sel:DWORD
	v_and_b32_e32 v26, 0x7f800000, v4
	v_mov_b32_e32 v27, v55
	v_and_b32_e32 v2, 0x7fffff, v4
	v_mov_b32_e32 v3, v55
	v_or_b32_e32 v56, 0x7e, v1
	v_cmp_ne_u64_e32 vcc, s[44:45], v[26:27]
	s_and_saveexec_b64 s[22:23], vcc
	s_xor_b64 s[24:25], exec, s[22:23]
	s_cbranch_execz .LBB2_642
; %bb.633:                              ;   in Loop: Header=BB2_124 Depth=2
	v_and_b32_e32 v26, 0x7fffffff, v4
	v_mov_b32_e32 v27, v55
	v_cmp_gt_u64_e32 vcc, s[46:47], v[26:27]
	s_and_saveexec_b64 s[60:61], vcc
	s_cbranch_execz .LBB2_641
; %bb.634:                              ;   in Loop: Header=BB2_124 Depth=2
	v_cmp_ne_u32_e32 vcc, 0, v4
	v_mov_b32_e32 v56, 0
	s_and_saveexec_b64 s[62:63], vcc
	s_cbranch_execz .LBB2_640
; %bb.635:                              ;   in Loop: Header=BB2_124 Depth=2
	v_bfe_u32 v4, v4, 23, 8
	v_sub_u32_e32 v19, 0x79, v4
	v_cmp_gt_u32_e32 vcc, s77, v4
	v_add_u32_e32 v5, 0xffffff81, v4
	v_cndmask_b32_e32 v19, 0, v19, vcc
	v_cmp_eq_u32_e32 vcc, 0, v4
	v_mov_b32_e32 v4, 0xffffff82
	v_cndmask_b32_e32 v29, v5, v4, vcc
	v_mov_b32_e32 v4, 0x78
	v_cndmask_b32_e32 v19, v19, v4, vcc
	v_add_u32_e32 v4, 20, v19
	v_or_b32_e32 v22, 0x800000, v2
	v_lshlrev_b64 v[4:5], v4, -1
	v_cndmask_b32_e32 v2, v22, v2, vcc
	v_not_b32_e32 v4, v4
	v_and_b32_e32 v26, v2, v4
	v_add_u32_e32 v4, 19, v19
	v_lshrrev_b64 v[2:3], v19, v[2:3]
	v_not_b32_e32 v5, v5
	v_lshlrev_b64 v[38:39], v4, 1
	v_lshrrev_b32_e32 v4, 23, v2
	v_and_b32_e32 v27, 0, v5
	v_add3_u32 v19, v19, v29, v4
	v_bfe_u32 v4, v2, 20, 1
	v_add_u32_e32 v4, -1, v4
	v_cmp_eq_u64_e32 vcc, v[26:27], v[38:39]
	v_cndmask_b32_e32 v4, 0, v4, vcc
	v_add_u32_e32 v4, v4, v2
	v_and_b32_e32 v4, 0xfffff, v4
	v_add_co_u32_e32 v2, vcc, v4, v2
	v_add_u32_e32 v5, 6, v19
	v_addc_co_u32_e32 v3, vcc, 0, v3, vcc
	v_cmp_ne_u32_e32 vcc, 0, v5
                                        ; implicit-def: $vgpr4
	s_and_saveexec_b64 s[22:23], vcc
	s_xor_b64 s[22:23], exec, s[22:23]
; %bb.636:                              ;   in Loop: Header=BB2_124 Depth=2
	v_add_u32_e32 v4, 7, v19
	v_cmp_lt_u64_e32 vcc, s[50:51], v[2:3]
	v_cndmask_b32_e32 v4, v5, v4, vcc
	v_cndmask_b32_e64 v5, 0, 1, vcc
	v_lshrrev_b64 v[2:3], v5, v[2:3]
; %bb.637:                              ;   in Loop: Header=BB2_124 Depth=2
	s_andn2_saveexec_b64 s[22:23], s[22:23]
; %bb.638:                              ;   in Loop: Header=BB2_124 Depth=2
	v_bfe_u32 v4, v2, 23, 1
; %bb.639:                              ;   in Loop: Header=BB2_124 Depth=2
	s_or_b64 exec, exec, s[22:23]
	v_lshrrev_b64 v[2:3], 20, v[2:3]
	v_cmp_gt_i32_e32 vcc, 16, v4
	v_cndmask_b32_e32 v3, 0, v3, vcc
	v_cndmask_b32_e32 v2, 7, v2, vcc
	v_cmp_eq_u64_e64 s[22:23], 0, v[2:3]
	v_min_i32_e32 v3, 15, v4
	v_cmp_eq_u32_e32 vcc, 0, v4
	v_lshlrev_b32_e32 v3, 3, v3
	v_and_or_b32 v2, v2, 7, v3
	s_and_b64 s[22:23], vcc, s[22:23]
	v_cndmask_b32_e64 v2, v2, 0, s[22:23]
	v_or_b32_e32 v56, v2, v1
.LBB2_640:                              ;   in Loop: Header=BB2_124 Depth=2
	s_or_b64 exec, exec, s[62:63]
.LBB2_641:                              ;   in Loop: Header=BB2_124 Depth=2
	s_or_b64 exec, exec, s[60:61]
                                        ; implicit-def: $vgpr4
                                        ; implicit-def: $vgpr2_vgpr3
.LBB2_642:                              ;   in Loop: Header=BB2_124 Depth=2
	s_andn2_saveexec_b64 s[22:23], s[24:25]
; %bb.643:                              ;   in Loop: Header=BB2_124 Depth=2
	v_or_b32_sdwa v1, v4, s75 dst_sel:DWORD dst_unused:UNUSED_PAD src0_sel:BYTE_3 src1_sel:DWORD
	v_cmp_eq_u64_e32 vcc, 0, v[2:3]
	v_cndmask_b32_e32 v56, v1, v56, vcc
; %bb.644:                              ;   in Loop: Header=BB2_124 Depth=2
	s_or_b64 exec, exec, s[22:23]
	v_lshrrev_b16_e32 v22, 8, v54
	v_lshrrev_b16_e32 v2, 8, v18
	v_cmp_ne_u16_e64 s[22:23], 0, v22
	s_and_b64 vcc, exec, s[58:59]
	s_cbranch_vccz .LBB2_658
; %bb.645:                              ;   in Loop: Header=BB2_124 Depth=2
	v_mov_b32_e32 v3, 0
	v_mov_b32_e32 v1, 0
	s_and_saveexec_b64 s[24:25], s[22:23]
	s_cbranch_execz .LBB2_651
; %bb.646:                              ;   in Loop: Header=BB2_124 Depth=2
	v_cmp_ne_u16_e32 vcc, s74, v22
	v_bfrev_b32_e32 v1, 1
	s_and_saveexec_b64 s[60:61], vcc
	s_cbranch_execz .LBB2_650
; %bb.647:                              ;   in Loop: Header=BB2_124 Depth=2
	v_and_b32_e32 v4, 0x7f, v22
	v_cmp_ne_u32_e32 vcc, s75, v4
	v_mov_b32_e32 v1, 0x7f800001
	s_and_saveexec_b64 s[62:63], vcc
	s_cbranch_execz .LBB2_649
; %bb.648:                              ;   in Loop: Header=BB2_124 Depth=2
	v_and_b32_e32 v1, 7, v22
	v_ffbh_u32_e32 v19, v1
	v_min_u32_e32 v19, 32, v19
	v_subrev_u32_e32 v26, 28, v19
	v_lshlrev_b64 v[26:27], v26, v[22:23]
	v_lshrrev_b32_e32 v5, 3, v4
	v_sub_u32_e32 v19, 29, v19
	v_and_b32_e32 v26, 7, v26
	v_cmp_gt_u32_e32 vcc, 8, v4
	v_cndmask_b32_e32 v4, v5, v19, vcc
	v_cndmask_b32_e32 v1, v1, v26, vcc
	v_lshlrev_b32_e32 v5, 16, v54
	v_bfrev_b32_e32 v19, 60
	v_lshlrev_b32_e32 v1, 20, v1
	v_and_b32_e32 v5, 0x80000000, v5
	v_lshl_add_u32 v4, v4, 23, v19
	v_or3_b32 v1, v5, v4, v1
.LBB2_649:                              ;   in Loop: Header=BB2_124 Depth=2
	s_or_b64 exec, exec, s[62:63]
.LBB2_650:                              ;   in Loop: Header=BB2_124 Depth=2
	s_or_b64 exec, exec, s[60:61]
.LBB2_651:                              ;   in Loop: Header=BB2_124 Depth=2
	s_or_b64 exec, exec, s[24:25]
	v_cmp_ne_u16_e32 vcc, 0, v2
	s_and_saveexec_b64 s[24:25], vcc
	s_cbranch_execz .LBB2_657
; %bb.652:                              ;   in Loop: Header=BB2_124 Depth=2
	v_cmp_ne_u16_e32 vcc, s74, v2
	v_bfrev_b32_e32 v3, 1
	s_and_saveexec_b64 s[60:61], vcc
	s_cbranch_execz .LBB2_656
; %bb.653:                              ;   in Loop: Header=BB2_124 Depth=2
	v_and_b32_e32 v4, 0x7f, v2
	v_cmp_ne_u32_e32 vcc, s75, v4
	v_mov_b32_e32 v3, 0x7f800001
	s_and_saveexec_b64 s[62:63], vcc
	s_cbranch_execz .LBB2_655
; %bb.654:                              ;   in Loop: Header=BB2_124 Depth=2
	v_and_b32_e32 v3, 7, v2
	v_ffbh_u32_e32 v19, v3
	v_min_u32_e32 v19, 32, v19
	v_subrev_u32_e32 v26, 28, v19
	v_lshlrev_b64 v[26:27], v26, v[2:3]
	v_lshrrev_b32_e32 v5, 3, v4
	v_sub_u32_e32 v19, 29, v19
	v_and_b32_e32 v26, 7, v26
	v_cmp_gt_u32_e32 vcc, 8, v4
	v_cndmask_b32_e32 v4, v5, v19, vcc
	v_cndmask_b32_e32 v3, v3, v26, vcc
	v_lshlrev_b32_e32 v5, 16, v18
	v_bfrev_b32_e32 v19, 60
	v_lshlrev_b32_e32 v3, 20, v3
	v_and_b32_e32 v5, 0x80000000, v5
	v_lshl_add_u32 v4, v4, 23, v19
	v_or3_b32 v3, v5, v4, v3
.LBB2_655:                              ;   in Loop: Header=BB2_124 Depth=2
	s_or_b64 exec, exec, s[62:63]
.LBB2_656:                              ;   in Loop: Header=BB2_124 Depth=2
	s_or_b64 exec, exec, s[60:61]
.LBB2_657:                              ;   in Loop: Header=BB2_124 Depth=2
	s_or_b64 exec, exec, s[24:25]
	v_max_f32_e32 v3, v3, v3
	v_max_f32_e32 v1, v1, v1
	;; [unrolled: 1-line block ×3, first 2 shown]
	s_branch .LBB2_672
.LBB2_658:                              ;   in Loop: Header=BB2_124 Depth=2
                                        ; implicit-def: $vgpr3
	s_cbranch_execz .LBB2_672
; %bb.659:                              ;   in Loop: Header=BB2_124 Depth=2
	v_mov_b32_e32 v3, 0
	v_mov_b32_e32 v1, 0
	s_and_saveexec_b64 s[24:25], s[22:23]
	s_cbranch_execz .LBB2_665
; %bb.660:                              ;   in Loop: Header=BB2_124 Depth=2
	v_cmp_ne_u16_e32 vcc, s74, v22
	v_bfrev_b32_e32 v1, 1
	s_and_saveexec_b64 s[22:23], vcc
	s_cbranch_execz .LBB2_664
; %bb.661:                              ;   in Loop: Header=BB2_124 Depth=2
	v_and_b32_e32 v4, 0x7f, v22
	v_cmp_ne_u32_e32 vcc, s75, v4
	v_mov_b32_e32 v1, 0x7f800001
	s_and_saveexec_b64 s[60:61], vcc
	s_cbranch_execz .LBB2_663
; %bb.662:                              ;   in Loop: Header=BB2_124 Depth=2
	v_and_b32_e32 v1, 7, v22
	v_ffbh_u32_e32 v19, v1
	v_min_u32_e32 v19, 32, v19
	v_subrev_u32_e32 v26, 28, v19
	v_lshlrev_b64 v[26:27], v26, v[22:23]
	v_lshrrev_b32_e32 v5, 3, v4
	v_sub_u32_e32 v19, 29, v19
	v_and_b32_e32 v22, 7, v26
	v_cmp_gt_u32_e32 vcc, 8, v4
	v_cndmask_b32_e32 v4, v5, v19, vcc
	v_cndmask_b32_e32 v1, v1, v22, vcc
	v_lshlrev_b32_e32 v5, 16, v54
	v_bfrev_b32_e32 v19, 60
	v_lshlrev_b32_e32 v1, 20, v1
	v_and_b32_e32 v5, 0x80000000, v5
	v_lshl_add_u32 v4, v4, 23, v19
	v_or3_b32 v1, v5, v4, v1
.LBB2_663:                              ;   in Loop: Header=BB2_124 Depth=2
	s_or_b64 exec, exec, s[60:61]
.LBB2_664:                              ;   in Loop: Header=BB2_124 Depth=2
	s_or_b64 exec, exec, s[22:23]
.LBB2_665:                              ;   in Loop: Header=BB2_124 Depth=2
	s_or_b64 exec, exec, s[24:25]
	v_cmp_ne_u16_e32 vcc, 0, v2
	s_and_saveexec_b64 s[22:23], vcc
	s_cbranch_execz .LBB2_671
; %bb.666:                              ;   in Loop: Header=BB2_124 Depth=2
	v_cmp_ne_u16_e32 vcc, s74, v2
	v_bfrev_b32_e32 v3, 1
	s_and_saveexec_b64 s[24:25], vcc
	s_cbranch_execz .LBB2_670
; %bb.667:                              ;   in Loop: Header=BB2_124 Depth=2
	v_and_b32_e32 v4, 0x7f, v2
	v_cmp_ne_u32_e32 vcc, s75, v4
	v_mov_b32_e32 v3, 0x7f800001
	s_and_saveexec_b64 s[60:61], vcc
	s_cbranch_execz .LBB2_669
; %bb.668:                              ;   in Loop: Header=BB2_124 Depth=2
	v_and_b32_e32 v5, 7, v2
	v_ffbh_u32_e32 v3, v5
	v_min_u32_e32 v22, 32, v3
	v_subrev_u32_e32 v3, 28, v22
	v_lshlrev_b64 v[2:3], v3, v[2:3]
	v_lshrrev_b32_e32 v19, 3, v4
	v_sub_u32_e32 v3, 29, v22
	v_and_b32_e32 v2, 7, v2
	v_cmp_gt_u32_e32 vcc, 8, v4
	v_cndmask_b32_e32 v3, v19, v3, vcc
	v_cndmask_b32_e32 v2, v5, v2, vcc
	v_lshlrev_b32_e32 v4, 16, v18
	v_bfrev_b32_e32 v5, 60
	v_lshlrev_b32_e32 v2, 20, v2
	v_and_b32_e32 v4, 0x80000000, v4
	v_lshl_add_u32 v3, v3, 23, v5
	v_or3_b32 v3, v4, v3, v2
.LBB2_669:                              ;   in Loop: Header=BB2_124 Depth=2
	s_or_b64 exec, exec, s[60:61]
.LBB2_670:                              ;   in Loop: Header=BB2_124 Depth=2
	s_or_b64 exec, exec, s[24:25]
.LBB2_671:                              ;   in Loop: Header=BB2_124 Depth=2
	s_or_b64 exec, exec, s[22:23]
	v_max_f32_e32 v2, v3, v3
	v_max_f32_e32 v1, v1, v1
	v_min_f32_e32 v3, v1, v2
.LBB2_672:                              ;   in Loop: Header=BB2_124 Depth=2
	v_and_b32_sdwa v1, v3, s74 dst_sel:DWORD dst_unused:UNUSED_PAD src0_sel:BYTE_3 src1_sel:DWORD
	v_and_b32_e32 v4, 0x7f800000, v3
	v_mov_b32_e32 v5, v55
	v_and_b32_e32 v54, 0x7fffff, v3
	v_or_b32_e32 v22, 0x7e, v1
	v_cmp_ne_u64_e32 vcc, s[44:45], v[4:5]
	s_and_saveexec_b64 s[22:23], vcc
	s_xor_b64 s[24:25], exec, s[22:23]
	s_cbranch_execz .LBB2_682
; %bb.673:                              ;   in Loop: Header=BB2_124 Depth=2
	v_and_b32_e32 v4, 0x7fffffff, v3
	v_mov_b32_e32 v5, v55
	v_cmp_gt_u64_e32 vcc, s[46:47], v[4:5]
	s_and_saveexec_b64 s[60:61], vcc
	s_cbranch_execz .LBB2_681
; %bb.674:                              ;   in Loop: Header=BB2_124 Depth=2
	v_cmp_ne_u32_e32 vcc, 0, v3
	v_mov_b32_e32 v22, 0
	s_and_saveexec_b64 s[62:63], vcc
	s_cbranch_execz .LBB2_680
; %bb.675:                              ;   in Loop: Header=BB2_124 Depth=2
	v_bfe_u32 v2, v3, 23, 8
	v_sub_u32_e32 v4, 0x79, v2
	v_cmp_gt_u32_e32 vcc, s77, v2
	v_add_u32_e32 v3, 0xffffff81, v2
	v_cndmask_b32_e32 v4, 0, v4, vcc
	v_cmp_eq_u32_e32 vcc, 0, v2
	v_mov_b32_e32 v2, 0xffffff82
	v_cndmask_b32_e32 v18, v3, v2, vcc
	v_mov_b32_e32 v2, 0x78
	v_or_b32_e32 v5, 0x800000, v54
	v_cndmask_b32_e32 v4, v4, v2, vcc
	v_cndmask_b32_e32 v54, v5, v54, vcc
	v_add_u32_e32 v2, 20, v4
	v_lshlrev_b64 v[2:3], v2, -1
	v_add_u32_e32 v5, 19, v4
	v_lshrrev_b64 v[38:39], v4, v[54:55]
	v_not_b32_e32 v3, v3
	v_not_b32_e32 v2, v2
	v_lshlrev_b64 v[26:27], v5, 1
	v_lshrrev_b32_e32 v5, 23, v38
	v_and_b32_e32 v3, 0, v3
	v_and_b32_e32 v2, v54, v2
	v_add3_u32 v18, v4, v18, v5
	v_bfe_u32 v4, v38, 20, 1
	v_add_u32_e32 v4, -1, v4
	v_cmp_eq_u64_e32 vcc, v[2:3], v[26:27]
	v_cndmask_b32_e32 v2, 0, v4, vcc
	v_add_u32_e32 v2, v2, v38
	v_and_b32_e32 v2, 0xfffff, v2
	v_add_co_u32_e32 v2, vcc, v2, v38
	v_add_u32_e32 v5, 6, v18
	v_addc_co_u32_e32 v3, vcc, 0, v39, vcc
	v_cmp_ne_u32_e32 vcc, 0, v5
                                        ; implicit-def: $vgpr4
	s_and_saveexec_b64 s[22:23], vcc
	s_xor_b64 s[22:23], exec, s[22:23]
; %bb.676:                              ;   in Loop: Header=BB2_124 Depth=2
	v_add_u32_e32 v4, 7, v18
	v_cmp_lt_u64_e32 vcc, s[50:51], v[2:3]
	v_cndmask_b32_e32 v4, v5, v4, vcc
	v_cndmask_b32_e64 v5, 0, 1, vcc
	v_lshrrev_b64 v[2:3], v5, v[2:3]
; %bb.677:                              ;   in Loop: Header=BB2_124 Depth=2
	s_andn2_saveexec_b64 s[22:23], s[22:23]
; %bb.678:                              ;   in Loop: Header=BB2_124 Depth=2
	v_bfe_u32 v4, v2, 23, 1
; %bb.679:                              ;   in Loop: Header=BB2_124 Depth=2
	s_or_b64 exec, exec, s[22:23]
	v_lshrrev_b64 v[2:3], 20, v[2:3]
	v_cmp_gt_i32_e32 vcc, 16, v4
	v_cndmask_b32_e32 v3, 0, v3, vcc
	v_cndmask_b32_e32 v2, 7, v2, vcc
	v_cmp_eq_u64_e64 s[22:23], 0, v[2:3]
	v_min_i32_e32 v3, 15, v4
	v_cmp_eq_u32_e32 vcc, 0, v4
	v_lshlrev_b32_e32 v3, 3, v3
	v_and_or_b32 v2, v2, 7, v3
	s_and_b64 s[22:23], vcc, s[22:23]
	v_cndmask_b32_e64 v2, v2, 0, s[22:23]
	v_or_b32_e32 v22, v2, v1
.LBB2_680:                              ;   in Loop: Header=BB2_124 Depth=2
	s_or_b64 exec, exec, s[62:63]
.LBB2_681:                              ;   in Loop: Header=BB2_124 Depth=2
	s_or_b64 exec, exec, s[60:61]
                                        ; implicit-def: $vgpr3
.LBB2_682:                              ;   in Loop: Header=BB2_124 Depth=2
	s_andn2_saveexec_b64 s[22:23], s[24:25]
; %bb.683:                              ;   in Loop: Header=BB2_124 Depth=2
	v_or_b32_sdwa v1, v3, s75 dst_sel:DWORD dst_unused:UNUSED_PAD src0_sel:BYTE_3 src1_sel:DWORD
	v_cmp_eq_u64_e32 vcc, 0, v[54:55]
	v_cndmask_b32_e32 v22, v1, v22, vcc
; %bb.684:                              ;   in Loop: Header=BB2_124 Depth=2
	s_or_b64 exec, exec, s[22:23]
	v_lshrrev_b32_e32 v18, 16, v25
	v_lshrrev_b32_e32 v2, 16, v21
	v_cmp_ne_u16_sdwa s[22:23], v18, v55 src0_sel:BYTE_0 src1_sel:DWORD
	s_and_b64 vcc, exec, s[58:59]
	s_cbranch_vccz .LBB2_698
; %bb.685:                              ;   in Loop: Header=BB2_124 Depth=2
	v_mov_b32_e32 v3, 0
	v_mov_b32_e32 v1, 0
	s_and_saveexec_b64 s[24:25], s[22:23]
	s_cbranch_execz .LBB2_691
; %bb.686:                              ;   in Loop: Header=BB2_124 Depth=2
	v_cmp_ne_u16_sdwa vcc, v18, s74 src0_sel:BYTE_0 src1_sel:DWORD
	v_bfrev_b32_e32 v1, 1
	s_and_saveexec_b64 s[60:61], vcc
	s_cbranch_execz .LBB2_690
; %bb.687:                              ;   in Loop: Header=BB2_124 Depth=2
	v_bfe_u32 v4, v25, 16, 7
	v_cmp_ne_u32_e32 vcc, s75, v4
	v_mov_b32_e32 v1, 0x7f800001
	s_and_saveexec_b64 s[62:63], vcc
	s_cbranch_execz .LBB2_689
; %bb.688:                              ;   in Loop: Header=BB2_124 Depth=2
	v_and_b32_e32 v1, 7, v18
	v_ffbh_u32_e32 v19, v1
	v_min_u32_e32 v19, 32, v19
	v_subrev_u32_e32 v26, 28, v19
	v_lshlrev_b64 v[26:27], v26, v[18:19]
	v_lshrrev_b32_e32 v5, 3, v4
	v_sub_u32_e32 v19, 29, v19
	v_and_b32_e32 v26, 7, v26
	v_cmp_gt_u32_e32 vcc, 8, v4
	v_cndmask_b32_e32 v4, v5, v19, vcc
	v_cndmask_b32_e32 v1, v1, v26, vcc
	v_lshlrev_b32_e32 v5, 24, v18
	v_bfrev_b32_e32 v19, 60
	v_lshlrev_b32_e32 v1, 20, v1
	v_and_b32_e32 v5, 0x80000000, v5
	v_lshl_add_u32 v4, v4, 23, v19
	v_or3_b32 v1, v5, v4, v1
.LBB2_689:                              ;   in Loop: Header=BB2_124 Depth=2
	s_or_b64 exec, exec, s[62:63]
.LBB2_690:                              ;   in Loop: Header=BB2_124 Depth=2
	s_or_b64 exec, exec, s[60:61]
.LBB2_691:                              ;   in Loop: Header=BB2_124 Depth=2
	s_or_b64 exec, exec, s[24:25]
	v_cmp_ne_u16_sdwa vcc, v2, v55 src0_sel:BYTE_0 src1_sel:DWORD
	s_and_saveexec_b64 s[24:25], vcc
	s_cbranch_execz .LBB2_697
; %bb.692:                              ;   in Loop: Header=BB2_124 Depth=2
	v_cmp_ne_u16_sdwa vcc, v2, s74 src0_sel:BYTE_0 src1_sel:DWORD
	v_bfrev_b32_e32 v3, 1
	s_and_saveexec_b64 s[60:61], vcc
	s_cbranch_execz .LBB2_696
; %bb.693:                              ;   in Loop: Header=BB2_124 Depth=2
	v_bfe_u32 v4, v21, 16, 7
	v_cmp_ne_u32_e32 vcc, s75, v4
	v_mov_b32_e32 v3, 0x7f800001
	s_and_saveexec_b64 s[62:63], vcc
	s_cbranch_execz .LBB2_695
; %bb.694:                              ;   in Loop: Header=BB2_124 Depth=2
	v_and_b32_e32 v3, 7, v2
	v_ffbh_u32_e32 v19, v3
	v_min_u32_e32 v19, 32, v19
	v_subrev_u32_e32 v26, 28, v19
	v_lshlrev_b64 v[26:27], v26, v[2:3]
	v_lshrrev_b32_e32 v5, 3, v4
	v_sub_u32_e32 v19, 29, v19
	v_and_b32_e32 v26, 7, v26
	v_cmp_gt_u32_e32 vcc, 8, v4
	v_cndmask_b32_e32 v4, v5, v19, vcc
	v_cndmask_b32_e32 v3, v3, v26, vcc
	v_lshlrev_b32_e32 v5, 24, v2
	v_bfrev_b32_e32 v19, 60
	v_lshlrev_b32_e32 v3, 20, v3
	v_and_b32_e32 v5, 0x80000000, v5
	v_lshl_add_u32 v4, v4, 23, v19
	v_or3_b32 v3, v5, v4, v3
.LBB2_695:                              ;   in Loop: Header=BB2_124 Depth=2
	s_or_b64 exec, exec, s[62:63]
.LBB2_696:                              ;   in Loop: Header=BB2_124 Depth=2
	s_or_b64 exec, exec, s[60:61]
.LBB2_697:                              ;   in Loop: Header=BB2_124 Depth=2
	s_or_b64 exec, exec, s[24:25]
	v_max_f32_e32 v3, v3, v3
	v_max_f32_e32 v1, v1, v1
	;; [unrolled: 1-line block ×3, first 2 shown]
	s_branch .LBB2_712
.LBB2_698:                              ;   in Loop: Header=BB2_124 Depth=2
                                        ; implicit-def: $vgpr3
	s_cbranch_execz .LBB2_712
; %bb.699:                              ;   in Loop: Header=BB2_124 Depth=2
	v_mov_b32_e32 v3, 0
	v_mov_b32_e32 v1, 0
	s_and_saveexec_b64 s[24:25], s[22:23]
	s_cbranch_execz .LBB2_705
; %bb.700:                              ;   in Loop: Header=BB2_124 Depth=2
	v_cmp_ne_u16_sdwa vcc, v18, s74 src0_sel:BYTE_0 src1_sel:DWORD
	v_bfrev_b32_e32 v1, 1
	s_and_saveexec_b64 s[22:23], vcc
	s_cbranch_execz .LBB2_704
; %bb.701:                              ;   in Loop: Header=BB2_124 Depth=2
	v_bfe_u32 v4, v25, 16, 7
	v_cmp_ne_u32_e32 vcc, s75, v4
	v_mov_b32_e32 v1, 0x7f800001
	s_and_saveexec_b64 s[60:61], vcc
	s_cbranch_execz .LBB2_703
; %bb.702:                              ;   in Loop: Header=BB2_124 Depth=2
	v_and_b32_e32 v1, 7, v18
	v_ffbh_u32_e32 v19, v1
	v_min_u32_e32 v19, 32, v19
	v_subrev_u32_e32 v26, 28, v19
	v_lshlrev_b64 v[26:27], v26, v[18:19]
	v_lshrrev_b32_e32 v5, 3, v4
	v_sub_u32_e32 v19, 29, v19
	v_and_b32_e32 v26, 7, v26
	v_cmp_gt_u32_e32 vcc, 8, v4
	v_cndmask_b32_e32 v4, v5, v19, vcc
	v_cndmask_b32_e32 v1, v1, v26, vcc
	v_lshlrev_b32_e32 v5, 24, v18
	v_bfrev_b32_e32 v18, 60
	v_lshlrev_b32_e32 v1, 20, v1
	v_and_b32_e32 v5, 0x80000000, v5
	v_lshl_add_u32 v4, v4, 23, v18
	v_or3_b32 v1, v5, v4, v1
.LBB2_703:                              ;   in Loop: Header=BB2_124 Depth=2
	s_or_b64 exec, exec, s[60:61]
.LBB2_704:                              ;   in Loop: Header=BB2_124 Depth=2
	s_or_b64 exec, exec, s[22:23]
.LBB2_705:                              ;   in Loop: Header=BB2_124 Depth=2
	s_or_b64 exec, exec, s[24:25]
	v_cmp_ne_u16_sdwa s[24:25], v2, v55 src0_sel:BYTE_0 src1_sel:DWORD
	s_and_saveexec_b64 s[22:23], s[24:25]
	s_cbranch_execz .LBB2_711
; %bb.706:                              ;   in Loop: Header=BB2_124 Depth=2
	v_cmp_ne_u16_sdwa vcc, v2, s74 src0_sel:BYTE_0 src1_sel:DWORD
	v_bfrev_b32_e32 v3, 1
	s_and_saveexec_b64 s[24:25], vcc
	s_cbranch_execz .LBB2_710
; %bb.707:                              ;   in Loop: Header=BB2_124 Depth=2
	v_bfe_u32 v4, v21, 16, 7
	v_cmp_ne_u32_e32 vcc, s75, v4
	v_mov_b32_e32 v3, 0x7f800001
	s_and_saveexec_b64 s[60:61], vcc
	s_cbranch_execz .LBB2_709
; %bb.708:                              ;   in Loop: Header=BB2_124 Depth=2
	v_and_b32_e32 v3, 7, v2
	v_ffbh_u32_e32 v18, v3
	v_min_u32_e32 v26, 32, v18
	v_subrev_u32_e32 v18, 28, v26
	v_lshlrev_b64 v[18:19], v18, v[2:3]
	v_lshrrev_b32_e32 v5, 3, v4
	v_sub_u32_e32 v19, 29, v26
	v_and_b32_e32 v18, 7, v18
	v_cmp_gt_u32_e32 vcc, 8, v4
	v_cndmask_b32_e32 v4, v5, v19, vcc
	v_cndmask_b32_e32 v3, v3, v18, vcc
	v_lshlrev_b32_e32 v2, 24, v2
	v_bfrev_b32_e32 v5, 60
	v_lshlrev_b32_e32 v3, 20, v3
	v_and_b32_e32 v2, 0x80000000, v2
	v_lshl_add_u32 v4, v4, 23, v5
	v_or3_b32 v3, v2, v4, v3
.LBB2_709:                              ;   in Loop: Header=BB2_124 Depth=2
	s_or_b64 exec, exec, s[60:61]
.LBB2_710:                              ;   in Loop: Header=BB2_124 Depth=2
	s_or_b64 exec, exec, s[24:25]
.LBB2_711:                              ;   in Loop: Header=BB2_124 Depth=2
	s_or_b64 exec, exec, s[22:23]
	v_max_f32_e32 v2, v3, v3
	v_max_f32_e32 v1, v1, v1
	v_min_f32_e32 v3, v1, v2
.LBB2_712:                              ;   in Loop: Header=BB2_124 Depth=2
	v_and_b32_sdwa v4, v3, s74 dst_sel:DWORD dst_unused:UNUSED_PAD src0_sel:BYTE_3 src1_sel:DWORD
	v_and_b32_e32 v18, 0x7f800000, v3
	v_mov_b32_e32 v19, v55
	v_and_b32_e32 v54, 0x7fffff, v3
	v_or_b32_e32 v1, 0x7e, v4
	v_cmp_ne_u64_e32 vcc, s[44:45], v[18:19]
	s_and_saveexec_b64 s[22:23], vcc
	s_xor_b64 s[24:25], exec, s[22:23]
	s_cbranch_execz .LBB2_722
; %bb.713:                              ;   in Loop: Header=BB2_124 Depth=2
	v_and_b32_e32 v18, 0x7fffffff, v3
	v_mov_b32_e32 v19, v55
	v_cmp_gt_u64_e32 vcc, s[46:47], v[18:19]
	s_and_saveexec_b64 s[60:61], vcc
	s_cbranch_execz .LBB2_721
; %bb.714:                              ;   in Loop: Header=BB2_124 Depth=2
	v_cmp_ne_u32_e32 vcc, 0, v3
	v_mov_b32_e32 v1, 0
	s_and_saveexec_b64 s[62:63], vcc
	s_cbranch_execz .LBB2_720
; %bb.715:                              ;   in Loop: Header=BB2_124 Depth=2
	v_bfe_u32 v1, v3, 23, 8
	v_sub_u32_e32 v3, 0x79, v1
	v_cmp_gt_u32_e32 vcc, s77, v1
	v_add_u32_e32 v2, 0xffffff81, v1
	v_cndmask_b32_e32 v3, 0, v3, vcc
	v_cmp_eq_u32_e32 vcc, 0, v1
	v_mov_b32_e32 v1, 0xffffff82
	v_cndmask_b32_e32 v1, v2, v1, vcc
	v_mov_b32_e32 v2, 0x78
	v_or_b32_e32 v5, 0x800000, v54
	v_cndmask_b32_e32 v18, v3, v2, vcc
	v_cndmask_b32_e32 v54, v5, v54, vcc
	v_add_u32_e32 v2, 20, v18
	v_lshlrev_b64 v[2:3], v2, -1
	v_add_u32_e32 v5, 19, v18
	v_lshrrev_b64 v[38:39], v18, v[54:55]
	v_not_b32_e32 v3, v3
	v_not_b32_e32 v2, v2
	v_lshlrev_b64 v[26:27], v5, 1
	v_lshrrev_b32_e32 v5, 23, v38
	v_and_b32_e32 v3, 0, v3
	v_and_b32_e32 v2, v54, v2
	v_add3_u32 v18, v18, v1, v5
	v_bfe_u32 v1, v38, 20, 1
	v_add_u32_e32 v1, -1, v1
	v_cmp_eq_u64_e32 vcc, v[2:3], v[26:27]
	v_cndmask_b32_e32 v1, 0, v1, vcc
	v_add_u32_e32 v1, v1, v38
	v_and_b32_e32 v1, 0xfffff, v1
	v_add_co_u32_e32 v2, vcc, v1, v38
	v_add_u32_e32 v5, 6, v18
	v_addc_co_u32_e32 v3, vcc, 0, v39, vcc
	v_cmp_ne_u32_e32 vcc, 0, v5
                                        ; implicit-def: $vgpr1
	s_and_saveexec_b64 s[22:23], vcc
	s_xor_b64 s[22:23], exec, s[22:23]
; %bb.716:                              ;   in Loop: Header=BB2_124 Depth=2
	v_add_u32_e32 v1, 7, v18
	v_cmp_lt_u64_e32 vcc, s[50:51], v[2:3]
	v_cndmask_b32_e32 v1, v5, v1, vcc
	v_cndmask_b32_e64 v5, 0, 1, vcc
	v_lshrrev_b64 v[2:3], v5, v[2:3]
; %bb.717:                              ;   in Loop: Header=BB2_124 Depth=2
	s_andn2_saveexec_b64 s[22:23], s[22:23]
; %bb.718:                              ;   in Loop: Header=BB2_124 Depth=2
	v_bfe_u32 v1, v2, 23, 1
; %bb.719:                              ;   in Loop: Header=BB2_124 Depth=2
	s_or_b64 exec, exec, s[22:23]
	v_lshrrev_b64 v[2:3], 20, v[2:3]
	v_cmp_gt_i32_e32 vcc, 16, v1
	v_cndmask_b32_e32 v3, 0, v3, vcc
	v_cndmask_b32_e32 v2, 7, v2, vcc
	v_cmp_eq_u32_e32 vcc, 0, v1
	v_min_i32_e32 v1, 15, v1
	v_lshlrev_b32_e32 v1, 3, v1
	v_cmp_eq_u64_e64 s[22:23], 0, v[2:3]
	v_and_b32_e32 v1, 0xf8, v1
	v_and_or_b32 v1, v2, 7, v1
	s_and_b64 s[22:23], vcc, s[22:23]
	v_cndmask_b32_e64 v1, v1, 0, s[22:23]
	v_or_b32_e32 v1, v1, v4
.LBB2_720:                              ;   in Loop: Header=BB2_124 Depth=2
	s_or_b64 exec, exec, s[62:63]
.LBB2_721:                              ;   in Loop: Header=BB2_124 Depth=2
	s_or_b64 exec, exec, s[60:61]
                                        ; implicit-def: $vgpr3
.LBB2_722:                              ;   in Loop: Header=BB2_124 Depth=2
	s_andn2_saveexec_b64 s[22:23], s[24:25]
; %bb.723:                              ;   in Loop: Header=BB2_124 Depth=2
	v_or_b32_sdwa v2, v3, s75 dst_sel:DWORD dst_unused:UNUSED_PAD src0_sel:BYTE_3 src1_sel:DWORD
	v_cmp_eq_u64_e32 vcc, 0, v[54:55]
	v_cndmask_b32_e32 v1, v2, v1, vcc
; %bb.724:                              ;   in Loop: Header=BB2_124 Depth=2
	s_or_b64 exec, exec, s[22:23]
	v_lshrrev_b32_e32 v18, 24, v25
	v_lshrrev_b32_e32 v2, 24, v21
	v_cmp_lt_u64_e64 s[22:23], s[48:49], v[24:25]
	s_and_b64 vcc, exec, s[58:59]
	s_cbranch_vccz .LBB2_738
; %bb.725:                              ;   in Loop: Header=BB2_124 Depth=2
	v_mov_b32_e32 v4, 0
	v_mov_b32_e32 v3, 0
	s_and_saveexec_b64 s[24:25], s[22:23]
	s_cbranch_execz .LBB2_731
; %bb.726:                              ;   in Loop: Header=BB2_124 Depth=2
	v_cmp_ne_u32_e32 vcc, s74, v18
	v_bfrev_b32_e32 v3, 1
	s_and_saveexec_b64 s[60:61], vcc
	s_cbranch_execz .LBB2_730
; %bb.727:                              ;   in Loop: Header=BB2_124 Depth=2
	v_bfe_u32 v5, v25, 24, 7
	v_cmp_ne_u32_e32 vcc, s75, v5
	v_mov_b32_e32 v3, 0x7f800001
	s_and_saveexec_b64 s[62:63], vcc
	s_cbranch_execz .LBB2_729
; %bb.728:                              ;   in Loop: Header=BB2_124 Depth=2
	v_and_b32_e32 v3, 7, v18
	v_ffbh_u32_e32 v24, v3
	v_min_u32_e32 v24, 32, v24
	v_lshrrev_b32_e32 v19, 3, v5
	v_subrev_u32_e32 v26, 28, v24
	v_lshlrev_b64 v[26:27], v26, v[18:19]
	v_sub_u32_e32 v24, 29, v24
	v_and_b32_e32 v26, 7, v26
	v_cmp_gt_u32_e32 vcc, 8, v5
	v_cndmask_b32_e32 v5, v19, v24, vcc
	v_cndmask_b32_e32 v3, v3, v26, vcc
	v_lshlrev_b32_e32 v19, 24, v18
	v_bfrev_b32_e32 v24, 60
	v_lshlrev_b32_e32 v3, 20, v3
	v_and_b32_e32 v19, 0x80000000, v19
	v_lshl_add_u32 v5, v5, 23, v24
	v_or3_b32 v3, v19, v5, v3
.LBB2_729:                              ;   in Loop: Header=BB2_124 Depth=2
	s_or_b64 exec, exec, s[62:63]
.LBB2_730:                              ;   in Loop: Header=BB2_124 Depth=2
	s_or_b64 exec, exec, s[60:61]
.LBB2_731:                              ;   in Loop: Header=BB2_124 Depth=2
	s_or_b64 exec, exec, s[24:25]
	v_cmp_lt_u64_e32 vcc, s[48:49], v[20:21]
	s_and_saveexec_b64 s[24:25], vcc
	s_cbranch_execz .LBB2_737
; %bb.732:                              ;   in Loop: Header=BB2_124 Depth=2
	v_cmp_ne_u32_e32 vcc, s74, v2
	v_bfrev_b32_e32 v4, 1
	s_and_saveexec_b64 s[60:61], vcc
	s_cbranch_execz .LBB2_736
; %bb.733:                              ;   in Loop: Header=BB2_124 Depth=2
	v_bfe_u32 v5, v21, 24, 7
	v_cmp_ne_u32_e32 vcc, s75, v5
	v_mov_b32_e32 v4, 0x7f800001
	s_and_saveexec_b64 s[62:63], vcc
	s_cbranch_execz .LBB2_735
; %bb.734:                              ;   in Loop: Header=BB2_124 Depth=2
	v_and_b32_e32 v4, 7, v2
	v_ffbh_u32_e32 v24, v4
	v_min_u32_e32 v24, 32, v24
	v_subrev_u32_e32 v26, 28, v24
	v_lshlrev_b64 v[26:27], v26, v[2:3]
	v_lshrrev_b32_e32 v19, 3, v5
	v_sub_u32_e32 v24, 29, v24
	v_and_b32_e32 v26, 7, v26
	v_cmp_gt_u32_e32 vcc, 8, v5
	v_cndmask_b32_e32 v5, v19, v24, vcc
	v_cndmask_b32_e32 v4, v4, v26, vcc
	v_lshlrev_b32_e32 v19, 24, v2
	v_bfrev_b32_e32 v24, 60
	v_lshlrev_b32_e32 v4, 20, v4
	v_and_b32_e32 v19, 0x80000000, v19
	v_lshl_add_u32 v5, v5, 23, v24
	v_or3_b32 v4, v19, v5, v4
.LBB2_735:                              ;   in Loop: Header=BB2_124 Depth=2
	s_or_b64 exec, exec, s[62:63]
.LBB2_736:                              ;   in Loop: Header=BB2_124 Depth=2
	s_or_b64 exec, exec, s[60:61]
.LBB2_737:                              ;   in Loop: Header=BB2_124 Depth=2
	s_or_b64 exec, exec, s[24:25]
	v_max_f32_e32 v4, v4, v4
	v_max_f32_e32 v3, v3, v3
	;; [unrolled: 1-line block ×3, first 2 shown]
	s_branch .LBB2_752
.LBB2_738:                              ;   in Loop: Header=BB2_124 Depth=2
                                        ; implicit-def: $vgpr3
	s_cbranch_execz .LBB2_752
; %bb.739:                              ;   in Loop: Header=BB2_124 Depth=2
	v_mov_b32_e32 v4, 0
	v_mov_b32_e32 v3, 0
	s_and_saveexec_b64 s[24:25], s[22:23]
	s_cbranch_execz .LBB2_745
; %bb.740:                              ;   in Loop: Header=BB2_124 Depth=2
	v_cmp_ne_u32_e32 vcc, s74, v18
	v_bfrev_b32_e32 v3, 1
	s_and_saveexec_b64 s[22:23], vcc
	s_cbranch_execz .LBB2_744
; %bb.741:                              ;   in Loop: Header=BB2_124 Depth=2
	v_bfe_u32 v5, v25, 24, 7
	v_cmp_ne_u32_e32 vcc, s75, v5
	v_mov_b32_e32 v3, 0x7f800001
	s_and_saveexec_b64 s[60:61], vcc
	s_cbranch_execz .LBB2_743
; %bb.742:                              ;   in Loop: Header=BB2_124 Depth=2
	v_and_b32_e32 v3, 7, v18
	v_ffbh_u32_e32 v24, v3
	v_min_u32_e32 v26, 32, v24
	v_lshrrev_b32_e32 v19, 3, v5
	v_subrev_u32_e32 v24, 28, v26
	v_lshlrev_b64 v[24:25], v24, v[18:19]
	v_sub_u32_e32 v25, 29, v26
	v_and_b32_e32 v24, 7, v24
	v_cmp_gt_u32_e32 vcc, 8, v5
	v_cndmask_b32_e32 v5, v19, v25, vcc
	v_cndmask_b32_e32 v3, v3, v24, vcc
	v_lshlrev_b32_e32 v18, 24, v18
	v_bfrev_b32_e32 v19, 60
	v_lshlrev_b32_e32 v3, 20, v3
	v_and_b32_e32 v18, 0x80000000, v18
	v_lshl_add_u32 v5, v5, 23, v19
	v_or3_b32 v3, v18, v5, v3
.LBB2_743:                              ;   in Loop: Header=BB2_124 Depth=2
	s_or_b64 exec, exec, s[60:61]
.LBB2_744:                              ;   in Loop: Header=BB2_124 Depth=2
	s_or_b64 exec, exec, s[22:23]
.LBB2_745:                              ;   in Loop: Header=BB2_124 Depth=2
	s_or_b64 exec, exec, s[24:25]
	v_cmp_lt_u64_e32 vcc, s[48:49], v[20:21]
	s_and_saveexec_b64 s[22:23], vcc
	s_cbranch_execz .LBB2_751
; %bb.746:                              ;   in Loop: Header=BB2_124 Depth=2
	v_cmp_ne_u32_e32 vcc, s74, v2
	v_bfrev_b32_e32 v4, 1
	s_and_saveexec_b64 s[24:25], vcc
	s_cbranch_execz .LBB2_750
; %bb.747:                              ;   in Loop: Header=BB2_124 Depth=2
	v_bfe_u32 v5, v21, 24, 7
	v_cmp_ne_u32_e32 vcc, s75, v5
	v_mov_b32_e32 v4, 0x7f800001
	s_and_saveexec_b64 s[60:61], vcc
	s_cbranch_execz .LBB2_749
; %bb.748:                              ;   in Loop: Header=BB2_124 Depth=2
	v_and_b32_e32 v4, 7, v2
	v_ffbh_u32_e32 v18, v4
	v_min_u32_e32 v21, 32, v18
	v_subrev_u32_e32 v18, 28, v21
	v_lshlrev_b64 v[18:19], v18, v[2:3]
	v_lshrrev_b32_e32 v20, 3, v5
	v_sub_u32_e32 v19, 29, v21
	v_and_b32_e32 v18, 7, v18
	v_cmp_gt_u32_e32 vcc, 8, v5
	v_cndmask_b32_e32 v5, v20, v19, vcc
	v_cndmask_b32_e32 v4, v4, v18, vcc
	v_lshlrev_b32_e32 v2, 24, v2
	v_bfrev_b32_e32 v18, 60
	v_lshlrev_b32_e32 v4, 20, v4
	v_and_b32_e32 v2, 0x80000000, v2
	v_lshl_add_u32 v5, v5, 23, v18
	v_or3_b32 v4, v2, v5, v4
.LBB2_749:                              ;   in Loop: Header=BB2_124 Depth=2
	s_or_b64 exec, exec, s[60:61]
.LBB2_750:                              ;   in Loop: Header=BB2_124 Depth=2
	s_or_b64 exec, exec, s[24:25]
.LBB2_751:                              ;   in Loop: Header=BB2_124 Depth=2
	s_or_b64 exec, exec, s[22:23]
	v_max_f32_e32 v2, v4, v4
	v_max_f32_e32 v3, v3, v3
	v_min_f32_e32 v3, v3, v2
.LBB2_752:                              ;   in Loop: Header=BB2_124 Depth=2
	v_and_b32_sdwa v4, v3, s74 dst_sel:DWORD dst_unused:UNUSED_PAD src0_sel:BYTE_3 src1_sel:DWORD
	v_and_b32_e32 v18, 0x7f800000, v3
	v_mov_b32_e32 v19, v55
	v_and_b32_e32 v54, 0x7fffff, v3
	v_or_b32_e32 v21, 0x7e, v4
	v_cmp_ne_u64_e32 vcc, s[44:45], v[18:19]
	s_and_saveexec_b64 s[22:23], vcc
	s_xor_b64 s[24:25], exec, s[22:23]
	s_cbranch_execz .LBB2_762
; %bb.753:                              ;   in Loop: Header=BB2_124 Depth=2
	v_and_b32_e32 v18, 0x7fffffff, v3
	v_mov_b32_e32 v19, v55
	v_cmp_gt_u64_e32 vcc, s[46:47], v[18:19]
	s_and_saveexec_b64 s[60:61], vcc
	s_cbranch_execz .LBB2_761
; %bb.754:                              ;   in Loop: Header=BB2_124 Depth=2
	v_cmp_ne_u32_e32 vcc, 0, v3
	v_mov_b32_e32 v21, 0
	s_and_saveexec_b64 s[62:63], vcc
	s_cbranch_execz .LBB2_760
; %bb.755:                              ;   in Loop: Header=BB2_124 Depth=2
	v_bfe_u32 v2, v3, 23, 8
	v_sub_u32_e32 v5, 0x79, v2
	v_cmp_gt_u32_e32 vcc, s77, v2
	v_add_u32_e32 v3, 0xffffff81, v2
	v_cndmask_b32_e32 v5, 0, v5, vcc
	v_cmp_eq_u32_e32 vcc, 0, v2
	v_mov_b32_e32 v2, 0xffffff82
	v_cndmask_b32_e32 v19, v3, v2, vcc
	v_mov_b32_e32 v2, 0x78
	v_or_b32_e32 v18, 0x800000, v54
	v_cndmask_b32_e32 v5, v5, v2, vcc
	v_cndmask_b32_e32 v54, v18, v54, vcc
	v_add_u32_e32 v2, 20, v5
	v_lshlrev_b64 v[2:3], v2, -1
	v_add_u32_e32 v18, 19, v5
	v_lshrrev_b64 v[24:25], v5, v[54:55]
	v_not_b32_e32 v3, v3
	v_not_b32_e32 v2, v2
	v_lshlrev_b64 v[20:21], v18, 1
	v_lshrrev_b32_e32 v18, 23, v24
	v_and_b32_e32 v3, 0, v3
	v_and_b32_e32 v2, v54, v2
	v_add3_u32 v19, v5, v19, v18
	v_bfe_u32 v5, v24, 20, 1
	v_add_u32_e32 v5, -1, v5
	v_cmp_eq_u64_e32 vcc, v[2:3], v[20:21]
	v_cndmask_b32_e32 v2, 0, v5, vcc
	v_add_u32_e32 v2, v2, v24
	v_and_b32_e32 v2, 0xfffff, v2
	v_add_co_u32_e32 v2, vcc, v2, v24
	v_add_u32_e32 v18, 6, v19
	v_addc_co_u32_e32 v3, vcc, 0, v25, vcc
	v_cmp_ne_u32_e32 vcc, 0, v18
                                        ; implicit-def: $vgpr5
	s_and_saveexec_b64 s[22:23], vcc
	s_xor_b64 s[22:23], exec, s[22:23]
; %bb.756:                              ;   in Loop: Header=BB2_124 Depth=2
	v_add_u32_e32 v5, 7, v19
	v_cmp_lt_u64_e32 vcc, s[50:51], v[2:3]
	v_cndmask_b32_e32 v5, v18, v5, vcc
	v_cndmask_b32_e64 v18, 0, 1, vcc
	v_lshrrev_b64 v[2:3], v18, v[2:3]
; %bb.757:                              ;   in Loop: Header=BB2_124 Depth=2
	s_andn2_saveexec_b64 s[22:23], s[22:23]
; %bb.758:                              ;   in Loop: Header=BB2_124 Depth=2
	v_bfe_u32 v5, v2, 23, 1
; %bb.759:                              ;   in Loop: Header=BB2_124 Depth=2
	s_or_b64 exec, exec, s[22:23]
	v_lshrrev_b64 v[2:3], 20, v[2:3]
	v_cmp_gt_i32_e32 vcc, 16, v5
	v_cndmask_b32_e32 v3, 0, v3, vcc
	v_cndmask_b32_e32 v2, 7, v2, vcc
	v_cmp_eq_u64_e64 s[22:23], 0, v[2:3]
	v_min_i32_e32 v3, 15, v5
	v_lshlrev_b32_e32 v3, 3, v3
	v_cmp_eq_u32_e32 vcc, 0, v5
	v_and_b32_e32 v3, 0xf8, v3
	v_and_or_b32 v2, v2, 7, v3
	s_and_b64 s[22:23], vcc, s[22:23]
	v_cndmask_b32_e64 v2, v2, 0, s[22:23]
	v_or_b32_e32 v21, v2, v4
.LBB2_760:                              ;   in Loop: Header=BB2_124 Depth=2
	s_or_b64 exec, exec, s[62:63]
.LBB2_761:                              ;   in Loop: Header=BB2_124 Depth=2
	s_or_b64 exec, exec, s[60:61]
                                        ; implicit-def: $vgpr3
.LBB2_762:                              ;   in Loop: Header=BB2_124 Depth=2
	s_andn2_saveexec_b64 s[22:23], s[24:25]
; %bb.763:                              ;   in Loop: Header=BB2_124 Depth=2
	v_or_b32_sdwa v2, v3, s75 dst_sel:DWORD dst_unused:UNUSED_PAD src0_sel:BYTE_3 src1_sel:DWORD
	v_cmp_eq_u64_e32 vcc, 0, v[54:55]
	v_cndmask_b32_e32 v21, v2, v21, vcc
; %bb.764:                              ;   in Loop: Header=BB2_124 Depth=2
	s_or_b64 exec, exec, s[22:23]
	v_cndmask_b32_e64 v2, 0, 1, s[58:59]
	v_cmp_ne_u32_e64 s[22:23], 1, v2
	s_andn2_b64 vcc, exec, s[58:59]
	v_cmp_ne_u16_sdwa s[24:25], v14, v55 src0_sel:BYTE_0 src1_sel:DWORD
	s_cbranch_vccnz .LBB2_778
; %bb.765:                              ;   in Loop: Header=BB2_124 Depth=2
	v_mov_b32_e32 v3, 0
	v_mov_b32_e32 v2, 0
	s_and_saveexec_b64 s[60:61], s[24:25]
	s_cbranch_execz .LBB2_771
; %bb.766:                              ;   in Loop: Header=BB2_124 Depth=2
	v_cmp_ne_u16_sdwa vcc, v14, s74 src0_sel:BYTE_0 src1_sel:DWORD
	v_bfrev_b32_e32 v2, 1
	s_and_saveexec_b64 s[62:63], vcc
	s_cbranch_execz .LBB2_770
; %bb.767:                              ;   in Loop: Header=BB2_124 Depth=2
	v_and_b32_e32 v4, 0x7f, v14
	v_cmp_ne_u32_e32 vcc, s75, v4
	v_mov_b32_e32 v2, 0x7f800001
	s_and_saveexec_b64 s[64:65], vcc
	s_cbranch_execz .LBB2_769
; %bb.768:                              ;   in Loop: Header=BB2_124 Depth=2
	v_and_b32_e32 v2, 7, v14
	v_ffbh_u32_e32 v2, v2
	v_min_u32_e32 v2, 32, v2
	v_subrev_u32_e32 v18, 28, v2
	v_cmp_gt_u32_e32 vcc, 8, v4
	v_lshrrev_b32_e32 v5, 3, v4
	v_sub_u32_e32 v2, 29, v2
	v_cndmask_b32_e32 v4, 0, v18, vcc
	v_cndmask_b32_e32 v2, v5, v2, vcc
	v_lshlrev_b64 v[4:5], v4, v[14:15]
	v_lshlrev_b32_e32 v4, 20, v4
	v_lshlrev_b32_e32 v5, 24, v14
	v_bfrev_b32_e32 v18, 60
	v_and_b32_e32 v4, 0x700000, v4
	v_and_b32_e32 v5, 0x80000000, v5
	v_lshl_add_u32 v2, v2, 23, v18
	v_or3_b32 v2, v5, v2, v4
.LBB2_769:                              ;   in Loop: Header=BB2_124 Depth=2
	s_or_b64 exec, exec, s[64:65]
.LBB2_770:                              ;   in Loop: Header=BB2_124 Depth=2
	s_or_b64 exec, exec, s[62:63]
.LBB2_771:                              ;   in Loop: Header=BB2_124 Depth=2
	s_or_b64 exec, exec, s[60:61]
	v_cmp_ne_u16_sdwa vcc, v10, v55 src0_sel:BYTE_0 src1_sel:DWORD
	s_and_saveexec_b64 s[60:61], vcc
	s_cbranch_execz .LBB2_777
; %bb.772:                              ;   in Loop: Header=BB2_124 Depth=2
	v_cmp_ne_u16_sdwa vcc, v10, s74 src0_sel:BYTE_0 src1_sel:DWORD
	v_bfrev_b32_e32 v3, 1
	s_and_saveexec_b64 s[62:63], vcc
	s_cbranch_execz .LBB2_776
; %bb.773:                              ;   in Loop: Header=BB2_124 Depth=2
	v_and_b32_e32 v4, 0x7f, v10
	v_cmp_ne_u32_e32 vcc, s75, v4
	v_mov_b32_e32 v3, 0x7f800001
	s_and_saveexec_b64 s[64:65], vcc
	s_cbranch_execz .LBB2_775
; %bb.774:                              ;   in Loop: Header=BB2_124 Depth=2
	v_and_b32_e32 v3, 7, v10
	v_ffbh_u32_e32 v3, v3
	v_min_u32_e32 v3, 32, v3
	v_subrev_u32_e32 v18, 28, v3
	v_cmp_gt_u32_e32 vcc, 8, v4
	v_lshrrev_b32_e32 v5, 3, v4
	v_sub_u32_e32 v3, 29, v3
	v_cndmask_b32_e32 v4, 0, v18, vcc
	v_cndmask_b32_e32 v3, v5, v3, vcc
	v_lshlrev_b64 v[4:5], v4, v[10:11]
	v_lshlrev_b32_e32 v4, 20, v4
	v_lshlrev_b32_e32 v5, 24, v10
	v_bfrev_b32_e32 v18, 60
	v_and_b32_e32 v4, 0x700000, v4
	v_and_b32_e32 v5, 0x80000000, v5
	v_lshl_add_u32 v3, v3, 23, v18
	v_or3_b32 v3, v5, v3, v4
.LBB2_775:                              ;   in Loop: Header=BB2_124 Depth=2
	s_or_b64 exec, exec, s[64:65]
.LBB2_776:                              ;   in Loop: Header=BB2_124 Depth=2
	s_or_b64 exec, exec, s[62:63]
.LBB2_777:                              ;   in Loop: Header=BB2_124 Depth=2
	s_or_b64 exec, exec, s[60:61]
	v_max_f32_e32 v3, v3, v3
	v_max_f32_e32 v2, v2, v2
	;; [unrolled: 1-line block ×3, first 2 shown]
	s_branch .LBB2_792
.LBB2_778:                              ;   in Loop: Header=BB2_124 Depth=2
                                        ; implicit-def: $vgpr2
	s_cbranch_execz .LBB2_792
; %bb.779:                              ;   in Loop: Header=BB2_124 Depth=2
	v_mov_b32_e32 v3, 0
	v_mov_b32_e32 v2, 0
	s_and_saveexec_b64 s[60:61], s[24:25]
	s_cbranch_execz .LBB2_785
; %bb.780:                              ;   in Loop: Header=BB2_124 Depth=2
	v_cmp_ne_u16_sdwa vcc, v14, s74 src0_sel:BYTE_0 src1_sel:DWORD
	v_bfrev_b32_e32 v2, 1
	s_and_saveexec_b64 s[24:25], vcc
	s_cbranch_execz .LBB2_784
; %bb.781:                              ;   in Loop: Header=BB2_124 Depth=2
	v_and_b32_e32 v4, 0x7f, v14
	v_cmp_ne_u32_e32 vcc, s75, v4
	v_mov_b32_e32 v2, 0x7f800001
	s_and_saveexec_b64 s[62:63], vcc
	s_cbranch_execz .LBB2_783
; %bb.782:                              ;   in Loop: Header=BB2_124 Depth=2
	v_and_b32_e32 v2, 7, v14
	v_ffbh_u32_e32 v2, v2
	v_min_u32_e32 v2, 32, v2
	v_subrev_u32_e32 v18, 28, v2
	v_cmp_gt_u32_e32 vcc, 8, v4
	v_lshrrev_b32_e32 v5, 3, v4
	v_sub_u32_e32 v2, 29, v2
	v_cndmask_b32_e32 v4, 0, v18, vcc
	v_cndmask_b32_e32 v2, v5, v2, vcc
	v_lshlrev_b64 v[4:5], v4, v[14:15]
	v_lshlrev_b32_e32 v4, 20, v4
	v_lshlrev_b32_e32 v5, 24, v14
	v_bfrev_b32_e32 v18, 60
	v_and_b32_e32 v4, 0x700000, v4
	v_and_b32_e32 v5, 0x80000000, v5
	v_lshl_add_u32 v2, v2, 23, v18
	v_or3_b32 v2, v5, v2, v4
.LBB2_783:                              ;   in Loop: Header=BB2_124 Depth=2
	s_or_b64 exec, exec, s[62:63]
.LBB2_784:                              ;   in Loop: Header=BB2_124 Depth=2
	s_or_b64 exec, exec, s[24:25]
.LBB2_785:                              ;   in Loop: Header=BB2_124 Depth=2
	s_or_b64 exec, exec, s[60:61]
	v_cmp_ne_u16_sdwa vcc, v10, v55 src0_sel:BYTE_0 src1_sel:DWORD
	s_and_saveexec_b64 s[24:25], vcc
	s_cbranch_execz .LBB2_791
; %bb.786:                              ;   in Loop: Header=BB2_124 Depth=2
	v_cmp_ne_u16_sdwa vcc, v10, s74 src0_sel:BYTE_0 src1_sel:DWORD
	v_bfrev_b32_e32 v3, 1
	s_and_saveexec_b64 s[60:61], vcc
	s_cbranch_execz .LBB2_790
; %bb.787:                              ;   in Loop: Header=BB2_124 Depth=2
	v_and_b32_e32 v4, 0x7f, v10
	v_cmp_ne_u32_e32 vcc, s75, v4
	v_mov_b32_e32 v3, 0x7f800001
	s_and_saveexec_b64 s[62:63], vcc
	s_cbranch_execz .LBB2_789
; %bb.788:                              ;   in Loop: Header=BB2_124 Depth=2
	v_and_b32_e32 v3, 7, v10
	v_ffbh_u32_e32 v3, v3
	v_min_u32_e32 v3, 32, v3
	v_subrev_u32_e32 v18, 28, v3
	v_cmp_gt_u32_e32 vcc, 8, v4
	v_lshrrev_b32_e32 v5, 3, v4
	v_sub_u32_e32 v3, 29, v3
	v_cndmask_b32_e32 v4, 0, v18, vcc
	v_cndmask_b32_e32 v3, v5, v3, vcc
	v_lshlrev_b64 v[4:5], v4, v[10:11]
	v_lshlrev_b32_e32 v4, 20, v4
	v_lshlrev_b32_e32 v5, 24, v10
	v_bfrev_b32_e32 v18, 60
	v_and_b32_e32 v4, 0x700000, v4
	v_and_b32_e32 v5, 0x80000000, v5
	v_lshl_add_u32 v3, v3, 23, v18
	v_or3_b32 v3, v5, v3, v4
.LBB2_789:                              ;   in Loop: Header=BB2_124 Depth=2
	s_or_b64 exec, exec, s[62:63]
.LBB2_790:                              ;   in Loop: Header=BB2_124 Depth=2
	s_or_b64 exec, exec, s[60:61]
.LBB2_791:                              ;   in Loop: Header=BB2_124 Depth=2
	s_or_b64 exec, exec, s[24:25]
	v_max_f32_e32 v3, v3, v3
	v_max_f32_e32 v2, v2, v2
	v_min_f32_e32 v2, v2, v3
.LBB2_792:                              ;   in Loop: Header=BB2_124 Depth=2
	v_and_b32_sdwa v4, v2, s74 dst_sel:DWORD dst_unused:UNUSED_PAD src0_sel:BYTE_3 src1_sel:DWORD
	v_and_b32_e32 v18, 0x7f800000, v2
	v_mov_b32_e32 v19, v55
	v_and_b32_e32 v54, 0x7fffff, v2
	v_or_b32_e32 v24, 0x7e, v4
	v_cmp_ne_u64_e32 vcc, s[44:45], v[18:19]
	s_and_saveexec_b64 s[24:25], vcc
	s_xor_b64 s[60:61], exec, s[24:25]
	s_cbranch_execz .LBB2_802
; %bb.793:                              ;   in Loop: Header=BB2_124 Depth=2
	v_and_b32_e32 v18, 0x7fffffff, v2
	v_mov_b32_e32 v19, v55
	v_cmp_gt_u64_e32 vcc, s[46:47], v[18:19]
	s_and_saveexec_b64 s[62:63], vcc
	s_cbranch_execz .LBB2_801
; %bb.794:                              ;   in Loop: Header=BB2_124 Depth=2
	v_cmp_ne_u32_e32 vcc, 0, v2
	v_mov_b32_e32 v24, 0
	s_and_saveexec_b64 s[64:65], vcc
	s_cbranch_execz .LBB2_800
; %bb.795:                              ;   in Loop: Header=BB2_124 Depth=2
	v_bfe_u32 v2, v2, 23, 8
	v_sub_u32_e32 v5, 0x79, v2
	v_cmp_gt_u32_e32 vcc, s77, v2
	v_add_u32_e32 v3, 0xffffff81, v2
	v_cndmask_b32_e32 v5, 0, v5, vcc
	v_cmp_eq_u32_e32 vcc, 0, v2
	v_mov_b32_e32 v2, 0xffffff82
	v_cndmask_b32_e32 v19, v3, v2, vcc
	v_mov_b32_e32 v2, 0x78
	v_or_b32_e32 v18, 0x800000, v54
	v_cndmask_b32_e32 v5, v5, v2, vcc
	v_cndmask_b32_e32 v54, v18, v54, vcc
	v_add_u32_e32 v2, 20, v5
	v_lshlrev_b64 v[2:3], v2, -1
	v_add_u32_e32 v18, 19, v5
	v_lshrrev_b64 v[26:27], v5, v[54:55]
	v_not_b32_e32 v3, v3
	v_not_b32_e32 v2, v2
	v_lshlrev_b64 v[24:25], v18, 1
	v_lshrrev_b32_e32 v18, 23, v26
	v_and_b32_e32 v3, 0, v3
	v_and_b32_e32 v2, v54, v2
	v_add3_u32 v19, v5, v19, v18
	v_bfe_u32 v5, v26, 20, 1
	v_add_u32_e32 v5, -1, v5
	v_cmp_eq_u64_e32 vcc, v[2:3], v[24:25]
	v_cndmask_b32_e32 v2, 0, v5, vcc
	v_add_u32_e32 v2, v2, v26
	v_and_b32_e32 v2, 0xfffff, v2
	v_add_co_u32_e32 v2, vcc, v2, v26
	v_add_u32_e32 v18, 6, v19
	v_addc_co_u32_e32 v3, vcc, 0, v27, vcc
	v_cmp_ne_u32_e32 vcc, 0, v18
                                        ; implicit-def: $vgpr5
	s_and_saveexec_b64 s[24:25], vcc
	s_xor_b64 s[24:25], exec, s[24:25]
; %bb.796:                              ;   in Loop: Header=BB2_124 Depth=2
	v_add_u32_e32 v5, 7, v19
	v_cmp_lt_u64_e32 vcc, s[50:51], v[2:3]
	v_cndmask_b32_e32 v5, v18, v5, vcc
	v_cndmask_b32_e64 v18, 0, 1, vcc
	v_lshrrev_b64 v[2:3], v18, v[2:3]
; %bb.797:                              ;   in Loop: Header=BB2_124 Depth=2
	s_andn2_saveexec_b64 s[24:25], s[24:25]
; %bb.798:                              ;   in Loop: Header=BB2_124 Depth=2
	v_bfe_u32 v5, v2, 23, 1
; %bb.799:                              ;   in Loop: Header=BB2_124 Depth=2
	s_or_b64 exec, exec, s[24:25]
	v_lshrrev_b64 v[2:3], 20, v[2:3]
	v_cmp_gt_i32_e32 vcc, 16, v5
	v_cndmask_b32_e32 v3, 0, v3, vcc
	v_cndmask_b32_e32 v2, 7, v2, vcc
	v_cmp_eq_u64_e64 s[24:25], 0, v[2:3]
	v_min_i32_e32 v3, 15, v5
	v_cmp_eq_u32_e32 vcc, 0, v5
	v_lshlrev_b32_e32 v3, 3, v3
	v_and_or_b32 v2, v2, 7, v3
	s_and_b64 s[24:25], vcc, s[24:25]
	v_cndmask_b32_e64 v2, v2, 0, s[24:25]
	v_or_b32_e32 v24, v2, v4
.LBB2_800:                              ;   in Loop: Header=BB2_124 Depth=2
	s_or_b64 exec, exec, s[64:65]
.LBB2_801:                              ;   in Loop: Header=BB2_124 Depth=2
	s_or_b64 exec, exec, s[62:63]
                                        ; implicit-def: $vgpr2
.LBB2_802:                              ;   in Loop: Header=BB2_124 Depth=2
	s_andn2_saveexec_b64 s[24:25], s[60:61]
; %bb.803:                              ;   in Loop: Header=BB2_124 Depth=2
	v_or_b32_sdwa v2, v2, s75 dst_sel:DWORD dst_unused:UNUSED_PAD src0_sel:BYTE_3 src1_sel:DWORD
	v_cmp_eq_u64_e32 vcc, 0, v[54:55]
	v_cndmask_b32_e32 v24, v2, v24, vcc
; %bb.804:                              ;   in Loop: Header=BB2_124 Depth=2
	s_or_b64 exec, exec, s[24:25]
	v_lshrrev_b16_e32 v18, 8, v14
	v_lshrrev_b16_e32 v2, 8, v10
	s_and_b64 vcc, exec, s[22:23]
	v_cmp_ne_u16_e64 s[24:25], 0, v18
	s_cbranch_vccnz .LBB2_818
; %bb.805:                              ;   in Loop: Header=BB2_124 Depth=2
	v_mov_b32_e32 v4, 0
	v_mov_b32_e32 v3, 0
	s_and_saveexec_b64 s[60:61], s[24:25]
	s_cbranch_execz .LBB2_811
; %bb.806:                              ;   in Loop: Header=BB2_124 Depth=2
	v_cmp_ne_u16_e32 vcc, s74, v18
	v_bfrev_b32_e32 v3, 1
	s_and_saveexec_b64 s[62:63], vcc
	s_cbranch_execz .LBB2_810
; %bb.807:                              ;   in Loop: Header=BB2_124 Depth=2
	v_and_b32_e32 v5, 0x7f, v18
	v_cmp_ne_u32_e32 vcc, s75, v5
	v_mov_b32_e32 v3, 0x7f800001
	s_and_saveexec_b64 s[64:65], vcc
	s_cbranch_execz .LBB2_809
; %bb.808:                              ;   in Loop: Header=BB2_124 Depth=2
	v_and_b32_e32 v3, 7, v18
	v_ffbh_u32_e32 v20, v3
	v_min_u32_e32 v20, 32, v20
	v_lshrrev_b32_e32 v19, 3, v5
	v_subrev_u32_e32 v25, 28, v20
	v_lshlrev_b64 v[26:27], v25, v[18:19]
	v_sub_u32_e32 v20, 29, v20
	v_and_b32_e32 v25, 7, v26
	v_cmp_gt_u32_e32 vcc, 8, v5
	v_cndmask_b32_e32 v5, v19, v20, vcc
	v_cndmask_b32_e32 v3, v3, v25, vcc
	v_lshlrev_b32_e32 v19, 16, v14
	v_bfrev_b32_e32 v20, 60
	v_lshlrev_b32_e32 v3, 20, v3
	v_and_b32_e32 v19, 0x80000000, v19
	v_lshl_add_u32 v5, v5, 23, v20
	v_or3_b32 v3, v19, v5, v3
.LBB2_809:                              ;   in Loop: Header=BB2_124 Depth=2
	s_or_b64 exec, exec, s[64:65]
.LBB2_810:                              ;   in Loop: Header=BB2_124 Depth=2
	s_or_b64 exec, exec, s[62:63]
.LBB2_811:                              ;   in Loop: Header=BB2_124 Depth=2
	s_or_b64 exec, exec, s[60:61]
	v_cmp_ne_u16_e32 vcc, 0, v2
	s_and_saveexec_b64 s[60:61], vcc
	s_cbranch_execz .LBB2_817
; %bb.812:                              ;   in Loop: Header=BB2_124 Depth=2
	v_cmp_ne_u16_e32 vcc, s74, v2
	v_bfrev_b32_e32 v4, 1
	s_and_saveexec_b64 s[62:63], vcc
	s_cbranch_execz .LBB2_816
; %bb.813:                              ;   in Loop: Header=BB2_124 Depth=2
	v_and_b32_e32 v5, 0x7f, v2
	v_cmp_ne_u32_e32 vcc, s75, v5
	v_mov_b32_e32 v4, 0x7f800001
	s_and_saveexec_b64 s[64:65], vcc
	s_cbranch_execz .LBB2_815
; %bb.814:                              ;   in Loop: Header=BB2_124 Depth=2
	v_and_b32_e32 v4, 7, v2
	v_ffbh_u32_e32 v20, v4
	v_min_u32_e32 v20, 32, v20
	v_subrev_u32_e32 v25, 28, v20
	v_lshlrev_b64 v[26:27], v25, v[2:3]
	v_lshrrev_b32_e32 v19, 3, v5
	v_sub_u32_e32 v20, 29, v20
	v_and_b32_e32 v25, 7, v26
	v_cmp_gt_u32_e32 vcc, 8, v5
	v_cndmask_b32_e32 v5, v19, v20, vcc
	v_cndmask_b32_e32 v4, v4, v25, vcc
	v_lshlrev_b32_e32 v19, 16, v10
	v_bfrev_b32_e32 v20, 60
	v_lshlrev_b32_e32 v4, 20, v4
	v_and_b32_e32 v19, 0x80000000, v19
	v_lshl_add_u32 v5, v5, 23, v20
	v_or3_b32 v4, v19, v5, v4
.LBB2_815:                              ;   in Loop: Header=BB2_124 Depth=2
	s_or_b64 exec, exec, s[64:65]
.LBB2_816:                              ;   in Loop: Header=BB2_124 Depth=2
	s_or_b64 exec, exec, s[62:63]
.LBB2_817:                              ;   in Loop: Header=BB2_124 Depth=2
	s_or_b64 exec, exec, s[60:61]
	v_max_f32_e32 v4, v4, v4
	v_max_f32_e32 v3, v3, v3
	;; [unrolled: 1-line block ×3, first 2 shown]
	s_branch .LBB2_832
.LBB2_818:                              ;   in Loop: Header=BB2_124 Depth=2
                                        ; implicit-def: $vgpr3
	s_cbranch_execz .LBB2_832
; %bb.819:                              ;   in Loop: Header=BB2_124 Depth=2
	v_mov_b32_e32 v4, 0
	v_mov_b32_e32 v3, 0
	s_and_saveexec_b64 s[60:61], s[24:25]
	s_cbranch_execz .LBB2_825
; %bb.820:                              ;   in Loop: Header=BB2_124 Depth=2
	v_cmp_ne_u16_e32 vcc, s74, v18
	v_bfrev_b32_e32 v3, 1
	s_and_saveexec_b64 s[24:25], vcc
	s_cbranch_execz .LBB2_824
; %bb.821:                              ;   in Loop: Header=BB2_124 Depth=2
	v_and_b32_e32 v5, 0x7f, v18
	v_cmp_ne_u32_e32 vcc, s75, v5
	v_mov_b32_e32 v3, 0x7f800001
	s_and_saveexec_b64 s[62:63], vcc
	s_cbranch_execz .LBB2_823
; %bb.822:                              ;   in Loop: Header=BB2_124 Depth=2
	v_and_b32_e32 v3, 7, v18
	v_ffbh_u32_e32 v19, v3
	v_min_u32_e32 v25, 32, v19
	v_subrev_u32_e32 v19, 28, v25
	v_lshlrev_b64 v[18:19], v19, v[18:19]
	v_lshrrev_b32_e32 v20, 3, v5
	v_sub_u32_e32 v19, 29, v25
	v_and_b32_e32 v18, 7, v18
	v_cmp_gt_u32_e32 vcc, 8, v5
	v_cndmask_b32_e32 v5, v20, v19, vcc
	v_cndmask_b32_e32 v3, v3, v18, vcc
	v_lshlrev_b32_e32 v18, 16, v14
	v_bfrev_b32_e32 v19, 60
	v_lshlrev_b32_e32 v3, 20, v3
	v_and_b32_e32 v18, 0x80000000, v18
	v_lshl_add_u32 v5, v5, 23, v19
	v_or3_b32 v3, v18, v5, v3
.LBB2_823:                              ;   in Loop: Header=BB2_124 Depth=2
	s_or_b64 exec, exec, s[62:63]
.LBB2_824:                              ;   in Loop: Header=BB2_124 Depth=2
	s_or_b64 exec, exec, s[24:25]
.LBB2_825:                              ;   in Loop: Header=BB2_124 Depth=2
	s_or_b64 exec, exec, s[60:61]
	v_cmp_ne_u16_e32 vcc, 0, v2
	s_and_saveexec_b64 s[24:25], vcc
	s_cbranch_execz .LBB2_831
; %bb.826:                              ;   in Loop: Header=BB2_124 Depth=2
	v_cmp_ne_u16_e32 vcc, s74, v2
	v_bfrev_b32_e32 v4, 1
	s_and_saveexec_b64 s[60:61], vcc
	s_cbranch_execz .LBB2_830
; %bb.827:                              ;   in Loop: Header=BB2_124 Depth=2
	v_and_b32_e32 v5, 0x7f, v2
	v_cmp_ne_u32_e32 vcc, s75, v5
	v_mov_b32_e32 v4, 0x7f800001
	s_and_saveexec_b64 s[62:63], vcc
	s_cbranch_execz .LBB2_829
; %bb.828:                              ;   in Loop: Header=BB2_124 Depth=2
	v_and_b32_e32 v4, 7, v2
	v_ffbh_u32_e32 v18, v4
	v_min_u32_e32 v25, 32, v18
	v_subrev_u32_e32 v18, 28, v25
	v_lshlrev_b64 v[18:19], v18, v[2:3]
	v_lshrrev_b32_e32 v20, 3, v5
	v_sub_u32_e32 v2, 29, v25
	v_and_b32_e32 v18, 7, v18
	v_cmp_gt_u32_e32 vcc, 8, v5
	v_cndmask_b32_e32 v2, v20, v2, vcc
	v_cndmask_b32_e32 v4, v4, v18, vcc
	v_lshlrev_b32_e32 v5, 16, v10
	v_bfrev_b32_e32 v18, 60
	v_lshlrev_b32_e32 v4, 20, v4
	v_and_b32_e32 v5, 0x80000000, v5
	v_lshl_add_u32 v2, v2, 23, v18
	v_or3_b32 v4, v5, v2, v4
.LBB2_829:                              ;   in Loop: Header=BB2_124 Depth=2
	s_or_b64 exec, exec, s[62:63]
.LBB2_830:                              ;   in Loop: Header=BB2_124 Depth=2
	s_or_b64 exec, exec, s[60:61]
.LBB2_831:                              ;   in Loop: Header=BB2_124 Depth=2
	s_or_b64 exec, exec, s[24:25]
	v_max_f32_e32 v2, v4, v4
	v_max_f32_e32 v3, v3, v3
	v_min_f32_e32 v3, v3, v2
.LBB2_832:                              ;   in Loop: Header=BB2_124 Depth=2
	v_and_b32_sdwa v4, v3, s74 dst_sel:DWORD dst_unused:UNUSED_PAD src0_sel:BYTE_3 src1_sel:DWORD
	v_and_b32_e32 v18, 0x7f800000, v3
	v_mov_b32_e32 v19, v55
	v_and_b32_e32 v54, 0x7fffff, v3
	v_or_b32_e32 v25, 0x7e, v4
	v_cmp_ne_u64_e32 vcc, s[44:45], v[18:19]
	s_and_saveexec_b64 s[24:25], vcc
	s_xor_b64 s[60:61], exec, s[24:25]
	s_cbranch_execz .LBB2_842
; %bb.833:                              ;   in Loop: Header=BB2_124 Depth=2
	v_and_b32_e32 v18, 0x7fffffff, v3
	v_mov_b32_e32 v19, v55
	v_cmp_gt_u64_e32 vcc, s[46:47], v[18:19]
	s_and_saveexec_b64 s[62:63], vcc
	s_cbranch_execz .LBB2_841
; %bb.834:                              ;   in Loop: Header=BB2_124 Depth=2
	v_cmp_ne_u32_e32 vcc, 0, v3
	v_mov_b32_e32 v25, 0
	s_and_saveexec_b64 s[64:65], vcc
	s_cbranch_execz .LBB2_840
; %bb.835:                              ;   in Loop: Header=BB2_124 Depth=2
	v_bfe_u32 v2, v3, 23, 8
	v_sub_u32_e32 v5, 0x79, v2
	v_cmp_gt_u32_e32 vcc, s77, v2
	v_add_u32_e32 v3, 0xffffff81, v2
	v_cndmask_b32_e32 v5, 0, v5, vcc
	v_cmp_eq_u32_e32 vcc, 0, v2
	v_mov_b32_e32 v2, 0xffffff82
	v_cndmask_b32_e32 v19, v3, v2, vcc
	v_mov_b32_e32 v2, 0x78
	v_or_b32_e32 v18, 0x800000, v54
	v_cndmask_b32_e32 v5, v5, v2, vcc
	v_cndmask_b32_e32 v54, v18, v54, vcc
	v_add_u32_e32 v2, 20, v5
	v_lshlrev_b64 v[2:3], v2, -1
	v_add_u32_e32 v18, 19, v5
	v_lshrrev_b64 v[38:39], v5, v[54:55]
	v_not_b32_e32 v3, v3
	v_not_b32_e32 v2, v2
	v_lshlrev_b64 v[26:27], v18, 1
	v_lshrrev_b32_e32 v18, 23, v38
	v_and_b32_e32 v3, 0, v3
	v_and_b32_e32 v2, v54, v2
	v_add3_u32 v19, v5, v19, v18
	v_bfe_u32 v5, v38, 20, 1
	v_add_u32_e32 v5, -1, v5
	v_cmp_eq_u64_e32 vcc, v[2:3], v[26:27]
	v_cndmask_b32_e32 v2, 0, v5, vcc
	v_add_u32_e32 v2, v2, v38
	v_and_b32_e32 v2, 0xfffff, v2
	v_add_co_u32_e32 v2, vcc, v2, v38
	v_add_u32_e32 v18, 6, v19
	v_addc_co_u32_e32 v3, vcc, 0, v39, vcc
	v_cmp_ne_u32_e32 vcc, 0, v18
                                        ; implicit-def: $vgpr5
	s_and_saveexec_b64 s[24:25], vcc
	s_xor_b64 s[24:25], exec, s[24:25]
; %bb.836:                              ;   in Loop: Header=BB2_124 Depth=2
	v_add_u32_e32 v5, 7, v19
	v_cmp_lt_u64_e32 vcc, s[50:51], v[2:3]
	v_cndmask_b32_e32 v5, v18, v5, vcc
	v_cndmask_b32_e64 v18, 0, 1, vcc
	v_lshrrev_b64 v[2:3], v18, v[2:3]
; %bb.837:                              ;   in Loop: Header=BB2_124 Depth=2
	s_andn2_saveexec_b64 s[24:25], s[24:25]
; %bb.838:                              ;   in Loop: Header=BB2_124 Depth=2
	v_bfe_u32 v5, v2, 23, 1
; %bb.839:                              ;   in Loop: Header=BB2_124 Depth=2
	s_or_b64 exec, exec, s[24:25]
	v_lshrrev_b64 v[2:3], 20, v[2:3]
	v_cmp_gt_i32_e32 vcc, 16, v5
	v_cndmask_b32_e32 v3, 0, v3, vcc
	v_cndmask_b32_e32 v2, 7, v2, vcc
	v_cmp_eq_u64_e64 s[24:25], 0, v[2:3]
	v_min_i32_e32 v3, 15, v5
	v_cmp_eq_u32_e32 vcc, 0, v5
	v_lshlrev_b32_e32 v3, 3, v3
	v_and_or_b32 v2, v2, 7, v3
	s_and_b64 s[24:25], vcc, s[24:25]
	v_cndmask_b32_e64 v2, v2, 0, s[24:25]
	v_or_b32_e32 v25, v2, v4
.LBB2_840:                              ;   in Loop: Header=BB2_124 Depth=2
	s_or_b64 exec, exec, s[64:65]
.LBB2_841:                              ;   in Loop: Header=BB2_124 Depth=2
	s_or_b64 exec, exec, s[62:63]
                                        ; implicit-def: $vgpr3
.LBB2_842:                              ;   in Loop: Header=BB2_124 Depth=2
	s_andn2_saveexec_b64 s[24:25], s[60:61]
; %bb.843:                              ;   in Loop: Header=BB2_124 Depth=2
	v_or_b32_sdwa v2, v3, s75 dst_sel:DWORD dst_unused:UNUSED_PAD src0_sel:BYTE_3 src1_sel:DWORD
	v_cmp_eq_u64_e32 vcc, 0, v[54:55]
	v_cndmask_b32_e32 v25, v2, v25, vcc
; %bb.844:                              ;   in Loop: Header=BB2_124 Depth=2
	s_or_b64 exec, exec, s[24:25]
	v_lshrrev_b32_e32 v18, 16, v14
	v_lshrrev_b32_e32 v2, 16, v10
	s_and_b64 vcc, exec, s[22:23]
	v_cmp_ne_u16_sdwa s[24:25], v18, v55 src0_sel:BYTE_0 src1_sel:DWORD
	s_cbranch_vccnz .LBB2_858
; %bb.845:                              ;   in Loop: Header=BB2_124 Depth=2
	v_mov_b32_e32 v4, 0
	v_mov_b32_e32 v3, 0
	s_and_saveexec_b64 s[60:61], s[24:25]
	s_cbranch_execz .LBB2_851
; %bb.846:                              ;   in Loop: Header=BB2_124 Depth=2
	v_cmp_ne_u16_sdwa vcc, v18, s74 src0_sel:BYTE_0 src1_sel:DWORD
	v_bfrev_b32_e32 v3, 1
	s_and_saveexec_b64 s[62:63], vcc
	s_cbranch_execz .LBB2_850
; %bb.847:                              ;   in Loop: Header=BB2_124 Depth=2
	v_bfe_u32 v5, v14, 16, 7
	v_cmp_ne_u32_e32 vcc, s75, v5
	v_mov_b32_e32 v3, 0x7f800001
	s_and_saveexec_b64 s[64:65], vcc
	s_cbranch_execz .LBB2_849
; %bb.848:                              ;   in Loop: Header=BB2_124 Depth=2
	v_and_b32_e32 v3, 7, v18
	v_ffbh_u32_e32 v20, v3
	v_min_u32_e32 v20, 32, v20
	v_lshrrev_b32_e32 v19, 3, v5
	v_subrev_u32_e32 v26, 28, v20
	v_lshlrev_b64 v[26:27], v26, v[18:19]
	v_sub_u32_e32 v20, 29, v20
	v_and_b32_e32 v26, 7, v26
	v_cmp_gt_u32_e32 vcc, 8, v5
	v_cndmask_b32_e32 v5, v19, v20, vcc
	v_cndmask_b32_e32 v3, v3, v26, vcc
	v_lshlrev_b32_e32 v19, 24, v18
	v_bfrev_b32_e32 v20, 60
	v_lshlrev_b32_e32 v3, 20, v3
	v_and_b32_e32 v19, 0x80000000, v19
	v_lshl_add_u32 v5, v5, 23, v20
	v_or3_b32 v3, v19, v5, v3
.LBB2_849:                              ;   in Loop: Header=BB2_124 Depth=2
	s_or_b64 exec, exec, s[64:65]
.LBB2_850:                              ;   in Loop: Header=BB2_124 Depth=2
	s_or_b64 exec, exec, s[62:63]
.LBB2_851:                              ;   in Loop: Header=BB2_124 Depth=2
	s_or_b64 exec, exec, s[60:61]
	v_cmp_ne_u16_sdwa vcc, v2, v55 src0_sel:BYTE_0 src1_sel:DWORD
	s_and_saveexec_b64 s[60:61], vcc
	s_cbranch_execz .LBB2_857
; %bb.852:                              ;   in Loop: Header=BB2_124 Depth=2
	v_cmp_ne_u16_sdwa vcc, v2, s74 src0_sel:BYTE_0 src1_sel:DWORD
	v_bfrev_b32_e32 v4, 1
	s_and_saveexec_b64 s[62:63], vcc
	s_cbranch_execz .LBB2_856
; %bb.853:                              ;   in Loop: Header=BB2_124 Depth=2
	v_bfe_u32 v5, v10, 16, 7
	v_cmp_ne_u32_e32 vcc, s75, v5
	v_mov_b32_e32 v4, 0x7f800001
	s_and_saveexec_b64 s[64:65], vcc
	s_cbranch_execz .LBB2_855
; %bb.854:                              ;   in Loop: Header=BB2_124 Depth=2
	v_and_b32_e32 v4, 7, v2
	v_ffbh_u32_e32 v20, v4
	v_min_u32_e32 v20, 32, v20
	v_subrev_u32_e32 v26, 28, v20
	v_lshlrev_b64 v[26:27], v26, v[2:3]
	v_lshrrev_b32_e32 v19, 3, v5
	v_sub_u32_e32 v20, 29, v20
	v_and_b32_e32 v26, 7, v26
	v_cmp_gt_u32_e32 vcc, 8, v5
	v_cndmask_b32_e32 v5, v19, v20, vcc
	v_cndmask_b32_e32 v4, v4, v26, vcc
	v_lshlrev_b32_e32 v19, 24, v2
	v_bfrev_b32_e32 v20, 60
	v_lshlrev_b32_e32 v4, 20, v4
	v_and_b32_e32 v19, 0x80000000, v19
	v_lshl_add_u32 v5, v5, 23, v20
	v_or3_b32 v4, v19, v5, v4
.LBB2_855:                              ;   in Loop: Header=BB2_124 Depth=2
	s_or_b64 exec, exec, s[64:65]
.LBB2_856:                              ;   in Loop: Header=BB2_124 Depth=2
	s_or_b64 exec, exec, s[62:63]
.LBB2_857:                              ;   in Loop: Header=BB2_124 Depth=2
	s_or_b64 exec, exec, s[60:61]
	v_max_f32_e32 v4, v4, v4
	v_max_f32_e32 v3, v3, v3
	;; [unrolled: 1-line block ×3, first 2 shown]
	s_branch .LBB2_872
.LBB2_858:                              ;   in Loop: Header=BB2_124 Depth=2
                                        ; implicit-def: $vgpr3
	s_cbranch_execz .LBB2_872
; %bb.859:                              ;   in Loop: Header=BB2_124 Depth=2
	v_mov_b32_e32 v4, 0
	v_mov_b32_e32 v3, 0
	s_and_saveexec_b64 s[60:61], s[24:25]
	s_cbranch_execz .LBB2_865
; %bb.860:                              ;   in Loop: Header=BB2_124 Depth=2
	v_cmp_ne_u16_sdwa vcc, v18, s74 src0_sel:BYTE_0 src1_sel:DWORD
	v_bfrev_b32_e32 v3, 1
	s_and_saveexec_b64 s[24:25], vcc
	s_cbranch_execz .LBB2_864
; %bb.861:                              ;   in Loop: Header=BB2_124 Depth=2
	v_bfe_u32 v5, v14, 16, 7
	v_cmp_ne_u32_e32 vcc, s75, v5
	v_mov_b32_e32 v3, 0x7f800001
	s_and_saveexec_b64 s[62:63], vcc
	s_cbranch_execz .LBB2_863
; %bb.862:                              ;   in Loop: Header=BB2_124 Depth=2
	v_and_b32_e32 v3, 7, v18
	v_ffbh_u32_e32 v20, v3
	v_min_u32_e32 v20, 32, v20
	v_lshrrev_b32_e32 v19, 3, v5
	v_subrev_u32_e32 v26, 28, v20
	v_lshlrev_b64 v[26:27], v26, v[18:19]
	v_sub_u32_e32 v20, 29, v20
	v_and_b32_e32 v26, 7, v26
	v_cmp_gt_u32_e32 vcc, 8, v5
	v_cndmask_b32_e32 v5, v19, v20, vcc
	v_cndmask_b32_e32 v3, v3, v26, vcc
	v_lshlrev_b32_e32 v18, 24, v18
	v_bfrev_b32_e32 v19, 60
	v_lshlrev_b32_e32 v3, 20, v3
	v_and_b32_e32 v18, 0x80000000, v18
	v_lshl_add_u32 v5, v5, 23, v19
	v_or3_b32 v3, v18, v5, v3
.LBB2_863:                              ;   in Loop: Header=BB2_124 Depth=2
	s_or_b64 exec, exec, s[62:63]
.LBB2_864:                              ;   in Loop: Header=BB2_124 Depth=2
	s_or_b64 exec, exec, s[24:25]
.LBB2_865:                              ;   in Loop: Header=BB2_124 Depth=2
	s_or_b64 exec, exec, s[60:61]
	v_cmp_ne_u16_sdwa vcc, v2, v55 src0_sel:BYTE_0 src1_sel:DWORD
	s_and_saveexec_b64 s[24:25], vcc
	s_cbranch_execz .LBB2_871
; %bb.866:                              ;   in Loop: Header=BB2_124 Depth=2
	v_cmp_ne_u16_sdwa vcc, v2, s74 src0_sel:BYTE_0 src1_sel:DWORD
	v_bfrev_b32_e32 v4, 1
	s_and_saveexec_b64 s[60:61], vcc
	s_cbranch_execz .LBB2_870
; %bb.867:                              ;   in Loop: Header=BB2_124 Depth=2
	v_bfe_u32 v5, v10, 16, 7
	v_cmp_ne_u32_e32 vcc, s75, v5
	v_mov_b32_e32 v4, 0x7f800001
	s_and_saveexec_b64 s[62:63], vcc
	s_cbranch_execz .LBB2_869
; %bb.868:                              ;   in Loop: Header=BB2_124 Depth=2
	v_and_b32_e32 v4, 7, v2
	v_ffbh_u32_e32 v18, v4
	v_min_u32_e32 v26, 32, v18
	v_subrev_u32_e32 v18, 28, v26
	v_lshlrev_b64 v[18:19], v18, v[2:3]
	v_lshrrev_b32_e32 v20, 3, v5
	v_sub_u32_e32 v19, 29, v26
	v_and_b32_e32 v18, 7, v18
	v_cmp_gt_u32_e32 vcc, 8, v5
	v_cndmask_b32_e32 v5, v20, v19, vcc
	v_cndmask_b32_e32 v4, v4, v18, vcc
	v_lshlrev_b32_e32 v2, 24, v2
	v_bfrev_b32_e32 v18, 60
	v_lshlrev_b32_e32 v4, 20, v4
	v_and_b32_e32 v2, 0x80000000, v2
	v_lshl_add_u32 v5, v5, 23, v18
	v_or3_b32 v4, v2, v5, v4
.LBB2_869:                              ;   in Loop: Header=BB2_124 Depth=2
	s_or_b64 exec, exec, s[62:63]
.LBB2_870:                              ;   in Loop: Header=BB2_124 Depth=2
	s_or_b64 exec, exec, s[60:61]
.LBB2_871:                              ;   in Loop: Header=BB2_124 Depth=2
	s_or_b64 exec, exec, s[24:25]
	v_max_f32_e32 v2, v4, v4
	v_max_f32_e32 v3, v3, v3
	v_min_f32_e32 v3, v3, v2
.LBB2_872:                              ;   in Loop: Header=BB2_124 Depth=2
	v_and_b32_sdwa v4, v3, s74 dst_sel:DWORD dst_unused:UNUSED_PAD src0_sel:BYTE_3 src1_sel:DWORD
	v_and_b32_e32 v18, 0x7f800000, v3
	v_mov_b32_e32 v19, v55
	v_and_b32_e32 v54, 0x7fffff, v3
	v_or_b32_e32 v43, 0x7e, v4
	v_cmp_ne_u64_e32 vcc, s[44:45], v[18:19]
	s_and_saveexec_b64 s[24:25], vcc
	s_xor_b64 s[60:61], exec, s[24:25]
	s_cbranch_execz .LBB2_882
; %bb.873:                              ;   in Loop: Header=BB2_124 Depth=2
	v_and_b32_e32 v18, 0x7fffffff, v3
	v_mov_b32_e32 v19, v55
	v_cmp_gt_u64_e32 vcc, s[46:47], v[18:19]
	s_and_saveexec_b64 s[62:63], vcc
	s_cbranch_execz .LBB2_881
; %bb.874:                              ;   in Loop: Header=BB2_124 Depth=2
	v_cmp_ne_u32_e32 vcc, 0, v3
	v_mov_b32_e32 v43, 0
	s_and_saveexec_b64 s[64:65], vcc
	s_cbranch_execz .LBB2_880
; %bb.875:                              ;   in Loop: Header=BB2_124 Depth=2
	v_bfe_u32 v2, v3, 23, 8
	v_sub_u32_e32 v5, 0x79, v2
	v_cmp_gt_u32_e32 vcc, s77, v2
	v_add_u32_e32 v3, 0xffffff81, v2
	v_cndmask_b32_e32 v5, 0, v5, vcc
	v_cmp_eq_u32_e32 vcc, 0, v2
	v_mov_b32_e32 v2, 0xffffff82
	v_cndmask_b32_e32 v19, v3, v2, vcc
	v_mov_b32_e32 v2, 0x78
	v_or_b32_e32 v18, 0x800000, v54
	v_cndmask_b32_e32 v5, v5, v2, vcc
	v_cndmask_b32_e32 v54, v18, v54, vcc
	v_add_u32_e32 v2, 20, v5
	v_lshlrev_b64 v[2:3], v2, -1
	v_add_u32_e32 v18, 19, v5
	v_lshrrev_b64 v[38:39], v5, v[54:55]
	v_not_b32_e32 v3, v3
	v_not_b32_e32 v2, v2
	v_lshlrev_b64 v[26:27], v18, 1
	v_lshrrev_b32_e32 v18, 23, v38
	v_and_b32_e32 v3, 0, v3
	v_and_b32_e32 v2, v54, v2
	v_add3_u32 v19, v5, v19, v18
	v_bfe_u32 v5, v38, 20, 1
	v_add_u32_e32 v5, -1, v5
	v_cmp_eq_u64_e32 vcc, v[2:3], v[26:27]
	v_cndmask_b32_e32 v2, 0, v5, vcc
	v_add_u32_e32 v2, v2, v38
	v_and_b32_e32 v2, 0xfffff, v2
	v_add_co_u32_e32 v2, vcc, v2, v38
	v_add_u32_e32 v18, 6, v19
	v_addc_co_u32_e32 v3, vcc, 0, v39, vcc
	v_cmp_ne_u32_e32 vcc, 0, v18
                                        ; implicit-def: $vgpr5
	s_and_saveexec_b64 s[24:25], vcc
	s_xor_b64 s[24:25], exec, s[24:25]
; %bb.876:                              ;   in Loop: Header=BB2_124 Depth=2
	v_add_u32_e32 v5, 7, v19
	v_cmp_lt_u64_e32 vcc, s[50:51], v[2:3]
	v_cndmask_b32_e32 v5, v18, v5, vcc
	v_cndmask_b32_e64 v18, 0, 1, vcc
	v_lshrrev_b64 v[2:3], v18, v[2:3]
; %bb.877:                              ;   in Loop: Header=BB2_124 Depth=2
	s_andn2_saveexec_b64 s[24:25], s[24:25]
; %bb.878:                              ;   in Loop: Header=BB2_124 Depth=2
	v_bfe_u32 v5, v2, 23, 1
; %bb.879:                              ;   in Loop: Header=BB2_124 Depth=2
	s_or_b64 exec, exec, s[24:25]
	v_lshrrev_b64 v[2:3], 20, v[2:3]
	v_cmp_gt_i32_e32 vcc, 16, v5
	v_cndmask_b32_e32 v3, 0, v3, vcc
	v_cndmask_b32_e32 v2, 7, v2, vcc
	v_cmp_eq_u64_e64 s[24:25], 0, v[2:3]
	v_min_i32_e32 v3, 15, v5
	v_cmp_eq_u32_e32 vcc, 0, v5
	v_lshlrev_b32_e32 v3, 3, v3
	v_and_or_b32 v2, v2, 7, v3
	s_and_b64 s[24:25], vcc, s[24:25]
	v_cndmask_b32_e64 v2, v2, 0, s[24:25]
	v_or_b32_e32 v43, v2, v4
.LBB2_880:                              ;   in Loop: Header=BB2_124 Depth=2
	s_or_b64 exec, exec, s[64:65]
.LBB2_881:                              ;   in Loop: Header=BB2_124 Depth=2
	s_or_b64 exec, exec, s[62:63]
                                        ; implicit-def: $vgpr3
.LBB2_882:                              ;   in Loop: Header=BB2_124 Depth=2
	s_andn2_saveexec_b64 s[24:25], s[60:61]
; %bb.883:                              ;   in Loop: Header=BB2_124 Depth=2
	v_or_b32_sdwa v2, v3, s75 dst_sel:DWORD dst_unused:UNUSED_PAD src0_sel:BYTE_3 src1_sel:DWORD
	v_cmp_eq_u64_e32 vcc, 0, v[54:55]
	v_cndmask_b32_e32 v43, v2, v43, vcc
; %bb.884:                              ;   in Loop: Header=BB2_124 Depth=2
	s_or_b64 exec, exec, s[24:25]
	v_lshrrev_b32_e32 v18, 24, v14
	v_lshrrev_b32_e32 v2, 24, v10
	s_and_b64 vcc, exec, s[22:23]
	v_cmp_lt_u32_e64 s[24:25], s49, v14
	s_cbranch_vccnz .LBB2_898
; %bb.885:                              ;   in Loop: Header=BB2_124 Depth=2
	v_mov_b32_e32 v4, 0
	v_mov_b32_e32 v3, 0
	s_and_saveexec_b64 s[60:61], s[24:25]
	s_cbranch_execz .LBB2_891
; %bb.886:                              ;   in Loop: Header=BB2_124 Depth=2
	v_cmp_ne_u32_e32 vcc, s74, v18
	v_bfrev_b32_e32 v3, 1
	s_and_saveexec_b64 s[62:63], vcc
	s_cbranch_execz .LBB2_890
; %bb.887:                              ;   in Loop: Header=BB2_124 Depth=2
	v_bfe_u32 v5, v14, 24, 7
	v_cmp_ne_u32_e32 vcc, s75, v5
	v_mov_b32_e32 v3, 0x7f800001
	s_and_saveexec_b64 s[64:65], vcc
	s_cbranch_execz .LBB2_889
; %bb.888:                              ;   in Loop: Header=BB2_124 Depth=2
	v_and_b32_e32 v3, 7, v18
	v_ffbh_u32_e32 v20, v3
	v_min_u32_e32 v20, 32, v20
	v_lshrrev_b32_e32 v19, 3, v5
	v_subrev_u32_e32 v26, 28, v20
	v_lshlrev_b64 v[26:27], v26, v[18:19]
	v_sub_u32_e32 v20, 29, v20
	v_and_b32_e32 v26, 7, v26
	v_cmp_gt_u32_e32 vcc, 8, v5
	v_cndmask_b32_e32 v5, v19, v20, vcc
	v_cndmask_b32_e32 v3, v3, v26, vcc
	v_lshlrev_b32_e32 v19, 24, v18
	v_bfrev_b32_e32 v20, 60
	v_lshlrev_b32_e32 v3, 20, v3
	v_and_b32_e32 v19, 0x80000000, v19
	v_lshl_add_u32 v5, v5, 23, v20
	v_or3_b32 v3, v19, v5, v3
.LBB2_889:                              ;   in Loop: Header=BB2_124 Depth=2
	s_or_b64 exec, exec, s[64:65]
.LBB2_890:                              ;   in Loop: Header=BB2_124 Depth=2
	s_or_b64 exec, exec, s[62:63]
.LBB2_891:                              ;   in Loop: Header=BB2_124 Depth=2
	s_or_b64 exec, exec, s[60:61]
	v_cmp_lt_u32_e32 vcc, s49, v10
	s_and_saveexec_b64 s[60:61], vcc
	s_cbranch_execz .LBB2_897
; %bb.892:                              ;   in Loop: Header=BB2_124 Depth=2
	v_cmp_ne_u32_e32 vcc, s74, v2
	v_bfrev_b32_e32 v4, 1
	s_and_saveexec_b64 s[62:63], vcc
	s_cbranch_execz .LBB2_896
; %bb.893:                              ;   in Loop: Header=BB2_124 Depth=2
	v_bfe_u32 v5, v10, 24, 7
	v_cmp_ne_u32_e32 vcc, s75, v5
	v_mov_b32_e32 v4, 0x7f800001
	s_and_saveexec_b64 s[64:65], vcc
	s_cbranch_execz .LBB2_895
; %bb.894:                              ;   in Loop: Header=BB2_124 Depth=2
	v_and_b32_e32 v4, 7, v2
	v_ffbh_u32_e32 v20, v4
	v_min_u32_e32 v20, 32, v20
	v_subrev_u32_e32 v26, 28, v20
	v_lshlrev_b64 v[26:27], v26, v[2:3]
	v_lshrrev_b32_e32 v19, 3, v5
	v_sub_u32_e32 v20, 29, v20
	v_and_b32_e32 v26, 7, v26
	v_cmp_gt_u32_e32 vcc, 8, v5
	v_cndmask_b32_e32 v5, v19, v20, vcc
	v_cndmask_b32_e32 v4, v4, v26, vcc
	v_lshlrev_b32_e32 v19, 24, v2
	v_bfrev_b32_e32 v20, 60
	v_lshlrev_b32_e32 v4, 20, v4
	v_and_b32_e32 v19, 0x80000000, v19
	v_lshl_add_u32 v5, v5, 23, v20
	v_or3_b32 v4, v19, v5, v4
.LBB2_895:                              ;   in Loop: Header=BB2_124 Depth=2
	s_or_b64 exec, exec, s[64:65]
.LBB2_896:                              ;   in Loop: Header=BB2_124 Depth=2
	s_or_b64 exec, exec, s[62:63]
.LBB2_897:                              ;   in Loop: Header=BB2_124 Depth=2
	s_or_b64 exec, exec, s[60:61]
	v_max_f32_e32 v4, v4, v4
	v_max_f32_e32 v3, v3, v3
	;; [unrolled: 1-line block ×3, first 2 shown]
	s_branch .LBB2_912
.LBB2_898:                              ;   in Loop: Header=BB2_124 Depth=2
                                        ; implicit-def: $vgpr3
	s_cbranch_execz .LBB2_912
; %bb.899:                              ;   in Loop: Header=BB2_124 Depth=2
	v_mov_b32_e32 v4, 0
	v_mov_b32_e32 v3, 0
	s_and_saveexec_b64 s[60:61], s[24:25]
	s_cbranch_execz .LBB2_905
; %bb.900:                              ;   in Loop: Header=BB2_124 Depth=2
	v_cmp_ne_u32_e32 vcc, s74, v18
	v_bfrev_b32_e32 v3, 1
	s_and_saveexec_b64 s[24:25], vcc
	s_cbranch_execz .LBB2_904
; %bb.901:                              ;   in Loop: Header=BB2_124 Depth=2
	v_bfe_u32 v5, v14, 24, 7
	v_cmp_ne_u32_e32 vcc, s75, v5
	v_mov_b32_e32 v3, 0x7f800001
	s_and_saveexec_b64 s[62:63], vcc
	s_cbranch_execz .LBB2_903
; %bb.902:                              ;   in Loop: Header=BB2_124 Depth=2
	v_and_b32_e32 v3, 7, v18
	v_ffbh_u32_e32 v20, v3
	v_min_u32_e32 v20, 32, v20
	v_lshrrev_b32_e32 v19, 3, v5
	v_subrev_u32_e32 v26, 28, v20
	v_lshlrev_b64 v[26:27], v26, v[18:19]
	v_sub_u32_e32 v20, 29, v20
	v_and_b32_e32 v26, 7, v26
	v_cmp_gt_u32_e32 vcc, 8, v5
	v_cndmask_b32_e32 v5, v19, v20, vcc
	v_cndmask_b32_e32 v3, v3, v26, vcc
	v_lshlrev_b32_e32 v18, 24, v18
	v_bfrev_b32_e32 v19, 60
	v_lshlrev_b32_e32 v3, 20, v3
	v_and_b32_e32 v18, 0x80000000, v18
	v_lshl_add_u32 v5, v5, 23, v19
	v_or3_b32 v3, v18, v5, v3
.LBB2_903:                              ;   in Loop: Header=BB2_124 Depth=2
	s_or_b64 exec, exec, s[62:63]
.LBB2_904:                              ;   in Loop: Header=BB2_124 Depth=2
	s_or_b64 exec, exec, s[24:25]
.LBB2_905:                              ;   in Loop: Header=BB2_124 Depth=2
	s_or_b64 exec, exec, s[60:61]
	v_cmp_lt_u32_e32 vcc, s49, v10
	s_and_saveexec_b64 s[24:25], vcc
	s_cbranch_execz .LBB2_911
; %bb.906:                              ;   in Loop: Header=BB2_124 Depth=2
	v_cmp_ne_u32_e32 vcc, s74, v2
	v_bfrev_b32_e32 v4, 1
	s_and_saveexec_b64 s[60:61], vcc
	s_cbranch_execz .LBB2_910
; %bb.907:                              ;   in Loop: Header=BB2_124 Depth=2
	v_bfe_u32 v5, v10, 24, 7
	v_cmp_ne_u32_e32 vcc, s75, v5
	v_mov_b32_e32 v4, 0x7f800001
	s_and_saveexec_b64 s[62:63], vcc
	s_cbranch_execz .LBB2_909
; %bb.908:                              ;   in Loop: Header=BB2_124 Depth=2
	v_and_b32_e32 v4, 7, v2
	v_ffbh_u32_e32 v18, v4
	v_min_u32_e32 v26, 32, v18
	v_subrev_u32_e32 v18, 28, v26
	v_lshlrev_b64 v[18:19], v18, v[2:3]
	v_lshrrev_b32_e32 v20, 3, v5
	v_sub_u32_e32 v19, 29, v26
	v_and_b32_e32 v18, 7, v18
	v_cmp_gt_u32_e32 vcc, 8, v5
	v_cndmask_b32_e32 v5, v20, v19, vcc
	v_cndmask_b32_e32 v4, v4, v18, vcc
	v_lshlrev_b32_e32 v2, 24, v2
	v_bfrev_b32_e32 v18, 60
	v_lshlrev_b32_e32 v4, 20, v4
	v_and_b32_e32 v2, 0x80000000, v2
	v_lshl_add_u32 v5, v5, 23, v18
	v_or3_b32 v4, v2, v5, v4
.LBB2_909:                              ;   in Loop: Header=BB2_124 Depth=2
	s_or_b64 exec, exec, s[62:63]
.LBB2_910:                              ;   in Loop: Header=BB2_124 Depth=2
	s_or_b64 exec, exec, s[60:61]
.LBB2_911:                              ;   in Loop: Header=BB2_124 Depth=2
	s_or_b64 exec, exec, s[24:25]
	v_max_f32_e32 v2, v4, v4
	v_max_f32_e32 v3, v3, v3
	v_min_f32_e32 v3, v3, v2
.LBB2_912:                              ;   in Loop: Header=BB2_124 Depth=2
	v_and_b32_sdwa v4, v3, s74 dst_sel:DWORD dst_unused:UNUSED_PAD src0_sel:BYTE_3 src1_sel:DWORD
	v_and_b32_e32 v18, 0x7f800000, v3
	v_mov_b32_e32 v19, v55
	v_and_b32_e32 v54, 0x7fffff, v3
	v_or_b32_e32 v53, 0x7e, v4
	v_cmp_ne_u64_e32 vcc, s[44:45], v[18:19]
	s_and_saveexec_b64 s[24:25], vcc
	s_xor_b64 s[60:61], exec, s[24:25]
	s_cbranch_execz .LBB2_922
; %bb.913:                              ;   in Loop: Header=BB2_124 Depth=2
	v_and_b32_e32 v18, 0x7fffffff, v3
	v_mov_b32_e32 v19, v55
	v_cmp_gt_u64_e32 vcc, s[46:47], v[18:19]
	s_and_saveexec_b64 s[62:63], vcc
	s_cbranch_execz .LBB2_921
; %bb.914:                              ;   in Loop: Header=BB2_124 Depth=2
	v_cmp_ne_u32_e32 vcc, 0, v3
	v_mov_b32_e32 v53, 0
	s_and_saveexec_b64 s[64:65], vcc
	s_cbranch_execz .LBB2_920
; %bb.915:                              ;   in Loop: Header=BB2_124 Depth=2
	v_bfe_u32 v2, v3, 23, 8
	v_sub_u32_e32 v5, 0x79, v2
	v_cmp_gt_u32_e32 vcc, s77, v2
	v_add_u32_e32 v3, 0xffffff81, v2
	v_cndmask_b32_e32 v5, 0, v5, vcc
	v_cmp_eq_u32_e32 vcc, 0, v2
	v_mov_b32_e32 v2, 0xffffff82
	v_cndmask_b32_e32 v19, v3, v2, vcc
	v_mov_b32_e32 v2, 0x78
	v_or_b32_e32 v18, 0x800000, v54
	v_cndmask_b32_e32 v5, v5, v2, vcc
	v_cndmask_b32_e32 v54, v18, v54, vcc
	v_add_u32_e32 v2, 20, v5
	v_lshlrev_b64 v[2:3], v2, -1
	v_add_u32_e32 v18, 19, v5
	v_lshrrev_b64 v[38:39], v5, v[54:55]
	v_not_b32_e32 v3, v3
	v_not_b32_e32 v2, v2
	v_lshlrev_b64 v[26:27], v18, 1
	v_lshrrev_b32_e32 v18, 23, v38
	v_and_b32_e32 v3, 0, v3
	v_and_b32_e32 v2, v54, v2
	v_add3_u32 v19, v5, v19, v18
	v_bfe_u32 v5, v38, 20, 1
	v_add_u32_e32 v5, -1, v5
	v_cmp_eq_u64_e32 vcc, v[2:3], v[26:27]
	v_cndmask_b32_e32 v2, 0, v5, vcc
	v_add_u32_e32 v2, v2, v38
	v_and_b32_e32 v2, 0xfffff, v2
	v_add_co_u32_e32 v2, vcc, v2, v38
	v_add_u32_e32 v18, 6, v19
	v_addc_co_u32_e32 v3, vcc, 0, v39, vcc
	v_cmp_ne_u32_e32 vcc, 0, v18
                                        ; implicit-def: $vgpr5
	s_and_saveexec_b64 s[24:25], vcc
	s_xor_b64 s[24:25], exec, s[24:25]
; %bb.916:                              ;   in Loop: Header=BB2_124 Depth=2
	v_add_u32_e32 v5, 7, v19
	v_cmp_lt_u64_e32 vcc, s[50:51], v[2:3]
	v_cndmask_b32_e32 v5, v18, v5, vcc
	v_cndmask_b32_e64 v18, 0, 1, vcc
	v_lshrrev_b64 v[2:3], v18, v[2:3]
; %bb.917:                              ;   in Loop: Header=BB2_124 Depth=2
	s_andn2_saveexec_b64 s[24:25], s[24:25]
; %bb.918:                              ;   in Loop: Header=BB2_124 Depth=2
	v_bfe_u32 v5, v2, 23, 1
; %bb.919:                              ;   in Loop: Header=BB2_124 Depth=2
	s_or_b64 exec, exec, s[24:25]
	v_lshrrev_b64 v[2:3], 20, v[2:3]
	v_cmp_gt_i32_e32 vcc, 16, v5
	v_cndmask_b32_e32 v3, 0, v3, vcc
	v_cndmask_b32_e32 v2, 7, v2, vcc
	v_cmp_eq_u64_e64 s[24:25], 0, v[2:3]
	v_min_i32_e32 v3, 15, v5
	v_cmp_eq_u32_e32 vcc, 0, v5
	v_lshlrev_b32_e32 v3, 3, v3
	v_and_or_b32 v2, v2, 7, v3
	s_and_b64 s[24:25], vcc, s[24:25]
	v_cndmask_b32_e64 v2, v2, 0, s[24:25]
	v_or_b32_e32 v53, v2, v4
.LBB2_920:                              ;   in Loop: Header=BB2_124 Depth=2
	s_or_b64 exec, exec, s[64:65]
.LBB2_921:                              ;   in Loop: Header=BB2_124 Depth=2
	s_or_b64 exec, exec, s[62:63]
                                        ; implicit-def: $vgpr3
.LBB2_922:                              ;   in Loop: Header=BB2_124 Depth=2
	s_andn2_saveexec_b64 s[24:25], s[60:61]
; %bb.923:                              ;   in Loop: Header=BB2_124 Depth=2
	v_or_b32_sdwa v2, v3, s75 dst_sel:DWORD dst_unused:UNUSED_PAD src0_sel:BYTE_3 src1_sel:DWORD
	v_cmp_eq_u64_e32 vcc, 0, v[54:55]
	v_cndmask_b32_e32 v53, v2, v53, vcc
; %bb.924:                              ;   in Loop: Header=BB2_124 Depth=2
	s_or_b64 exec, exec, s[24:25]
	v_mov_b32_e32 v54, v15
	v_mov_b32_e32 v2, v11
	;; [unrolled: 1-line block ×3, first 2 shown]
	s_and_b64 vcc, exec, s[22:23]
	v_cmp_ne_u16_sdwa s[24:25], v15, v55 src0_sel:BYTE_0 src1_sel:DWORD
	s_cbranch_vccnz .LBB2_938
; %bb.925:                              ;   in Loop: Header=BB2_124 Depth=2
	v_mov_b32_e32 v5, 0
	v_mov_b32_e32 v4, 0
	s_and_saveexec_b64 s[60:61], s[24:25]
	s_cbranch_execz .LBB2_931
; %bb.926:                              ;   in Loop: Header=BB2_124 Depth=2
	v_cmp_ne_u16_sdwa vcc, v15, s74 src0_sel:BYTE_0 src1_sel:DWORD
	v_bfrev_b32_e32 v4, 1
	s_and_saveexec_b64 s[62:63], vcc
	s_cbranch_execz .LBB2_930
; %bb.927:                              ;   in Loop: Header=BB2_124 Depth=2
	v_and_b32_e32 v18, 0x7f, v15
	v_cmp_ne_u32_e32 vcc, s75, v18
	v_mov_b32_e32 v4, 0x7f800001
	s_and_saveexec_b64 s[64:65], vcc
	s_cbranch_execz .LBB2_929
; %bb.928:                              ;   in Loop: Header=BB2_124 Depth=2
	v_and_b32_e32 v4, 7, v15
	v_ffbh_u32_e32 v4, v4
	v_min_u32_e32 v4, 32, v4
	v_subrev_u32_e32 v20, 28, v4
	v_cmp_gt_u32_e32 vcc, 8, v18
	v_lshrrev_b32_e32 v19, 3, v18
	v_sub_u32_e32 v4, 29, v4
	v_cndmask_b32_e32 v18, 0, v20, vcc
	v_cndmask_b32_e32 v4, v19, v4, vcc
	v_lshlrev_b64 v[18:19], v18, v[54:55]
	v_lshlrev_b32_e32 v18, 20, v18
	v_lshlrev_b32_e32 v19, 24, v54
	v_bfrev_b32_e32 v20, 60
	v_and_b32_e32 v18, 0x700000, v18
	v_and_b32_e32 v19, 0x80000000, v19
	v_lshl_add_u32 v4, v4, 23, v20
	v_or3_b32 v4, v19, v4, v18
.LBB2_929:                              ;   in Loop: Header=BB2_124 Depth=2
	s_or_b64 exec, exec, s[64:65]
.LBB2_930:                              ;   in Loop: Header=BB2_124 Depth=2
	s_or_b64 exec, exec, s[62:63]
.LBB2_931:                              ;   in Loop: Header=BB2_124 Depth=2
	s_or_b64 exec, exec, s[60:61]
	v_cmp_ne_u16_sdwa vcc, v11, v55 src0_sel:BYTE_0 src1_sel:DWORD
	s_and_saveexec_b64 s[60:61], vcc
	s_cbranch_execz .LBB2_937
; %bb.932:                              ;   in Loop: Header=BB2_124 Depth=2
	v_cmp_ne_u16_sdwa vcc, v11, s74 src0_sel:BYTE_0 src1_sel:DWORD
	v_bfrev_b32_e32 v5, 1
	s_and_saveexec_b64 s[62:63], vcc
	s_cbranch_execz .LBB2_936
; %bb.933:                              ;   in Loop: Header=BB2_124 Depth=2
	v_and_b32_e32 v18, 0x7f, v11
	v_cmp_ne_u32_e32 vcc, s75, v18
	v_mov_b32_e32 v5, 0x7f800001
	s_and_saveexec_b64 s[64:65], vcc
	s_cbranch_execz .LBB2_935
; %bb.934:                              ;   in Loop: Header=BB2_124 Depth=2
	v_and_b32_e32 v5, 7, v11
	v_ffbh_u32_e32 v5, v5
	v_min_u32_e32 v5, 32, v5
	v_subrev_u32_e32 v20, 28, v5
	v_cmp_gt_u32_e32 vcc, 8, v18
	v_lshrrev_b32_e32 v19, 3, v18
	v_sub_u32_e32 v5, 29, v5
	v_cndmask_b32_e32 v18, 0, v20, vcc
	v_cndmask_b32_e32 v5, v19, v5, vcc
	v_lshlrev_b64 v[18:19], v18, v[2:3]
	v_lshlrev_b32_e32 v18, 20, v18
	v_lshlrev_b32_e32 v19, 24, v2
	v_bfrev_b32_e32 v20, 60
	v_and_b32_e32 v18, 0x700000, v18
	v_and_b32_e32 v19, 0x80000000, v19
	v_lshl_add_u32 v5, v5, 23, v20
	v_or3_b32 v5, v19, v5, v18
.LBB2_935:                              ;   in Loop: Header=BB2_124 Depth=2
	s_or_b64 exec, exec, s[64:65]
.LBB2_936:                              ;   in Loop: Header=BB2_124 Depth=2
	s_or_b64 exec, exec, s[62:63]
.LBB2_937:                              ;   in Loop: Header=BB2_124 Depth=2
	s_or_b64 exec, exec, s[60:61]
	v_max_f32_e32 v5, v5, v5
	v_max_f32_e32 v4, v4, v4
	;; [unrolled: 1-line block ×3, first 2 shown]
	s_branch .LBB2_952
.LBB2_938:                              ;   in Loop: Header=BB2_124 Depth=2
                                        ; implicit-def: $vgpr4
	s_cbranch_execz .LBB2_952
; %bb.939:                              ;   in Loop: Header=BB2_124 Depth=2
	v_mov_b32_e32 v5, 0
	v_mov_b32_e32 v4, 0
	s_and_saveexec_b64 s[60:61], s[24:25]
	s_cbranch_execz .LBB2_945
; %bb.940:                              ;   in Loop: Header=BB2_124 Depth=2
	v_cmp_ne_u16_sdwa vcc, v15, s74 src0_sel:BYTE_0 src1_sel:DWORD
	v_bfrev_b32_e32 v4, 1
	s_and_saveexec_b64 s[24:25], vcc
	s_cbranch_execz .LBB2_944
; %bb.941:                              ;   in Loop: Header=BB2_124 Depth=2
	v_and_b32_e32 v18, 0x7f, v15
	v_cmp_ne_u32_e32 vcc, s75, v18
	v_mov_b32_e32 v4, 0x7f800001
	s_and_saveexec_b64 s[62:63], vcc
	s_cbranch_execz .LBB2_943
; %bb.942:                              ;   in Loop: Header=BB2_124 Depth=2
	v_and_b32_e32 v4, 7, v15
	v_ffbh_u32_e32 v4, v4
	v_min_u32_e32 v4, 32, v4
	v_subrev_u32_e32 v20, 28, v4
	v_cmp_gt_u32_e32 vcc, 8, v18
	v_lshrrev_b32_e32 v19, 3, v18
	v_sub_u32_e32 v4, 29, v4
	v_cndmask_b32_e32 v18, 0, v20, vcc
	v_cndmask_b32_e32 v4, v19, v4, vcc
	v_lshlrev_b64 v[18:19], v18, v[54:55]
	v_lshlrev_b32_e32 v18, 20, v18
	v_lshlrev_b32_e32 v19, 24, v54
	v_bfrev_b32_e32 v20, 60
	v_and_b32_e32 v18, 0x700000, v18
	v_and_b32_e32 v19, 0x80000000, v19
	v_lshl_add_u32 v4, v4, 23, v20
	v_or3_b32 v4, v19, v4, v18
.LBB2_943:                              ;   in Loop: Header=BB2_124 Depth=2
	s_or_b64 exec, exec, s[62:63]
.LBB2_944:                              ;   in Loop: Header=BB2_124 Depth=2
	s_or_b64 exec, exec, s[24:25]
.LBB2_945:                              ;   in Loop: Header=BB2_124 Depth=2
	s_or_b64 exec, exec, s[60:61]
	v_cmp_ne_u16_sdwa vcc, v11, v55 src0_sel:BYTE_0 src1_sel:DWORD
	s_and_saveexec_b64 s[24:25], vcc
	s_cbranch_execz .LBB2_951
; %bb.946:                              ;   in Loop: Header=BB2_124 Depth=2
	v_cmp_ne_u16_sdwa vcc, v11, s74 src0_sel:BYTE_0 src1_sel:DWORD
	v_bfrev_b32_e32 v5, 1
	s_and_saveexec_b64 s[60:61], vcc
	s_cbranch_execz .LBB2_950
; %bb.947:                              ;   in Loop: Header=BB2_124 Depth=2
	v_and_b32_e32 v18, 0x7f, v11
	v_cmp_ne_u32_e32 vcc, s75, v18
	v_mov_b32_e32 v5, 0x7f800001
	s_and_saveexec_b64 s[62:63], vcc
	s_cbranch_execz .LBB2_949
; %bb.948:                              ;   in Loop: Header=BB2_124 Depth=2
	v_and_b32_e32 v5, 7, v11
	v_ffbh_u32_e32 v5, v5
	v_min_u32_e32 v5, 32, v5
	v_subrev_u32_e32 v20, 28, v5
	v_cmp_gt_u32_e32 vcc, 8, v18
	v_lshrrev_b32_e32 v19, 3, v18
	v_sub_u32_e32 v5, 29, v5
	v_cndmask_b32_e32 v18, 0, v20, vcc
	v_cndmask_b32_e32 v5, v19, v5, vcc
	v_lshlrev_b64 v[18:19], v18, v[2:3]
	v_lshlrev_b32_e32 v3, 20, v18
	v_lshlrev_b32_e32 v18, 24, v2
	v_bfrev_b32_e32 v19, 60
	v_and_b32_e32 v3, 0x700000, v3
	v_and_b32_e32 v18, 0x80000000, v18
	v_lshl_add_u32 v5, v5, 23, v19
	v_or3_b32 v5, v18, v5, v3
.LBB2_949:                              ;   in Loop: Header=BB2_124 Depth=2
	s_or_b64 exec, exec, s[62:63]
.LBB2_950:                              ;   in Loop: Header=BB2_124 Depth=2
	s_or_b64 exec, exec, s[60:61]
.LBB2_951:                              ;   in Loop: Header=BB2_124 Depth=2
	s_or_b64 exec, exec, s[24:25]
	v_max_f32_e32 v3, v5, v5
	v_max_f32_e32 v4, v4, v4
	v_min_f32_e32 v4, v4, v3
.LBB2_952:                              ;   in Loop: Header=BB2_124 Depth=2
	v_and_b32_sdwa v3, v4, s74 dst_sel:DWORD dst_unused:UNUSED_PAD src0_sel:BYTE_3 src1_sel:DWORD
	v_and_b32_e32 v26, 0x7f800000, v4
	v_mov_b32_e32 v27, v55
	v_and_b32_e32 v18, 0x7fffff, v4
	v_mov_b32_e32 v19, v55
	v_or_b32_e32 v29, 0x7e, v3
	v_cmp_ne_u64_e32 vcc, s[44:45], v[26:27]
	s_and_saveexec_b64 s[24:25], vcc
	s_xor_b64 s[60:61], exec, s[24:25]
	s_cbranch_execz .LBB2_962
; %bb.953:                              ;   in Loop: Header=BB2_124 Depth=2
	v_and_b32_e32 v26, 0x7fffffff, v4
	v_mov_b32_e32 v27, v55
	v_cmp_gt_u64_e32 vcc, s[46:47], v[26:27]
	s_and_saveexec_b64 s[62:63], vcc
	s_cbranch_execz .LBB2_961
; %bb.954:                              ;   in Loop: Header=BB2_124 Depth=2
	v_cmp_ne_u32_e32 vcc, 0, v4
	v_mov_b32_e32 v29, 0
	s_and_saveexec_b64 s[64:65], vcc
	s_cbranch_execz .LBB2_960
; %bb.955:                              ;   in Loop: Header=BB2_124 Depth=2
	v_bfe_u32 v4, v4, 23, 8
	v_sub_u32_e32 v20, 0x79, v4
	v_cmp_gt_u32_e32 vcc, s77, v4
	v_add_u32_e32 v5, 0xffffff81, v4
	v_cndmask_b32_e32 v20, 0, v20, vcc
	v_cmp_eq_u32_e32 vcc, 0, v4
	v_mov_b32_e32 v4, 0xffffff82
	v_cndmask_b32_e32 v29, v5, v4, vcc
	v_mov_b32_e32 v4, 0x78
	v_cndmask_b32_e32 v20, v20, v4, vcc
	v_add_u32_e32 v4, 20, v20
	v_or_b32_e32 v26, 0x800000, v18
	v_lshlrev_b64 v[4:5], v4, -1
	v_cndmask_b32_e32 v18, v26, v18, vcc
	v_not_b32_e32 v4, v4
	v_and_b32_e32 v26, v18, v4
	v_add_u32_e32 v4, 19, v20
	v_lshrrev_b64 v[18:19], v20, v[18:19]
	v_not_b32_e32 v5, v5
	v_lshlrev_b64 v[38:39], v4, 1
	v_lshrrev_b32_e32 v4, 23, v18
	v_and_b32_e32 v27, 0, v5
	v_add3_u32 v20, v20, v29, v4
	v_bfe_u32 v4, v18, 20, 1
	v_add_u32_e32 v4, -1, v4
	v_cmp_eq_u64_e32 vcc, v[26:27], v[38:39]
	v_cndmask_b32_e32 v4, 0, v4, vcc
	v_add_u32_e32 v4, v4, v18
	v_and_b32_e32 v4, 0xfffff, v4
	v_add_co_u32_e32 v18, vcc, v4, v18
	v_add_u32_e32 v5, 6, v20
	v_addc_co_u32_e32 v19, vcc, 0, v19, vcc
	v_cmp_ne_u32_e32 vcc, 0, v5
                                        ; implicit-def: $vgpr4
	s_and_saveexec_b64 s[24:25], vcc
	s_xor_b64 s[24:25], exec, s[24:25]
; %bb.956:                              ;   in Loop: Header=BB2_124 Depth=2
	v_add_u32_e32 v4, 7, v20
	v_cmp_lt_u64_e32 vcc, s[50:51], v[18:19]
	v_cndmask_b32_e32 v4, v5, v4, vcc
	v_cndmask_b32_e64 v5, 0, 1, vcc
	v_lshrrev_b64 v[18:19], v5, v[18:19]
; %bb.957:                              ;   in Loop: Header=BB2_124 Depth=2
	s_andn2_saveexec_b64 s[24:25], s[24:25]
; %bb.958:                              ;   in Loop: Header=BB2_124 Depth=2
	v_bfe_u32 v4, v18, 23, 1
; %bb.959:                              ;   in Loop: Header=BB2_124 Depth=2
	s_or_b64 exec, exec, s[24:25]
	v_lshrrev_b64 v[18:19], 20, v[18:19]
	v_cmp_gt_i32_e32 vcc, 16, v4
	v_cndmask_b32_e32 v19, 0, v19, vcc
	v_cndmask_b32_e32 v18, 7, v18, vcc
	v_cmp_eq_u32_e32 vcc, 0, v4
	v_min_i32_e32 v4, 15, v4
	v_cmp_eq_u64_e64 s[24:25], 0, v[18:19]
	v_lshlrev_b32_e32 v4, 3, v4
	v_and_or_b32 v4, v18, 7, v4
	s_and_b64 s[24:25], vcc, s[24:25]
	v_cndmask_b32_e64 v4, v4, 0, s[24:25]
	v_or_b32_e32 v29, v4, v3
.LBB2_960:                              ;   in Loop: Header=BB2_124 Depth=2
	s_or_b64 exec, exec, s[64:65]
.LBB2_961:                              ;   in Loop: Header=BB2_124 Depth=2
	s_or_b64 exec, exec, s[62:63]
                                        ; implicit-def: $vgpr4
                                        ; implicit-def: $vgpr18_vgpr19
.LBB2_962:                              ;   in Loop: Header=BB2_124 Depth=2
	s_andn2_saveexec_b64 s[24:25], s[60:61]
; %bb.963:                              ;   in Loop: Header=BB2_124 Depth=2
	v_or_b32_sdwa v3, v4, s75 dst_sel:DWORD dst_unused:UNUSED_PAD src0_sel:BYTE_3 src1_sel:DWORD
	v_cmp_eq_u64_e32 vcc, 0, v[18:19]
	v_cndmask_b32_e32 v29, v3, v29, vcc
; %bb.964:                              ;   in Loop: Header=BB2_124 Depth=2
	s_or_b64 exec, exec, s[24:25]
	v_lshrrev_b16_e32 v20, 8, v54
	v_lshrrev_b16_e32 v18, 8, v2
	s_and_b64 vcc, exec, s[22:23]
	v_cmp_ne_u16_e64 s[24:25], 0, v20
	s_cbranch_vccnz .LBB2_978
; %bb.965:                              ;   in Loop: Header=BB2_124 Depth=2
	v_mov_b32_e32 v4, 0
	v_mov_b32_e32 v3, 0
	s_and_saveexec_b64 s[60:61], s[24:25]
	s_cbranch_execz .LBB2_971
; %bb.966:                              ;   in Loop: Header=BB2_124 Depth=2
	v_cmp_ne_u16_e32 vcc, s74, v20
	v_bfrev_b32_e32 v3, 1
	s_and_saveexec_b64 s[62:63], vcc
	s_cbranch_execz .LBB2_970
; %bb.967:                              ;   in Loop: Header=BB2_124 Depth=2
	v_and_b32_e32 v5, 0x7f, v20
	v_cmp_ne_u32_e32 vcc, s75, v5
	v_mov_b32_e32 v3, 0x7f800001
	s_and_saveexec_b64 s[64:65], vcc
	s_cbranch_execz .LBB2_969
; %bb.968:                              ;   in Loop: Header=BB2_124 Depth=2
	v_and_b32_e32 v3, 7, v20
	v_ffbh_u32_e32 v26, v3
	v_min_u32_e32 v34, 32, v26
	v_subrev_u32_e32 v26, 28, v34
	v_lshlrev_b64 v[26:27], v26, v[20:21]
	v_lshrrev_b32_e32 v19, 3, v5
	v_sub_u32_e32 v27, 29, v34
	v_and_b32_e32 v26, 7, v26
	v_cmp_gt_u32_e32 vcc, 8, v5
	v_cndmask_b32_e32 v5, v19, v27, vcc
	v_cndmask_b32_e32 v3, v3, v26, vcc
	v_lshlrev_b32_e32 v19, 16, v54
	v_bfrev_b32_e32 v26, 60
	v_lshlrev_b32_e32 v3, 20, v3
	v_and_b32_e32 v19, 0x80000000, v19
	v_lshl_add_u32 v5, v5, 23, v26
	v_or3_b32 v3, v19, v5, v3
.LBB2_969:                              ;   in Loop: Header=BB2_124 Depth=2
	s_or_b64 exec, exec, s[64:65]
.LBB2_970:                              ;   in Loop: Header=BB2_124 Depth=2
	s_or_b64 exec, exec, s[62:63]
.LBB2_971:                              ;   in Loop: Header=BB2_124 Depth=2
	s_or_b64 exec, exec, s[60:61]
	v_cmp_ne_u16_e32 vcc, 0, v18
	s_and_saveexec_b64 s[60:61], vcc
	s_cbranch_execz .LBB2_977
; %bb.972:                              ;   in Loop: Header=BB2_124 Depth=2
	v_cmp_ne_u16_e32 vcc, s74, v18
	v_bfrev_b32_e32 v4, 1
	s_and_saveexec_b64 s[62:63], vcc
	s_cbranch_execz .LBB2_976
; %bb.973:                              ;   in Loop: Header=BB2_124 Depth=2
	v_and_b32_e32 v5, 0x7f, v18
	v_cmp_ne_u32_e32 vcc, s75, v5
	v_mov_b32_e32 v4, 0x7f800001
	s_and_saveexec_b64 s[64:65], vcc
	s_cbranch_execz .LBB2_975
; %bb.974:                              ;   in Loop: Header=BB2_124 Depth=2
	v_and_b32_e32 v4, 7, v18
	v_ffbh_u32_e32 v26, v4
	v_min_u32_e32 v34, 32, v26
	v_lshrrev_b32_e32 v19, 3, v5
	v_subrev_u32_e32 v26, 28, v34
	v_lshlrev_b64 v[26:27], v26, v[18:19]
	v_sub_u32_e32 v27, 29, v34
	v_and_b32_e32 v26, 7, v26
	v_cmp_gt_u32_e32 vcc, 8, v5
	v_cndmask_b32_e32 v5, v19, v27, vcc
	v_cndmask_b32_e32 v4, v4, v26, vcc
	v_lshlrev_b32_e32 v19, 16, v2
	v_bfrev_b32_e32 v26, 60
	v_lshlrev_b32_e32 v4, 20, v4
	v_and_b32_e32 v19, 0x80000000, v19
	v_lshl_add_u32 v5, v5, 23, v26
	v_or3_b32 v4, v19, v5, v4
.LBB2_975:                              ;   in Loop: Header=BB2_124 Depth=2
	s_or_b64 exec, exec, s[64:65]
.LBB2_976:                              ;   in Loop: Header=BB2_124 Depth=2
	s_or_b64 exec, exec, s[62:63]
.LBB2_977:                              ;   in Loop: Header=BB2_124 Depth=2
	s_or_b64 exec, exec, s[60:61]
	v_max_f32_e32 v4, v4, v4
	v_max_f32_e32 v3, v3, v3
	;; [unrolled: 1-line block ×3, first 2 shown]
	s_branch .LBB2_992
.LBB2_978:                              ;   in Loop: Header=BB2_124 Depth=2
                                        ; implicit-def: $vgpr3
	s_cbranch_execz .LBB2_992
; %bb.979:                              ;   in Loop: Header=BB2_124 Depth=2
	v_mov_b32_e32 v4, 0
	v_mov_b32_e32 v3, 0
	s_and_saveexec_b64 s[60:61], s[24:25]
	s_cbranch_execz .LBB2_985
; %bb.980:                              ;   in Loop: Header=BB2_124 Depth=2
	v_cmp_ne_u16_e32 vcc, s74, v20
	v_bfrev_b32_e32 v3, 1
	s_and_saveexec_b64 s[24:25], vcc
	s_cbranch_execz .LBB2_984
; %bb.981:                              ;   in Loop: Header=BB2_124 Depth=2
	v_and_b32_e32 v5, 0x7f, v20
	v_cmp_ne_u32_e32 vcc, s75, v5
	v_mov_b32_e32 v3, 0x7f800001
	s_and_saveexec_b64 s[62:63], vcc
	s_cbranch_execz .LBB2_983
; %bb.982:                              ;   in Loop: Header=BB2_124 Depth=2
	v_and_b32_e32 v3, 7, v20
	v_ffbh_u32_e32 v26, v3
	v_min_u32_e32 v34, 32, v26
	v_subrev_u32_e32 v26, 28, v34
	v_lshlrev_b64 v[26:27], v26, v[20:21]
	v_lshrrev_b32_e32 v19, 3, v5
	v_sub_u32_e32 v20, 29, v34
	v_and_b32_e32 v26, 7, v26
	v_cmp_gt_u32_e32 vcc, 8, v5
	v_cndmask_b32_e32 v5, v19, v20, vcc
	v_cndmask_b32_e32 v3, v3, v26, vcc
	v_lshlrev_b32_e32 v19, 16, v54
	v_bfrev_b32_e32 v20, 60
	v_lshlrev_b32_e32 v3, 20, v3
	v_and_b32_e32 v19, 0x80000000, v19
	v_lshl_add_u32 v5, v5, 23, v20
	v_or3_b32 v3, v19, v5, v3
.LBB2_983:                              ;   in Loop: Header=BB2_124 Depth=2
	s_or_b64 exec, exec, s[62:63]
.LBB2_984:                              ;   in Loop: Header=BB2_124 Depth=2
	s_or_b64 exec, exec, s[24:25]
.LBB2_985:                              ;   in Loop: Header=BB2_124 Depth=2
	s_or_b64 exec, exec, s[60:61]
	v_cmp_ne_u16_e32 vcc, 0, v18
	s_and_saveexec_b64 s[24:25], vcc
	s_cbranch_execz .LBB2_991
; %bb.986:                              ;   in Loop: Header=BB2_124 Depth=2
	v_cmp_ne_u16_e32 vcc, s74, v18
	v_bfrev_b32_e32 v4, 1
	s_and_saveexec_b64 s[60:61], vcc
	s_cbranch_execz .LBB2_990
; %bb.987:                              ;   in Loop: Header=BB2_124 Depth=2
	v_and_b32_e32 v5, 0x7f, v18
	v_cmp_ne_u32_e32 vcc, s75, v5
	v_mov_b32_e32 v4, 0x7f800001
	s_and_saveexec_b64 s[62:63], vcc
	s_cbranch_execz .LBB2_989
; %bb.988:                              ;   in Loop: Header=BB2_124 Depth=2
	v_and_b32_e32 v4, 7, v18
	v_ffbh_u32_e32 v19, v4
	v_min_u32_e32 v26, 32, v19
	v_subrev_u32_e32 v19, 28, v26
	v_lshlrev_b64 v[18:19], v19, v[18:19]
	v_lshrrev_b32_e32 v20, 3, v5
	v_sub_u32_e32 v19, 29, v26
	v_and_b32_e32 v18, 7, v18
	v_cmp_gt_u32_e32 vcc, 8, v5
	v_cndmask_b32_e32 v5, v20, v19, vcc
	v_cndmask_b32_e32 v4, v4, v18, vcc
	v_lshlrev_b32_e32 v2, 16, v2
	v_bfrev_b32_e32 v18, 60
	v_lshlrev_b32_e32 v4, 20, v4
	v_and_b32_e32 v2, 0x80000000, v2
	v_lshl_add_u32 v5, v5, 23, v18
	v_or3_b32 v4, v2, v5, v4
.LBB2_989:                              ;   in Loop: Header=BB2_124 Depth=2
	s_or_b64 exec, exec, s[62:63]
.LBB2_990:                              ;   in Loop: Header=BB2_124 Depth=2
	s_or_b64 exec, exec, s[60:61]
.LBB2_991:                              ;   in Loop: Header=BB2_124 Depth=2
	s_or_b64 exec, exec, s[24:25]
	v_max_f32_e32 v2, v4, v4
	v_max_f32_e32 v3, v3, v3
	v_min_f32_e32 v3, v3, v2
.LBB2_992:                              ;   in Loop: Header=BB2_124 Depth=2
	v_and_b32_sdwa v4, v3, s74 dst_sel:DWORD dst_unused:UNUSED_PAD src0_sel:BYTE_3 src1_sel:DWORD
	v_and_b32_e32 v26, 0x7f800000, v3
	v_mov_b32_e32 v27, v55
	v_and_b32_e32 v54, 0x7fffff, v3
	v_or_b32_e32 v19, 0x7e, v4
	v_cmp_ne_u64_e32 vcc, s[44:45], v[26:27]
	s_and_saveexec_b64 s[24:25], vcc
	s_xor_b64 s[60:61], exec, s[24:25]
	s_cbranch_execz .LBB2_1002
; %bb.993:                              ;   in Loop: Header=BB2_124 Depth=2
	v_and_b32_e32 v26, 0x7fffffff, v3
	v_mov_b32_e32 v27, v55
	v_cmp_gt_u64_e32 vcc, s[46:47], v[26:27]
	s_and_saveexec_b64 s[62:63], vcc
	s_cbranch_execz .LBB2_1001
; %bb.994:                              ;   in Loop: Header=BB2_124 Depth=2
	v_cmp_ne_u32_e32 vcc, 0, v3
	v_mov_b32_e32 v19, 0
	s_and_saveexec_b64 s[64:65], vcc
	s_cbranch_execz .LBB2_1000
; %bb.995:                              ;   in Loop: Header=BB2_124 Depth=2
	v_bfe_u32 v2, v3, 23, 8
	v_sub_u32_e32 v5, 0x79, v2
	v_cmp_gt_u32_e32 vcc, s77, v2
	v_add_u32_e32 v3, 0xffffff81, v2
	v_cndmask_b32_e32 v5, 0, v5, vcc
	v_cmp_eq_u32_e32 vcc, 0, v2
	v_mov_b32_e32 v2, 0xffffff82
	v_cndmask_b32_e32 v19, v3, v2, vcc
	v_mov_b32_e32 v2, 0x78
	v_or_b32_e32 v18, 0x800000, v54
	v_cndmask_b32_e32 v5, v5, v2, vcc
	v_cndmask_b32_e32 v54, v18, v54, vcc
	v_add_u32_e32 v2, 20, v5
	v_lshlrev_b64 v[2:3], v2, -1
	v_add_u32_e32 v18, 19, v5
	v_lshrrev_b64 v[38:39], v5, v[54:55]
	v_not_b32_e32 v3, v3
	v_not_b32_e32 v2, v2
	v_lshlrev_b64 v[26:27], v18, 1
	v_lshrrev_b32_e32 v18, 23, v38
	v_and_b32_e32 v3, 0, v3
	v_and_b32_e32 v2, v54, v2
	v_add3_u32 v19, v5, v19, v18
	v_bfe_u32 v5, v38, 20, 1
	v_add_u32_e32 v5, -1, v5
	v_cmp_eq_u64_e32 vcc, v[2:3], v[26:27]
	v_cndmask_b32_e32 v2, 0, v5, vcc
	v_add_u32_e32 v2, v2, v38
	v_and_b32_e32 v2, 0xfffff, v2
	v_add_co_u32_e32 v2, vcc, v2, v38
	v_add_u32_e32 v18, 6, v19
	v_addc_co_u32_e32 v3, vcc, 0, v39, vcc
	v_cmp_ne_u32_e32 vcc, 0, v18
                                        ; implicit-def: $vgpr5
	s_and_saveexec_b64 s[24:25], vcc
	s_xor_b64 s[24:25], exec, s[24:25]
; %bb.996:                              ;   in Loop: Header=BB2_124 Depth=2
	v_add_u32_e32 v5, 7, v19
	v_cmp_lt_u64_e32 vcc, s[50:51], v[2:3]
	v_cndmask_b32_e32 v5, v18, v5, vcc
	v_cndmask_b32_e64 v18, 0, 1, vcc
	v_lshrrev_b64 v[2:3], v18, v[2:3]
; %bb.997:                              ;   in Loop: Header=BB2_124 Depth=2
	s_andn2_saveexec_b64 s[24:25], s[24:25]
; %bb.998:                              ;   in Loop: Header=BB2_124 Depth=2
	v_bfe_u32 v5, v2, 23, 1
; %bb.999:                              ;   in Loop: Header=BB2_124 Depth=2
	s_or_b64 exec, exec, s[24:25]
	v_lshrrev_b64 v[2:3], 20, v[2:3]
	v_cmp_gt_i32_e32 vcc, 16, v5
	v_cndmask_b32_e32 v3, 0, v3, vcc
	v_cndmask_b32_e32 v2, 7, v2, vcc
	v_cmp_eq_u64_e64 s[24:25], 0, v[2:3]
	v_min_i32_e32 v3, 15, v5
	v_cmp_eq_u32_e32 vcc, 0, v5
	v_lshlrev_b32_e32 v3, 3, v3
	v_and_or_b32 v2, v2, 7, v3
	s_and_b64 s[24:25], vcc, s[24:25]
	v_cndmask_b32_e64 v2, v2, 0, s[24:25]
	v_or_b32_e32 v19, v2, v4
.LBB2_1000:                             ;   in Loop: Header=BB2_124 Depth=2
	s_or_b64 exec, exec, s[64:65]
.LBB2_1001:                             ;   in Loop: Header=BB2_124 Depth=2
	s_or_b64 exec, exec, s[62:63]
                                        ; implicit-def: $vgpr3
.LBB2_1002:                             ;   in Loop: Header=BB2_124 Depth=2
	s_andn2_saveexec_b64 s[24:25], s[60:61]
; %bb.1003:                             ;   in Loop: Header=BB2_124 Depth=2
	v_or_b32_sdwa v2, v3, s75 dst_sel:DWORD dst_unused:UNUSED_PAD src0_sel:BYTE_3 src1_sel:DWORD
	v_cmp_eq_u64_e32 vcc, 0, v[54:55]
	v_cndmask_b32_e32 v19, v2, v19, vcc
; %bb.1004:                             ;   in Loop: Header=BB2_124 Depth=2
	s_or_b64 exec, exec, s[24:25]
	v_lshrrev_b32_e32 v18, 16, v15
	v_lshrrev_b32_e32 v2, 16, v11
	s_and_b64 vcc, exec, s[22:23]
	v_cmp_ne_u16_sdwa s[24:25], v18, v55 src0_sel:BYTE_0 src1_sel:DWORD
	s_cbranch_vccnz .LBB2_1018
; %bb.1005:                             ;   in Loop: Header=BB2_124 Depth=2
	v_mov_b32_e32 v4, 0
	v_mov_b32_e32 v3, 0
	s_and_saveexec_b64 s[60:61], s[24:25]
	s_cbranch_execz .LBB2_1011
; %bb.1006:                             ;   in Loop: Header=BB2_124 Depth=2
	v_cmp_ne_u16_sdwa vcc, v18, s74 src0_sel:BYTE_0 src1_sel:DWORD
	v_bfrev_b32_e32 v3, 1
	s_and_saveexec_b64 s[62:63], vcc
	s_cbranch_execz .LBB2_1010
; %bb.1007:                             ;   in Loop: Header=BB2_124 Depth=2
	v_bfe_u32 v5, v15, 16, 7
	v_cmp_ne_u32_e32 vcc, s75, v5
	v_mov_b32_e32 v3, 0x7f800001
	s_and_saveexec_b64 s[64:65], vcc
	s_cbranch_execz .LBB2_1009
; %bb.1008:                             ;   in Loop: Header=BB2_124 Depth=2
	v_and_b32_e32 v3, 7, v18
	v_ffbh_u32_e32 v26, v3
	v_min_u32_e32 v34, 32, v26
	v_subrev_u32_e32 v26, 28, v34
	v_lshlrev_b64 v[26:27], v26, v[18:19]
	v_lshrrev_b32_e32 v20, 3, v5
	v_sub_u32_e32 v27, 29, v34
	v_and_b32_e32 v26, 7, v26
	v_cmp_gt_u32_e32 vcc, 8, v5
	v_cndmask_b32_e32 v5, v20, v27, vcc
	v_cndmask_b32_e32 v3, v3, v26, vcc
	v_lshlrev_b32_e32 v20, 24, v18
	v_bfrev_b32_e32 v26, 60
	v_lshlrev_b32_e32 v3, 20, v3
	v_and_b32_e32 v20, 0x80000000, v20
	v_lshl_add_u32 v5, v5, 23, v26
	v_or3_b32 v3, v20, v5, v3
.LBB2_1009:                             ;   in Loop: Header=BB2_124 Depth=2
	s_or_b64 exec, exec, s[64:65]
.LBB2_1010:                             ;   in Loop: Header=BB2_124 Depth=2
	s_or_b64 exec, exec, s[62:63]
.LBB2_1011:                             ;   in Loop: Header=BB2_124 Depth=2
	s_or_b64 exec, exec, s[60:61]
	v_cmp_ne_u16_sdwa vcc, v2, v55 src0_sel:BYTE_0 src1_sel:DWORD
	s_and_saveexec_b64 s[60:61], vcc
	s_cbranch_execz .LBB2_1017
; %bb.1012:                             ;   in Loop: Header=BB2_124 Depth=2
	v_cmp_ne_u16_sdwa vcc, v2, s74 src0_sel:BYTE_0 src1_sel:DWORD
	v_bfrev_b32_e32 v4, 1
	s_and_saveexec_b64 s[62:63], vcc
	s_cbranch_execz .LBB2_1016
; %bb.1013:                             ;   in Loop: Header=BB2_124 Depth=2
	v_bfe_u32 v5, v11, 16, 7
	v_cmp_ne_u32_e32 vcc, s75, v5
	v_mov_b32_e32 v4, 0x7f800001
	s_and_saveexec_b64 s[64:65], vcc
	s_cbranch_execz .LBB2_1015
; %bb.1014:                             ;   in Loop: Header=BB2_124 Depth=2
	v_and_b32_e32 v4, 7, v2
	v_ffbh_u32_e32 v26, v4
	v_min_u32_e32 v34, 32, v26
	v_subrev_u32_e32 v26, 28, v34
	v_lshlrev_b64 v[26:27], v26, v[2:3]
	v_lshrrev_b32_e32 v20, 3, v5
	v_sub_u32_e32 v27, 29, v34
	v_and_b32_e32 v26, 7, v26
	v_cmp_gt_u32_e32 vcc, 8, v5
	v_cndmask_b32_e32 v5, v20, v27, vcc
	v_cndmask_b32_e32 v4, v4, v26, vcc
	v_lshlrev_b32_e32 v20, 24, v2
	v_bfrev_b32_e32 v26, 60
	v_lshlrev_b32_e32 v4, 20, v4
	v_and_b32_e32 v20, 0x80000000, v20
	v_lshl_add_u32 v5, v5, 23, v26
	v_or3_b32 v4, v20, v5, v4
.LBB2_1015:                             ;   in Loop: Header=BB2_124 Depth=2
	s_or_b64 exec, exec, s[64:65]
.LBB2_1016:                             ;   in Loop: Header=BB2_124 Depth=2
	s_or_b64 exec, exec, s[62:63]
.LBB2_1017:                             ;   in Loop: Header=BB2_124 Depth=2
	s_or_b64 exec, exec, s[60:61]
	v_max_f32_e32 v4, v4, v4
	v_max_f32_e32 v3, v3, v3
	;; [unrolled: 1-line block ×3, first 2 shown]
	s_branch .LBB2_1032
.LBB2_1018:                             ;   in Loop: Header=BB2_124 Depth=2
                                        ; implicit-def: $vgpr3
	s_cbranch_execz .LBB2_1032
; %bb.1019:                             ;   in Loop: Header=BB2_124 Depth=2
	v_mov_b32_e32 v4, 0
	v_mov_b32_e32 v3, 0
	s_and_saveexec_b64 s[60:61], s[24:25]
	s_cbranch_execz .LBB2_1025
; %bb.1020:                             ;   in Loop: Header=BB2_124 Depth=2
	v_cmp_ne_u16_sdwa vcc, v18, s74 src0_sel:BYTE_0 src1_sel:DWORD
	v_bfrev_b32_e32 v3, 1
	s_and_saveexec_b64 s[24:25], vcc
	s_cbranch_execz .LBB2_1024
; %bb.1021:                             ;   in Loop: Header=BB2_124 Depth=2
	v_bfe_u32 v5, v15, 16, 7
	v_cmp_ne_u32_e32 vcc, s75, v5
	v_mov_b32_e32 v3, 0x7f800001
	s_and_saveexec_b64 s[62:63], vcc
	s_cbranch_execz .LBB2_1023
; %bb.1022:                             ;   in Loop: Header=BB2_124 Depth=2
	v_and_b32_e32 v3, 7, v18
	v_ffbh_u32_e32 v26, v3
	v_min_u32_e32 v34, 32, v26
	v_subrev_u32_e32 v26, 28, v34
	v_lshlrev_b64 v[26:27], v26, v[18:19]
	v_lshrrev_b32_e32 v20, 3, v5
	v_sub_u32_e32 v27, 29, v34
	v_and_b32_e32 v26, 7, v26
	v_cmp_gt_u32_e32 vcc, 8, v5
	v_cndmask_b32_e32 v5, v20, v27, vcc
	v_cndmask_b32_e32 v3, v3, v26, vcc
	v_lshlrev_b32_e32 v18, 24, v18
	v_bfrev_b32_e32 v20, 60
	v_lshlrev_b32_e32 v3, 20, v3
	v_and_b32_e32 v18, 0x80000000, v18
	v_lshl_add_u32 v5, v5, 23, v20
	v_or3_b32 v3, v18, v5, v3
.LBB2_1023:                             ;   in Loop: Header=BB2_124 Depth=2
	s_or_b64 exec, exec, s[62:63]
.LBB2_1024:                             ;   in Loop: Header=BB2_124 Depth=2
	s_or_b64 exec, exec, s[24:25]
.LBB2_1025:                             ;   in Loop: Header=BB2_124 Depth=2
	s_or_b64 exec, exec, s[60:61]
	v_cmp_ne_u16_sdwa vcc, v2, v55 src0_sel:BYTE_0 src1_sel:DWORD
	s_and_saveexec_b64 s[24:25], vcc
	s_cbranch_execz .LBB2_1031
; %bb.1026:                             ;   in Loop: Header=BB2_124 Depth=2
	v_cmp_ne_u16_sdwa vcc, v2, s74 src0_sel:BYTE_0 src1_sel:DWORD
	v_bfrev_b32_e32 v4, 1
	s_and_saveexec_b64 s[60:61], vcc
	s_cbranch_execz .LBB2_1030
; %bb.1027:                             ;   in Loop: Header=BB2_124 Depth=2
	v_bfe_u32 v5, v11, 16, 7
	v_cmp_ne_u32_e32 vcc, s75, v5
	v_mov_b32_e32 v4, 0x7f800001
	s_and_saveexec_b64 s[62:63], vcc
	s_cbranch_execz .LBB2_1029
; %bb.1028:                             ;   in Loop: Header=BB2_124 Depth=2
	v_and_b32_e32 v4, 7, v2
	v_ffbh_u32_e32 v20, v4
	v_min_u32_e32 v20, 32, v20
	v_subrev_u32_e32 v26, 28, v20
	v_lshlrev_b64 v[26:27], v26, v[2:3]
	v_lshrrev_b32_e32 v18, 3, v5
	v_sub_u32_e32 v20, 29, v20
	v_and_b32_e32 v26, 7, v26
	v_cmp_gt_u32_e32 vcc, 8, v5
	v_cndmask_b32_e32 v5, v18, v20, vcc
	v_cndmask_b32_e32 v4, v4, v26, vcc
	v_lshlrev_b32_e32 v2, 24, v2
	v_bfrev_b32_e32 v18, 60
	v_lshlrev_b32_e32 v4, 20, v4
	v_and_b32_e32 v2, 0x80000000, v2
	v_lshl_add_u32 v5, v5, 23, v18
	v_or3_b32 v4, v2, v5, v4
.LBB2_1029:                             ;   in Loop: Header=BB2_124 Depth=2
	s_or_b64 exec, exec, s[62:63]
.LBB2_1030:                             ;   in Loop: Header=BB2_124 Depth=2
	s_or_b64 exec, exec, s[60:61]
.LBB2_1031:                             ;   in Loop: Header=BB2_124 Depth=2
	s_or_b64 exec, exec, s[24:25]
	v_max_f32_e32 v2, v4, v4
	v_max_f32_e32 v3, v3, v3
	v_min_f32_e32 v3, v3, v2
.LBB2_1032:                             ;   in Loop: Header=BB2_124 Depth=2
	v_and_b32_sdwa v4, v3, s74 dst_sel:DWORD dst_unused:UNUSED_PAD src0_sel:BYTE_3 src1_sel:DWORD
	v_and_b32_e32 v26, 0x7f800000, v3
	v_mov_b32_e32 v27, v55
	v_and_b32_e32 v54, 0x7fffff, v3
	v_or_b32_e32 v20, 0x7e, v4
	v_cmp_ne_u64_e32 vcc, s[44:45], v[26:27]
	s_and_saveexec_b64 s[24:25], vcc
	s_xor_b64 s[60:61], exec, s[24:25]
	s_cbranch_execz .LBB2_1042
; %bb.1033:                             ;   in Loop: Header=BB2_124 Depth=2
	v_and_b32_e32 v26, 0x7fffffff, v3
	v_mov_b32_e32 v27, v55
	v_cmp_gt_u64_e32 vcc, s[46:47], v[26:27]
	s_and_saveexec_b64 s[62:63], vcc
	s_cbranch_execz .LBB2_1041
; %bb.1034:                             ;   in Loop: Header=BB2_124 Depth=2
	v_cmp_ne_u32_e32 vcc, 0, v3
	v_mov_b32_e32 v20, 0
	s_and_saveexec_b64 s[64:65], vcc
	s_cbranch_execz .LBB2_1040
; %bb.1035:                             ;   in Loop: Header=BB2_124 Depth=2
	v_bfe_u32 v2, v3, 23, 8
	v_sub_u32_e32 v5, 0x79, v2
	v_cmp_gt_u32_e32 vcc, s77, v2
	v_add_u32_e32 v3, 0xffffff81, v2
	v_cndmask_b32_e32 v5, 0, v5, vcc
	v_cmp_eq_u32_e32 vcc, 0, v2
	v_mov_b32_e32 v2, 0xffffff82
	v_cndmask_b32_e32 v20, v3, v2, vcc
	v_mov_b32_e32 v2, 0x78
	v_or_b32_e32 v18, 0x800000, v54
	v_cndmask_b32_e32 v5, v5, v2, vcc
	v_cndmask_b32_e32 v54, v18, v54, vcc
	v_add_u32_e32 v2, 20, v5
	v_lshlrev_b64 v[2:3], v2, -1
	v_add_u32_e32 v18, 19, v5
	v_lshrrev_b64 v[38:39], v5, v[54:55]
	v_not_b32_e32 v3, v3
	v_not_b32_e32 v2, v2
	v_lshlrev_b64 v[26:27], v18, 1
	v_lshrrev_b32_e32 v18, 23, v38
	v_and_b32_e32 v3, 0, v3
	v_and_b32_e32 v2, v54, v2
	v_add3_u32 v20, v5, v20, v18
	v_bfe_u32 v5, v38, 20, 1
	v_add_u32_e32 v5, -1, v5
	v_cmp_eq_u64_e32 vcc, v[2:3], v[26:27]
	v_cndmask_b32_e32 v2, 0, v5, vcc
	v_add_u32_e32 v2, v2, v38
	v_and_b32_e32 v2, 0xfffff, v2
	v_add_co_u32_e32 v2, vcc, v2, v38
	v_add_u32_e32 v18, 6, v20
	v_addc_co_u32_e32 v3, vcc, 0, v39, vcc
	v_cmp_ne_u32_e32 vcc, 0, v18
                                        ; implicit-def: $vgpr5
	s_and_saveexec_b64 s[24:25], vcc
	s_xor_b64 s[24:25], exec, s[24:25]
; %bb.1036:                             ;   in Loop: Header=BB2_124 Depth=2
	v_add_u32_e32 v5, 7, v20
	v_cmp_lt_u64_e32 vcc, s[50:51], v[2:3]
	v_cndmask_b32_e32 v5, v18, v5, vcc
	v_cndmask_b32_e64 v18, 0, 1, vcc
	v_lshrrev_b64 v[2:3], v18, v[2:3]
; %bb.1037:                             ;   in Loop: Header=BB2_124 Depth=2
	s_andn2_saveexec_b64 s[24:25], s[24:25]
; %bb.1038:                             ;   in Loop: Header=BB2_124 Depth=2
	v_bfe_u32 v5, v2, 23, 1
; %bb.1039:                             ;   in Loop: Header=BB2_124 Depth=2
	s_or_b64 exec, exec, s[24:25]
	v_lshrrev_b64 v[2:3], 20, v[2:3]
	v_cmp_gt_i32_e32 vcc, 16, v5
	v_cndmask_b32_e32 v3, 0, v3, vcc
	v_cndmask_b32_e32 v2, 7, v2, vcc
	v_cmp_eq_u64_e64 s[24:25], 0, v[2:3]
	v_min_i32_e32 v3, 15, v5
	v_lshlrev_b32_e32 v3, 3, v3
	v_cmp_eq_u32_e32 vcc, 0, v5
	v_and_b32_e32 v3, 0xf8, v3
	v_and_or_b32 v2, v2, 7, v3
	s_and_b64 s[24:25], vcc, s[24:25]
	v_cndmask_b32_e64 v2, v2, 0, s[24:25]
	v_or_b32_e32 v20, v2, v4
.LBB2_1040:                             ;   in Loop: Header=BB2_124 Depth=2
	s_or_b64 exec, exec, s[64:65]
.LBB2_1041:                             ;   in Loop: Header=BB2_124 Depth=2
	s_or_b64 exec, exec, s[62:63]
                                        ; implicit-def: $vgpr3
.LBB2_1042:                             ;   in Loop: Header=BB2_124 Depth=2
	s_andn2_saveexec_b64 s[24:25], s[60:61]
; %bb.1043:                             ;   in Loop: Header=BB2_124 Depth=2
	v_or_b32_sdwa v2, v3, s75 dst_sel:DWORD dst_unused:UNUSED_PAD src0_sel:BYTE_3 src1_sel:DWORD
	v_cmp_eq_u64_e32 vcc, 0, v[54:55]
	v_cndmask_b32_e32 v20, v2, v20, vcc
; %bb.1044:                             ;   in Loop: Header=BB2_124 Depth=2
	s_or_b64 exec, exec, s[24:25]
	v_lshrrev_b32_e32 v18, 24, v15
	v_lshrrev_b32_e32 v2, 24, v11
	s_and_b64 vcc, exec, s[22:23]
	v_cmp_lt_u64_e64 s[24:25], s[48:49], v[14:15]
	s_cbranch_vccnz .LBB2_1058
; %bb.1045:                             ;   in Loop: Header=BB2_124 Depth=2
	v_mov_b32_e32 v4, 0
	v_mov_b32_e32 v3, 0
	s_and_saveexec_b64 s[60:61], s[24:25]
	s_cbranch_execz .LBB2_1051
; %bb.1046:                             ;   in Loop: Header=BB2_124 Depth=2
	v_cmp_ne_u32_e32 vcc, s74, v18
	v_bfrev_b32_e32 v3, 1
	s_and_saveexec_b64 s[62:63], vcc
	s_cbranch_execz .LBB2_1050
; %bb.1047:                             ;   in Loop: Header=BB2_124 Depth=2
	v_bfe_u32 v5, v15, 24, 7
	v_cmp_ne_u32_e32 vcc, s75, v5
	v_mov_b32_e32 v3, 0x7f800001
	s_and_saveexec_b64 s[64:65], vcc
	s_cbranch_execz .LBB2_1049
; %bb.1048:                             ;   in Loop: Header=BB2_124 Depth=2
	v_and_b32_e32 v3, 7, v18
	v_ffbh_u32_e32 v26, v3
	v_min_u32_e32 v34, 32, v26
	v_subrev_u32_e32 v26, 28, v34
	v_lshlrev_b64 v[26:27], v26, v[18:19]
	v_lshrrev_b32_e32 v14, 3, v5
	v_sub_u32_e32 v27, 29, v34
	v_and_b32_e32 v26, 7, v26
	v_cmp_gt_u32_e32 vcc, 8, v5
	v_cndmask_b32_e32 v5, v14, v27, vcc
	v_cndmask_b32_e32 v3, v3, v26, vcc
	v_lshlrev_b32_e32 v14, 24, v18
	v_bfrev_b32_e32 v26, 60
	v_lshlrev_b32_e32 v3, 20, v3
	v_and_b32_e32 v14, 0x80000000, v14
	v_lshl_add_u32 v5, v5, 23, v26
	v_or3_b32 v3, v14, v5, v3
.LBB2_1049:                             ;   in Loop: Header=BB2_124 Depth=2
	s_or_b64 exec, exec, s[64:65]
.LBB2_1050:                             ;   in Loop: Header=BB2_124 Depth=2
	s_or_b64 exec, exec, s[62:63]
.LBB2_1051:                             ;   in Loop: Header=BB2_124 Depth=2
	s_or_b64 exec, exec, s[60:61]
	v_cmp_lt_u64_e32 vcc, s[48:49], v[10:11]
	s_and_saveexec_b64 s[60:61], vcc
	s_cbranch_execz .LBB2_1057
; %bb.1052:                             ;   in Loop: Header=BB2_124 Depth=2
	v_cmp_ne_u32_e32 vcc, s74, v2
	v_bfrev_b32_e32 v4, 1
	s_and_saveexec_b64 s[62:63], vcc
	s_cbranch_execz .LBB2_1056
; %bb.1053:                             ;   in Loop: Header=BB2_124 Depth=2
	v_bfe_u32 v5, v11, 24, 7
	v_cmp_ne_u32_e32 vcc, s75, v5
	v_mov_b32_e32 v4, 0x7f800001
	s_and_saveexec_b64 s[64:65], vcc
	s_cbranch_execz .LBB2_1055
; %bb.1054:                             ;   in Loop: Header=BB2_124 Depth=2
	v_and_b32_e32 v4, 7, v2
	v_ffbh_u32_e32 v26, v4
	v_min_u32_e32 v34, 32, v26
	v_subrev_u32_e32 v26, 28, v34
	v_lshlrev_b64 v[26:27], v26, v[2:3]
	v_lshrrev_b32_e32 v14, 3, v5
	v_sub_u32_e32 v27, 29, v34
	v_and_b32_e32 v26, 7, v26
	v_cmp_gt_u32_e32 vcc, 8, v5
	v_cndmask_b32_e32 v5, v14, v27, vcc
	v_cndmask_b32_e32 v4, v4, v26, vcc
	v_lshlrev_b32_e32 v14, 24, v2
	v_bfrev_b32_e32 v26, 60
	v_lshlrev_b32_e32 v4, 20, v4
	v_and_b32_e32 v14, 0x80000000, v14
	v_lshl_add_u32 v5, v5, 23, v26
	v_or3_b32 v4, v14, v5, v4
.LBB2_1055:                             ;   in Loop: Header=BB2_124 Depth=2
	s_or_b64 exec, exec, s[64:65]
.LBB2_1056:                             ;   in Loop: Header=BB2_124 Depth=2
	s_or_b64 exec, exec, s[62:63]
.LBB2_1057:                             ;   in Loop: Header=BB2_124 Depth=2
	s_or_b64 exec, exec, s[60:61]
	v_max_f32_e32 v4, v4, v4
	v_max_f32_e32 v3, v3, v3
	;; [unrolled: 1-line block ×3, first 2 shown]
	s_branch .LBB2_1072
.LBB2_1058:                             ;   in Loop: Header=BB2_124 Depth=2
                                        ; implicit-def: $vgpr3
	s_cbranch_execz .LBB2_1072
; %bb.1059:                             ;   in Loop: Header=BB2_124 Depth=2
	v_mov_b32_e32 v4, 0
	v_mov_b32_e32 v3, 0
	s_and_saveexec_b64 s[60:61], s[24:25]
	s_cbranch_execz .LBB2_1065
; %bb.1060:                             ;   in Loop: Header=BB2_124 Depth=2
	v_cmp_ne_u32_e32 vcc, s74, v18
	v_bfrev_b32_e32 v3, 1
	s_and_saveexec_b64 s[24:25], vcc
	s_cbranch_execz .LBB2_1064
; %bb.1061:                             ;   in Loop: Header=BB2_124 Depth=2
	v_bfe_u32 v5, v15, 24, 7
	v_cmp_ne_u32_e32 vcc, s75, v5
	v_mov_b32_e32 v3, 0x7f800001
	s_and_saveexec_b64 s[62:63], vcc
	s_cbranch_execz .LBB2_1063
; %bb.1062:                             ;   in Loop: Header=BB2_124 Depth=2
	v_and_b32_e32 v3, 7, v18
	v_ffbh_u32_e32 v14, v3
	v_min_u32_e32 v27, 32, v14
	v_subrev_u32_e32 v14, 28, v27
	v_lshlrev_b64 v[14:15], v14, v[18:19]
	v_lshrrev_b32_e32 v26, 3, v5
	v_sub_u32_e32 v15, 29, v27
	v_and_b32_e32 v14, 7, v14
	v_cmp_gt_u32_e32 vcc, 8, v5
	v_cndmask_b32_e32 v5, v26, v15, vcc
	v_cndmask_b32_e32 v3, v3, v14, vcc
	v_lshlrev_b32_e32 v14, 24, v18
	v_bfrev_b32_e32 v15, 60
	v_lshlrev_b32_e32 v3, 20, v3
	v_and_b32_e32 v14, 0x80000000, v14
	v_lshl_add_u32 v5, v5, 23, v15
	v_or3_b32 v3, v14, v5, v3
.LBB2_1063:                             ;   in Loop: Header=BB2_124 Depth=2
	s_or_b64 exec, exec, s[62:63]
.LBB2_1064:                             ;   in Loop: Header=BB2_124 Depth=2
	s_or_b64 exec, exec, s[24:25]
.LBB2_1065:                             ;   in Loop: Header=BB2_124 Depth=2
	s_or_b64 exec, exec, s[60:61]
	v_cmp_lt_u64_e32 vcc, s[48:49], v[10:11]
	s_and_saveexec_b64 s[24:25], vcc
	s_cbranch_execz .LBB2_1071
; %bb.1066:                             ;   in Loop: Header=BB2_124 Depth=2
	v_cmp_ne_u32_e32 vcc, s74, v2
	v_bfrev_b32_e32 v4, 1
	s_and_saveexec_b64 s[60:61], vcc
	s_cbranch_execz .LBB2_1070
; %bb.1067:                             ;   in Loop: Header=BB2_124 Depth=2
	v_bfe_u32 v5, v11, 24, 7
	v_cmp_ne_u32_e32 vcc, s75, v5
	v_mov_b32_e32 v4, 0x7f800001
	s_and_saveexec_b64 s[62:63], vcc
	s_cbranch_execz .LBB2_1069
; %bb.1068:                             ;   in Loop: Header=BB2_124 Depth=2
	v_and_b32_e32 v4, 7, v2
	v_ffbh_u32_e32 v10, v4
	v_min_u32_e32 v15, 32, v10
	v_subrev_u32_e32 v10, 28, v15
	v_lshlrev_b64 v[10:11], v10, v[2:3]
	v_lshrrev_b32_e32 v14, 3, v5
	v_sub_u32_e32 v11, 29, v15
	v_and_b32_e32 v10, 7, v10
	v_cmp_gt_u32_e32 vcc, 8, v5
	v_cndmask_b32_e32 v5, v14, v11, vcc
	v_cndmask_b32_e32 v4, v4, v10, vcc
	v_lshlrev_b32_e32 v2, 24, v2
	v_bfrev_b32_e32 v10, 60
	v_lshlrev_b32_e32 v4, 20, v4
	v_and_b32_e32 v2, 0x80000000, v2
	v_lshl_add_u32 v5, v5, 23, v10
	v_or3_b32 v4, v2, v5, v4
.LBB2_1069:                             ;   in Loop: Header=BB2_124 Depth=2
	s_or_b64 exec, exec, s[62:63]
.LBB2_1070:                             ;   in Loop: Header=BB2_124 Depth=2
	s_or_b64 exec, exec, s[60:61]
.LBB2_1071:                             ;   in Loop: Header=BB2_124 Depth=2
	s_or_b64 exec, exec, s[24:25]
	v_max_f32_e32 v2, v4, v4
	v_max_f32_e32 v3, v3, v3
	v_min_f32_e32 v3, v3, v2
.LBB2_1072:                             ;   in Loop: Header=BB2_124 Depth=2
	v_and_b32_sdwa v4, v3, s74 dst_sel:DWORD dst_unused:UNUSED_PAD src0_sel:BYTE_3 src1_sel:DWORD
	v_and_b32_e32 v10, 0x7f800000, v3
	v_mov_b32_e32 v11, v55
	v_and_b32_e32 v54, 0x7fffff, v3
	v_or_b32_e32 v15, 0x7e, v4
	v_cmp_ne_u64_e32 vcc, s[44:45], v[10:11]
	s_and_saveexec_b64 s[24:25], vcc
	s_xor_b64 s[60:61], exec, s[24:25]
	s_cbranch_execnz .LBB2_1088
; %bb.1073:                             ;   in Loop: Header=BB2_124 Depth=2
	s_andn2_saveexec_b64 s[24:25], s[60:61]
	s_cbranch_execnz .LBB2_1097
.LBB2_1074:                             ;   in Loop: Header=BB2_124 Depth=2
	s_or_b64 exec, exec, s[24:25]
	s_and_b64 vcc, exec, s[22:23]
	v_cmp_ne_u16_sdwa s[24:25], v16, v55 src0_sel:BYTE_0 src1_sel:DWORD
	s_cbranch_vccnz .LBB2_1098
.LBB2_1075:                             ;   in Loop: Header=BB2_124 Depth=2
	v_mov_b32_e32 v3, 0
	v_mov_b32_e32 v2, 0
	s_and_saveexec_b64 s[60:61], s[24:25]
	s_cbranch_execz .LBB2_1081
; %bb.1076:                             ;   in Loop: Header=BB2_124 Depth=2
	v_cmp_ne_u16_sdwa vcc, v16, s74 src0_sel:BYTE_0 src1_sel:DWORD
	v_bfrev_b32_e32 v2, 1
	s_and_saveexec_b64 s[62:63], vcc
	s_cbranch_execz .LBB2_1080
; %bb.1077:                             ;   in Loop: Header=BB2_124 Depth=2
	v_and_b32_e32 v4, 0x7f, v16
	v_cmp_ne_u32_e32 vcc, s75, v4
	v_mov_b32_e32 v2, 0x7f800001
	s_and_saveexec_b64 s[64:65], vcc
	s_cbranch_execz .LBB2_1079
; %bb.1078:                             ;   in Loop: Header=BB2_124 Depth=2
	v_and_b32_e32 v2, 7, v16
	v_ffbh_u32_e32 v2, v2
	v_min_u32_e32 v2, 32, v2
	v_subrev_u32_e32 v10, 28, v2
	v_cmp_gt_u32_e32 vcc, 8, v4
	v_lshrrev_b32_e32 v5, 3, v4
	v_sub_u32_e32 v2, 29, v2
	v_cndmask_b32_e32 v4, 0, v10, vcc
	v_cndmask_b32_e32 v2, v5, v2, vcc
	v_lshlrev_b64 v[4:5], v4, v[16:17]
	v_lshlrev_b32_e32 v4, 20, v4
	v_lshlrev_b32_e32 v5, 24, v16
	v_bfrev_b32_e32 v10, 60
	v_and_b32_e32 v4, 0x700000, v4
	v_and_b32_e32 v5, 0x80000000, v5
	v_lshl_add_u32 v2, v2, 23, v10
	v_or3_b32 v2, v5, v2, v4
.LBB2_1079:                             ;   in Loop: Header=BB2_124 Depth=2
	s_or_b64 exec, exec, s[64:65]
.LBB2_1080:                             ;   in Loop: Header=BB2_124 Depth=2
	s_or_b64 exec, exec, s[62:63]
.LBB2_1081:                             ;   in Loop: Header=BB2_124 Depth=2
	s_or_b64 exec, exec, s[60:61]
	v_cmp_ne_u16_sdwa vcc, v12, v55 src0_sel:BYTE_0 src1_sel:DWORD
	s_and_saveexec_b64 s[60:61], vcc
	s_cbranch_execz .LBB2_1087
; %bb.1082:                             ;   in Loop: Header=BB2_124 Depth=2
	v_cmp_ne_u16_sdwa vcc, v12, s74 src0_sel:BYTE_0 src1_sel:DWORD
	v_bfrev_b32_e32 v3, 1
	s_and_saveexec_b64 s[62:63], vcc
	s_cbranch_execz .LBB2_1086
; %bb.1083:                             ;   in Loop: Header=BB2_124 Depth=2
	v_and_b32_e32 v4, 0x7f, v12
	v_cmp_ne_u32_e32 vcc, s75, v4
	v_mov_b32_e32 v3, 0x7f800001
	s_and_saveexec_b64 s[64:65], vcc
	s_cbranch_execz .LBB2_1085
; %bb.1084:                             ;   in Loop: Header=BB2_124 Depth=2
	v_and_b32_e32 v3, 7, v12
	v_ffbh_u32_e32 v3, v3
	v_min_u32_e32 v3, 32, v3
	v_subrev_u32_e32 v10, 28, v3
	v_cmp_gt_u32_e32 vcc, 8, v4
	v_lshrrev_b32_e32 v5, 3, v4
	v_sub_u32_e32 v3, 29, v3
	v_cndmask_b32_e32 v4, 0, v10, vcc
	v_cndmask_b32_e32 v3, v5, v3, vcc
	v_lshlrev_b64 v[4:5], v4, v[12:13]
	v_lshlrev_b32_e32 v4, 20, v4
	v_lshlrev_b32_e32 v5, 24, v12
	v_bfrev_b32_e32 v10, 60
	v_and_b32_e32 v4, 0x700000, v4
	v_and_b32_e32 v5, 0x80000000, v5
	v_lshl_add_u32 v3, v3, 23, v10
	v_or3_b32 v3, v5, v3, v4
.LBB2_1085:                             ;   in Loop: Header=BB2_124 Depth=2
	s_or_b64 exec, exec, s[64:65]
.LBB2_1086:                             ;   in Loop: Header=BB2_124 Depth=2
	s_or_b64 exec, exec, s[62:63]
.LBB2_1087:                             ;   in Loop: Header=BB2_124 Depth=2
	s_or_b64 exec, exec, s[60:61]
	v_max_f32_e32 v3, v3, v3
	v_max_f32_e32 v2, v2, v2
	;; [unrolled: 1-line block ×3, first 2 shown]
	s_branch .LBB2_1112
.LBB2_1088:                             ;   in Loop: Header=BB2_124 Depth=2
	v_and_b32_e32 v10, 0x7fffffff, v3
	v_mov_b32_e32 v11, v55
	v_cmp_gt_u64_e32 vcc, s[46:47], v[10:11]
	s_and_saveexec_b64 s[62:63], vcc
	s_cbranch_execz .LBB2_1096
; %bb.1089:                             ;   in Loop: Header=BB2_124 Depth=2
	v_cmp_ne_u32_e32 vcc, 0, v3
	v_mov_b32_e32 v15, 0
	s_and_saveexec_b64 s[64:65], vcc
	s_cbranch_execz .LBB2_1095
; %bb.1090:                             ;   in Loop: Header=BB2_124 Depth=2
	v_bfe_u32 v2, v3, 23, 8
	v_sub_u32_e32 v5, 0x79, v2
	v_cmp_gt_u32_e32 vcc, s77, v2
	v_add_u32_e32 v3, 0xffffff81, v2
	v_cndmask_b32_e32 v5, 0, v5, vcc
	v_cmp_eq_u32_e32 vcc, 0, v2
	v_mov_b32_e32 v2, 0xffffff82
	v_cndmask_b32_e32 v11, v3, v2, vcc
	v_mov_b32_e32 v2, 0x78
	v_or_b32_e32 v10, 0x800000, v54
	v_cndmask_b32_e32 v5, v5, v2, vcc
	v_cndmask_b32_e32 v54, v10, v54, vcc
	v_add_u32_e32 v2, 20, v5
	v_lshlrev_b64 v[2:3], v2, -1
	v_add_u32_e32 v10, 19, v5
	v_lshrrev_b64 v[26:27], v5, v[54:55]
	v_not_b32_e32 v3, v3
	v_not_b32_e32 v2, v2
	v_lshlrev_b64 v[14:15], v10, 1
	v_lshrrev_b32_e32 v10, 23, v26
	v_and_b32_e32 v3, 0, v3
	v_and_b32_e32 v2, v54, v2
	v_add3_u32 v11, v5, v11, v10
	v_bfe_u32 v5, v26, 20, 1
	v_add_u32_e32 v5, -1, v5
	v_cmp_eq_u64_e32 vcc, v[2:3], v[14:15]
	v_cndmask_b32_e32 v2, 0, v5, vcc
	v_add_u32_e32 v2, v2, v26
	v_and_b32_e32 v2, 0xfffff, v2
	v_add_co_u32_e32 v2, vcc, v2, v26
	v_add_u32_e32 v10, 6, v11
	v_addc_co_u32_e32 v3, vcc, 0, v27, vcc
	v_cmp_ne_u32_e32 vcc, 0, v10
                                        ; implicit-def: $vgpr5
	s_and_saveexec_b64 s[24:25], vcc
	s_xor_b64 s[24:25], exec, s[24:25]
; %bb.1091:                             ;   in Loop: Header=BB2_124 Depth=2
	v_add_u32_e32 v5, 7, v11
	v_cmp_lt_u64_e32 vcc, s[50:51], v[2:3]
	v_cndmask_b32_e32 v5, v10, v5, vcc
	v_cndmask_b32_e64 v10, 0, 1, vcc
	v_lshrrev_b64 v[2:3], v10, v[2:3]
; %bb.1092:                             ;   in Loop: Header=BB2_124 Depth=2
	s_andn2_saveexec_b64 s[24:25], s[24:25]
; %bb.1093:                             ;   in Loop: Header=BB2_124 Depth=2
	v_bfe_u32 v5, v2, 23, 1
; %bb.1094:                             ;   in Loop: Header=BB2_124 Depth=2
	s_or_b64 exec, exec, s[24:25]
	v_lshrrev_b64 v[2:3], 20, v[2:3]
	v_cmp_gt_i32_e32 vcc, 16, v5
	v_cndmask_b32_e32 v3, 0, v3, vcc
	v_cndmask_b32_e32 v2, 7, v2, vcc
	v_cmp_eq_u64_e64 s[24:25], 0, v[2:3]
	v_min_i32_e32 v3, 15, v5
	v_lshlrev_b32_e32 v3, 3, v3
	v_cmp_eq_u32_e32 vcc, 0, v5
	v_and_b32_e32 v3, 0xf8, v3
	v_and_or_b32 v2, v2, 7, v3
	s_and_b64 s[24:25], vcc, s[24:25]
	v_cndmask_b32_e64 v2, v2, 0, s[24:25]
	v_or_b32_e32 v15, v2, v4
.LBB2_1095:                             ;   in Loop: Header=BB2_124 Depth=2
	s_or_b64 exec, exec, s[64:65]
.LBB2_1096:                             ;   in Loop: Header=BB2_124 Depth=2
	s_or_b64 exec, exec, s[62:63]
                                        ; implicit-def: $vgpr3
	s_andn2_saveexec_b64 s[24:25], s[60:61]
	s_cbranch_execz .LBB2_1074
.LBB2_1097:                             ;   in Loop: Header=BB2_124 Depth=2
	v_or_b32_sdwa v2, v3, s75 dst_sel:DWORD dst_unused:UNUSED_PAD src0_sel:BYTE_3 src1_sel:DWORD
	v_cmp_eq_u64_e32 vcc, 0, v[54:55]
	v_cndmask_b32_e32 v15, v2, v15, vcc
	s_or_b64 exec, exec, s[24:25]
	s_and_b64 vcc, exec, s[22:23]
	v_cmp_ne_u16_sdwa s[24:25], v16, v55 src0_sel:BYTE_0 src1_sel:DWORD
	s_cbranch_vccz .LBB2_1075
.LBB2_1098:                             ;   in Loop: Header=BB2_124 Depth=2
                                        ; implicit-def: $vgpr2
	s_cbranch_execz .LBB2_1112
; %bb.1099:                             ;   in Loop: Header=BB2_124 Depth=2
	v_mov_b32_e32 v3, 0
	v_mov_b32_e32 v2, 0
	s_and_saveexec_b64 s[60:61], s[24:25]
	s_cbranch_execz .LBB2_1105
; %bb.1100:                             ;   in Loop: Header=BB2_124 Depth=2
	v_cmp_ne_u16_sdwa vcc, v16, s74 src0_sel:BYTE_0 src1_sel:DWORD
	v_bfrev_b32_e32 v2, 1
	s_and_saveexec_b64 s[24:25], vcc
	s_cbranch_execz .LBB2_1104
; %bb.1101:                             ;   in Loop: Header=BB2_124 Depth=2
	v_and_b32_e32 v4, 0x7f, v16
	v_cmp_ne_u32_e32 vcc, s75, v4
	v_mov_b32_e32 v2, 0x7f800001
	s_and_saveexec_b64 s[62:63], vcc
	s_cbranch_execz .LBB2_1103
; %bb.1102:                             ;   in Loop: Header=BB2_124 Depth=2
	v_and_b32_e32 v2, 7, v16
	v_ffbh_u32_e32 v2, v2
	v_min_u32_e32 v2, 32, v2
	v_subrev_u32_e32 v10, 28, v2
	v_cmp_gt_u32_e32 vcc, 8, v4
	v_lshrrev_b32_e32 v5, 3, v4
	v_sub_u32_e32 v2, 29, v2
	v_cndmask_b32_e32 v4, 0, v10, vcc
	v_cndmask_b32_e32 v2, v5, v2, vcc
	v_lshlrev_b64 v[4:5], v4, v[16:17]
	v_lshlrev_b32_e32 v4, 20, v4
	v_lshlrev_b32_e32 v5, 24, v16
	v_bfrev_b32_e32 v10, 60
	v_and_b32_e32 v4, 0x700000, v4
	v_and_b32_e32 v5, 0x80000000, v5
	v_lshl_add_u32 v2, v2, 23, v10
	v_or3_b32 v2, v5, v2, v4
.LBB2_1103:                             ;   in Loop: Header=BB2_124 Depth=2
	s_or_b64 exec, exec, s[62:63]
.LBB2_1104:                             ;   in Loop: Header=BB2_124 Depth=2
	s_or_b64 exec, exec, s[24:25]
.LBB2_1105:                             ;   in Loop: Header=BB2_124 Depth=2
	s_or_b64 exec, exec, s[60:61]
	v_cmp_ne_u16_sdwa vcc, v12, v55 src0_sel:BYTE_0 src1_sel:DWORD
	s_and_saveexec_b64 s[24:25], vcc
	s_cbranch_execz .LBB2_1111
; %bb.1106:                             ;   in Loop: Header=BB2_124 Depth=2
	v_cmp_ne_u16_sdwa vcc, v12, s74 src0_sel:BYTE_0 src1_sel:DWORD
	v_bfrev_b32_e32 v3, 1
	s_and_saveexec_b64 s[60:61], vcc
	s_cbranch_execz .LBB2_1110
; %bb.1107:                             ;   in Loop: Header=BB2_124 Depth=2
	v_and_b32_e32 v4, 0x7f, v12
	v_cmp_ne_u32_e32 vcc, s75, v4
	v_mov_b32_e32 v3, 0x7f800001
	s_and_saveexec_b64 s[62:63], vcc
	s_cbranch_execz .LBB2_1109
; %bb.1108:                             ;   in Loop: Header=BB2_124 Depth=2
	v_and_b32_e32 v3, 7, v12
	v_ffbh_u32_e32 v3, v3
	v_min_u32_e32 v3, 32, v3
	v_subrev_u32_e32 v10, 28, v3
	v_cmp_gt_u32_e32 vcc, 8, v4
	v_lshrrev_b32_e32 v5, 3, v4
	v_sub_u32_e32 v3, 29, v3
	v_cndmask_b32_e32 v4, 0, v10, vcc
	v_cndmask_b32_e32 v3, v5, v3, vcc
	v_lshlrev_b64 v[4:5], v4, v[12:13]
	v_lshlrev_b32_e32 v4, 20, v4
	v_lshlrev_b32_e32 v5, 24, v12
	v_bfrev_b32_e32 v10, 60
	v_and_b32_e32 v4, 0x700000, v4
	v_and_b32_e32 v5, 0x80000000, v5
	v_lshl_add_u32 v3, v3, 23, v10
	v_or3_b32 v3, v5, v3, v4
.LBB2_1109:                             ;   in Loop: Header=BB2_124 Depth=2
	s_or_b64 exec, exec, s[62:63]
.LBB2_1110:                             ;   in Loop: Header=BB2_124 Depth=2
	s_or_b64 exec, exec, s[60:61]
.LBB2_1111:                             ;   in Loop: Header=BB2_124 Depth=2
	s_or_b64 exec, exec, s[24:25]
	v_max_f32_e32 v3, v3, v3
	v_max_f32_e32 v2, v2, v2
	v_min_f32_e32 v2, v2, v3
.LBB2_1112:                             ;   in Loop: Header=BB2_124 Depth=2
	v_and_b32_sdwa v4, v2, s74 dst_sel:DWORD dst_unused:UNUSED_PAD src0_sel:BYTE_3 src1_sel:DWORD
	v_and_b32_e32 v10, 0x7f800000, v2
	v_mov_b32_e32 v11, v55
	v_and_b32_e32 v54, 0x7fffff, v2
	v_or_b32_e32 v18, 0x7e, v4
	v_cmp_ne_u64_e32 vcc, s[44:45], v[10:11]
	s_and_saveexec_b64 s[24:25], vcc
	s_xor_b64 s[60:61], exec, s[24:25]
	s_cbranch_execz .LBB2_1122
; %bb.1113:                             ;   in Loop: Header=BB2_124 Depth=2
	v_and_b32_e32 v10, 0x7fffffff, v2
	v_mov_b32_e32 v11, v55
	v_cmp_gt_u64_e32 vcc, s[46:47], v[10:11]
	s_and_saveexec_b64 s[62:63], vcc
	s_cbranch_execz .LBB2_1121
; %bb.1114:                             ;   in Loop: Header=BB2_124 Depth=2
	v_cmp_ne_u32_e32 vcc, 0, v2
	v_mov_b32_e32 v18, 0
	s_and_saveexec_b64 s[64:65], vcc
	s_cbranch_execz .LBB2_1120
; %bb.1115:                             ;   in Loop: Header=BB2_124 Depth=2
	v_bfe_u32 v2, v2, 23, 8
	v_sub_u32_e32 v5, 0x79, v2
	v_cmp_gt_u32_e32 vcc, s77, v2
	v_add_u32_e32 v3, 0xffffff81, v2
	v_cndmask_b32_e32 v5, 0, v5, vcc
	v_cmp_eq_u32_e32 vcc, 0, v2
	v_mov_b32_e32 v2, 0xffffff82
	v_cndmask_b32_e32 v11, v3, v2, vcc
	v_mov_b32_e32 v2, 0x78
	v_or_b32_e32 v10, 0x800000, v54
	v_cndmask_b32_e32 v5, v5, v2, vcc
	v_cndmask_b32_e32 v54, v10, v54, vcc
	v_add_u32_e32 v2, 20, v5
	v_lshlrev_b64 v[2:3], v2, -1
	v_add_u32_e32 v10, 19, v5
	v_lshrrev_b64 v[38:39], v5, v[54:55]
	v_not_b32_e32 v3, v3
	v_not_b32_e32 v2, v2
	v_lshlrev_b64 v[26:27], v10, 1
	v_lshrrev_b32_e32 v10, 23, v38
	v_and_b32_e32 v3, 0, v3
	v_and_b32_e32 v2, v54, v2
	v_add3_u32 v11, v5, v11, v10
	v_bfe_u32 v5, v38, 20, 1
	v_add_u32_e32 v5, -1, v5
	v_cmp_eq_u64_e32 vcc, v[2:3], v[26:27]
	v_cndmask_b32_e32 v2, 0, v5, vcc
	v_add_u32_e32 v2, v2, v38
	v_and_b32_e32 v2, 0xfffff, v2
	v_add_co_u32_e32 v2, vcc, v2, v38
	v_add_u32_e32 v10, 6, v11
	v_addc_co_u32_e32 v3, vcc, 0, v39, vcc
	v_cmp_ne_u32_e32 vcc, 0, v10
                                        ; implicit-def: $vgpr5
	s_and_saveexec_b64 s[24:25], vcc
	s_xor_b64 s[24:25], exec, s[24:25]
; %bb.1116:                             ;   in Loop: Header=BB2_124 Depth=2
	v_add_u32_e32 v5, 7, v11
	v_cmp_lt_u64_e32 vcc, s[50:51], v[2:3]
	v_cndmask_b32_e32 v5, v10, v5, vcc
	v_cndmask_b32_e64 v10, 0, 1, vcc
	v_lshrrev_b64 v[2:3], v10, v[2:3]
; %bb.1117:                             ;   in Loop: Header=BB2_124 Depth=2
	s_andn2_saveexec_b64 s[24:25], s[24:25]
; %bb.1118:                             ;   in Loop: Header=BB2_124 Depth=2
	v_bfe_u32 v5, v2, 23, 1
; %bb.1119:                             ;   in Loop: Header=BB2_124 Depth=2
	s_or_b64 exec, exec, s[24:25]
	v_lshrrev_b64 v[2:3], 20, v[2:3]
	v_cmp_gt_i32_e32 vcc, 16, v5
	v_cndmask_b32_e32 v3, 0, v3, vcc
	v_cndmask_b32_e32 v2, 7, v2, vcc
	v_cmp_eq_u64_e64 s[24:25], 0, v[2:3]
	v_min_i32_e32 v3, 15, v5
	v_cmp_eq_u32_e32 vcc, 0, v5
	v_lshlrev_b32_e32 v3, 3, v3
	v_and_or_b32 v2, v2, 7, v3
	s_and_b64 s[24:25], vcc, s[24:25]
	v_cndmask_b32_e64 v2, v2, 0, s[24:25]
	v_or_b32_e32 v18, v2, v4
.LBB2_1120:                             ;   in Loop: Header=BB2_124 Depth=2
	s_or_b64 exec, exec, s[64:65]
.LBB2_1121:                             ;   in Loop: Header=BB2_124 Depth=2
	s_or_b64 exec, exec, s[62:63]
                                        ; implicit-def: $vgpr2
.LBB2_1122:                             ;   in Loop: Header=BB2_124 Depth=2
	s_andn2_saveexec_b64 s[24:25], s[60:61]
; %bb.1123:                             ;   in Loop: Header=BB2_124 Depth=2
	v_or_b32_sdwa v2, v2, s75 dst_sel:DWORD dst_unused:UNUSED_PAD src0_sel:BYTE_3 src1_sel:DWORD
	v_cmp_eq_u64_e32 vcc, 0, v[54:55]
	v_cndmask_b32_e32 v18, v2, v18, vcc
; %bb.1124:                             ;   in Loop: Header=BB2_124 Depth=2
	s_or_b64 exec, exec, s[24:25]
	v_lshrrev_b16_e32 v10, 8, v16
	v_lshrrev_b16_e32 v2, 8, v12
	s_and_b64 vcc, exec, s[22:23]
	v_cmp_ne_u16_e64 s[24:25], 0, v10
	s_cbranch_vccnz .LBB2_1138
; %bb.1125:                             ;   in Loop: Header=BB2_124 Depth=2
	v_mov_b32_e32 v4, 0
	v_mov_b32_e32 v3, 0
	s_and_saveexec_b64 s[60:61], s[24:25]
	s_cbranch_execz .LBB2_1131
; %bb.1126:                             ;   in Loop: Header=BB2_124 Depth=2
	v_cmp_ne_u16_e32 vcc, s74, v10
	v_bfrev_b32_e32 v3, 1
	s_and_saveexec_b64 s[62:63], vcc
	s_cbranch_execz .LBB2_1130
; %bb.1127:                             ;   in Loop: Header=BB2_124 Depth=2
	v_and_b32_e32 v5, 0x7f, v10
	v_cmp_ne_u32_e32 vcc, s75, v5
	v_mov_b32_e32 v3, 0x7f800001
	s_and_saveexec_b64 s[64:65], vcc
	s_cbranch_execz .LBB2_1129
; %bb.1128:                             ;   in Loop: Header=BB2_124 Depth=2
	v_and_b32_e32 v3, 7, v10
	v_ffbh_u32_e32 v14, v3
	v_min_u32_e32 v14, 32, v14
	v_lshrrev_b32_e32 v11, 3, v5
	v_subrev_u32_e32 v26, 28, v14
	v_lshlrev_b64 v[26:27], v26, v[10:11]
	v_sub_u32_e32 v14, 29, v14
	v_and_b32_e32 v26, 7, v26
	v_cmp_gt_u32_e32 vcc, 8, v5
	v_cndmask_b32_e32 v5, v11, v14, vcc
	v_cndmask_b32_e32 v3, v3, v26, vcc
	v_lshlrev_b32_e32 v11, 16, v16
	v_bfrev_b32_e32 v14, 60
	v_lshlrev_b32_e32 v3, 20, v3
	v_and_b32_e32 v11, 0x80000000, v11
	v_lshl_add_u32 v5, v5, 23, v14
	v_or3_b32 v3, v11, v5, v3
.LBB2_1129:                             ;   in Loop: Header=BB2_124 Depth=2
	s_or_b64 exec, exec, s[64:65]
.LBB2_1130:                             ;   in Loop: Header=BB2_124 Depth=2
	s_or_b64 exec, exec, s[62:63]
.LBB2_1131:                             ;   in Loop: Header=BB2_124 Depth=2
	s_or_b64 exec, exec, s[60:61]
	v_cmp_ne_u16_e32 vcc, 0, v2
	s_and_saveexec_b64 s[60:61], vcc
	s_cbranch_execz .LBB2_1137
; %bb.1132:                             ;   in Loop: Header=BB2_124 Depth=2
	v_cmp_ne_u16_e32 vcc, s74, v2
	v_bfrev_b32_e32 v4, 1
	s_and_saveexec_b64 s[62:63], vcc
	s_cbranch_execz .LBB2_1136
; %bb.1133:                             ;   in Loop: Header=BB2_124 Depth=2
	v_and_b32_e32 v5, 0x7f, v2
	v_cmp_ne_u32_e32 vcc, s75, v5
	v_mov_b32_e32 v4, 0x7f800001
	s_and_saveexec_b64 s[64:65], vcc
	s_cbranch_execz .LBB2_1135
; %bb.1134:                             ;   in Loop: Header=BB2_124 Depth=2
	v_and_b32_e32 v4, 7, v2
	v_ffbh_u32_e32 v14, v4
	v_min_u32_e32 v14, 32, v14
	v_subrev_u32_e32 v26, 28, v14
	v_lshlrev_b64 v[26:27], v26, v[2:3]
	v_lshrrev_b32_e32 v11, 3, v5
	v_sub_u32_e32 v14, 29, v14
	v_and_b32_e32 v26, 7, v26
	v_cmp_gt_u32_e32 vcc, 8, v5
	v_cndmask_b32_e32 v5, v11, v14, vcc
	v_cndmask_b32_e32 v4, v4, v26, vcc
	v_lshlrev_b32_e32 v11, 16, v12
	v_bfrev_b32_e32 v14, 60
	v_lshlrev_b32_e32 v4, 20, v4
	v_and_b32_e32 v11, 0x80000000, v11
	v_lshl_add_u32 v5, v5, 23, v14
	v_or3_b32 v4, v11, v5, v4
.LBB2_1135:                             ;   in Loop: Header=BB2_124 Depth=2
	s_or_b64 exec, exec, s[64:65]
.LBB2_1136:                             ;   in Loop: Header=BB2_124 Depth=2
	s_or_b64 exec, exec, s[62:63]
.LBB2_1137:                             ;   in Loop: Header=BB2_124 Depth=2
	s_or_b64 exec, exec, s[60:61]
	v_max_f32_e32 v4, v4, v4
	v_max_f32_e32 v3, v3, v3
	;; [unrolled: 1-line block ×3, first 2 shown]
	s_branch .LBB2_1152
.LBB2_1138:                             ;   in Loop: Header=BB2_124 Depth=2
                                        ; implicit-def: $vgpr3
	s_cbranch_execz .LBB2_1152
; %bb.1139:                             ;   in Loop: Header=BB2_124 Depth=2
	v_mov_b32_e32 v4, 0
	v_mov_b32_e32 v3, 0
	s_and_saveexec_b64 s[60:61], s[24:25]
	s_cbranch_execz .LBB2_1145
; %bb.1140:                             ;   in Loop: Header=BB2_124 Depth=2
	v_cmp_ne_u16_e32 vcc, s74, v10
	v_bfrev_b32_e32 v3, 1
	s_and_saveexec_b64 s[24:25], vcc
	s_cbranch_execz .LBB2_1144
; %bb.1141:                             ;   in Loop: Header=BB2_124 Depth=2
	v_and_b32_e32 v5, 0x7f, v10
	v_cmp_ne_u32_e32 vcc, s75, v5
	v_mov_b32_e32 v3, 0x7f800001
	s_and_saveexec_b64 s[62:63], vcc
	s_cbranch_execz .LBB2_1143
; %bb.1142:                             ;   in Loop: Header=BB2_124 Depth=2
	v_and_b32_e32 v3, 7, v10
	v_ffbh_u32_e32 v11, v3
	v_min_u32_e32 v26, 32, v11
	v_subrev_u32_e32 v11, 28, v26
	v_lshlrev_b64 v[10:11], v11, v[10:11]
	v_lshrrev_b32_e32 v14, 3, v5
	v_sub_u32_e32 v11, 29, v26
	v_and_b32_e32 v10, 7, v10
	v_cmp_gt_u32_e32 vcc, 8, v5
	v_cndmask_b32_e32 v5, v14, v11, vcc
	v_cndmask_b32_e32 v3, v3, v10, vcc
	v_lshlrev_b32_e32 v10, 16, v16
	v_bfrev_b32_e32 v11, 60
	v_lshlrev_b32_e32 v3, 20, v3
	v_and_b32_e32 v10, 0x80000000, v10
	v_lshl_add_u32 v5, v5, 23, v11
	v_or3_b32 v3, v10, v5, v3
.LBB2_1143:                             ;   in Loop: Header=BB2_124 Depth=2
	s_or_b64 exec, exec, s[62:63]
.LBB2_1144:                             ;   in Loop: Header=BB2_124 Depth=2
	s_or_b64 exec, exec, s[24:25]
.LBB2_1145:                             ;   in Loop: Header=BB2_124 Depth=2
	s_or_b64 exec, exec, s[60:61]
	v_cmp_ne_u16_e32 vcc, 0, v2
	s_and_saveexec_b64 s[24:25], vcc
	s_cbranch_execz .LBB2_1151
; %bb.1146:                             ;   in Loop: Header=BB2_124 Depth=2
	v_cmp_ne_u16_e32 vcc, s74, v2
	v_bfrev_b32_e32 v4, 1
	s_and_saveexec_b64 s[60:61], vcc
	s_cbranch_execz .LBB2_1150
; %bb.1147:                             ;   in Loop: Header=BB2_124 Depth=2
	v_and_b32_e32 v5, 0x7f, v2
	v_cmp_ne_u32_e32 vcc, s75, v5
	v_mov_b32_e32 v4, 0x7f800001
	s_and_saveexec_b64 s[62:63], vcc
	s_cbranch_execz .LBB2_1149
; %bb.1148:                             ;   in Loop: Header=BB2_124 Depth=2
	v_and_b32_e32 v4, 7, v2
	v_ffbh_u32_e32 v10, v4
	v_min_u32_e32 v26, 32, v10
	v_subrev_u32_e32 v10, 28, v26
	v_lshlrev_b64 v[10:11], v10, v[2:3]
	v_lshrrev_b32_e32 v14, 3, v5
	v_sub_u32_e32 v2, 29, v26
	v_and_b32_e32 v10, 7, v10
	v_cmp_gt_u32_e32 vcc, 8, v5
	v_cndmask_b32_e32 v2, v14, v2, vcc
	v_cndmask_b32_e32 v4, v4, v10, vcc
	v_lshlrev_b32_e32 v5, 16, v12
	v_bfrev_b32_e32 v10, 60
	v_lshlrev_b32_e32 v4, 20, v4
	v_and_b32_e32 v5, 0x80000000, v5
	v_lshl_add_u32 v2, v2, 23, v10
	v_or3_b32 v4, v5, v2, v4
.LBB2_1149:                             ;   in Loop: Header=BB2_124 Depth=2
	s_or_b64 exec, exec, s[62:63]
.LBB2_1150:                             ;   in Loop: Header=BB2_124 Depth=2
	s_or_b64 exec, exec, s[60:61]
.LBB2_1151:                             ;   in Loop: Header=BB2_124 Depth=2
	s_or_b64 exec, exec, s[24:25]
	v_max_f32_e32 v2, v4, v4
	v_max_f32_e32 v3, v3, v3
	v_min_f32_e32 v3, v3, v2
.LBB2_1152:                             ;   in Loop: Header=BB2_124 Depth=2
	v_and_b32_sdwa v4, v3, s74 dst_sel:DWORD dst_unused:UNUSED_PAD src0_sel:BYTE_3 src1_sel:DWORD
	v_and_b32_e32 v10, 0x7f800000, v3
	v_mov_b32_e32 v11, v55
	v_and_b32_e32 v54, 0x7fffff, v3
	v_or_b32_e32 v26, 0x7e, v4
	v_cmp_ne_u64_e32 vcc, s[44:45], v[10:11]
	s_and_saveexec_b64 s[24:25], vcc
	s_xor_b64 s[60:61], exec, s[24:25]
	s_cbranch_execz .LBB2_1162
; %bb.1153:                             ;   in Loop: Header=BB2_124 Depth=2
	v_and_b32_e32 v10, 0x7fffffff, v3
	v_mov_b32_e32 v11, v55
	v_cmp_gt_u64_e32 vcc, s[46:47], v[10:11]
	s_and_saveexec_b64 s[62:63], vcc
	s_cbranch_execz .LBB2_1161
; %bb.1154:                             ;   in Loop: Header=BB2_124 Depth=2
	v_cmp_ne_u32_e32 vcc, 0, v3
	v_mov_b32_e32 v26, 0
	s_and_saveexec_b64 s[64:65], vcc
	s_cbranch_execz .LBB2_1160
; %bb.1155:                             ;   in Loop: Header=BB2_124 Depth=2
	v_bfe_u32 v2, v3, 23, 8
	v_sub_u32_e32 v5, 0x79, v2
	v_cmp_gt_u32_e32 vcc, s77, v2
	v_add_u32_e32 v3, 0xffffff81, v2
	v_cndmask_b32_e32 v5, 0, v5, vcc
	v_cmp_eq_u32_e32 vcc, 0, v2
	v_mov_b32_e32 v2, 0xffffff82
	v_cndmask_b32_e32 v11, v3, v2, vcc
	v_mov_b32_e32 v2, 0x78
	v_or_b32_e32 v10, 0x800000, v54
	v_cndmask_b32_e32 v5, v5, v2, vcc
	v_cndmask_b32_e32 v54, v10, v54, vcc
	v_add_u32_e32 v2, 20, v5
	v_lshlrev_b64 v[2:3], v2, -1
	v_add_u32_e32 v10, 19, v5
	v_lshrrev_b64 v[38:39], v5, v[54:55]
	v_not_b32_e32 v3, v3
	v_not_b32_e32 v2, v2
	v_lshlrev_b64 v[26:27], v10, 1
	v_lshrrev_b32_e32 v10, 23, v38
	v_and_b32_e32 v3, 0, v3
	v_and_b32_e32 v2, v54, v2
	v_add3_u32 v11, v5, v11, v10
	v_bfe_u32 v5, v38, 20, 1
	v_add_u32_e32 v5, -1, v5
	v_cmp_eq_u64_e32 vcc, v[2:3], v[26:27]
	v_cndmask_b32_e32 v2, 0, v5, vcc
	v_add_u32_e32 v2, v2, v38
	v_and_b32_e32 v2, 0xfffff, v2
	v_add_co_u32_e32 v2, vcc, v2, v38
	v_add_u32_e32 v10, 6, v11
	v_addc_co_u32_e32 v3, vcc, 0, v39, vcc
	v_cmp_ne_u32_e32 vcc, 0, v10
                                        ; implicit-def: $vgpr5
	s_and_saveexec_b64 s[24:25], vcc
	s_xor_b64 s[24:25], exec, s[24:25]
; %bb.1156:                             ;   in Loop: Header=BB2_124 Depth=2
	v_add_u32_e32 v5, 7, v11
	v_cmp_lt_u64_e32 vcc, s[50:51], v[2:3]
	v_cndmask_b32_e32 v5, v10, v5, vcc
	v_cndmask_b32_e64 v10, 0, 1, vcc
	v_lshrrev_b64 v[2:3], v10, v[2:3]
; %bb.1157:                             ;   in Loop: Header=BB2_124 Depth=2
	s_andn2_saveexec_b64 s[24:25], s[24:25]
; %bb.1158:                             ;   in Loop: Header=BB2_124 Depth=2
	v_bfe_u32 v5, v2, 23, 1
; %bb.1159:                             ;   in Loop: Header=BB2_124 Depth=2
	s_or_b64 exec, exec, s[24:25]
	v_lshrrev_b64 v[2:3], 20, v[2:3]
	v_cmp_gt_i32_e32 vcc, 16, v5
	v_cndmask_b32_e32 v3, 0, v3, vcc
	v_cndmask_b32_e32 v2, 7, v2, vcc
	v_cmp_eq_u64_e64 s[24:25], 0, v[2:3]
	v_min_i32_e32 v3, 15, v5
	v_cmp_eq_u32_e32 vcc, 0, v5
	v_lshlrev_b32_e32 v3, 3, v3
	v_and_or_b32 v2, v2, 7, v3
	s_and_b64 s[24:25], vcc, s[24:25]
	v_cndmask_b32_e64 v2, v2, 0, s[24:25]
	v_or_b32_e32 v26, v2, v4
.LBB2_1160:                             ;   in Loop: Header=BB2_124 Depth=2
	s_or_b64 exec, exec, s[64:65]
.LBB2_1161:                             ;   in Loop: Header=BB2_124 Depth=2
	s_or_b64 exec, exec, s[62:63]
                                        ; implicit-def: $vgpr3
.LBB2_1162:                             ;   in Loop: Header=BB2_124 Depth=2
	s_andn2_saveexec_b64 s[24:25], s[60:61]
; %bb.1163:                             ;   in Loop: Header=BB2_124 Depth=2
	v_or_b32_sdwa v2, v3, s75 dst_sel:DWORD dst_unused:UNUSED_PAD src0_sel:BYTE_3 src1_sel:DWORD
	v_cmp_eq_u64_e32 vcc, 0, v[54:55]
	v_cndmask_b32_e32 v26, v2, v26, vcc
; %bb.1164:                             ;   in Loop: Header=BB2_124 Depth=2
	s_or_b64 exec, exec, s[24:25]
	v_lshrrev_b32_e32 v10, 16, v16
	v_lshrrev_b32_e32 v2, 16, v12
	s_and_b64 vcc, exec, s[22:23]
	v_cmp_ne_u16_sdwa s[24:25], v10, v55 src0_sel:BYTE_0 src1_sel:DWORD
	s_cbranch_vccnz .LBB2_1178
; %bb.1165:                             ;   in Loop: Header=BB2_124 Depth=2
	v_mov_b32_e32 v4, 0
	v_mov_b32_e32 v3, 0
	s_and_saveexec_b64 s[60:61], s[24:25]
	s_cbranch_execz .LBB2_1171
; %bb.1166:                             ;   in Loop: Header=BB2_124 Depth=2
	v_cmp_ne_u16_sdwa vcc, v10, s74 src0_sel:BYTE_0 src1_sel:DWORD
	v_bfrev_b32_e32 v3, 1
	s_and_saveexec_b64 s[62:63], vcc
	s_cbranch_execz .LBB2_1170
; %bb.1167:                             ;   in Loop: Header=BB2_124 Depth=2
	v_bfe_u32 v5, v16, 16, 7
	v_cmp_ne_u32_e32 vcc, s75, v5
	v_mov_b32_e32 v3, 0x7f800001
	s_and_saveexec_b64 s[64:65], vcc
	s_cbranch_execz .LBB2_1169
; %bb.1168:                             ;   in Loop: Header=BB2_124 Depth=2
	v_and_b32_e32 v3, 7, v10
	v_ffbh_u32_e32 v14, v3
	v_min_u32_e32 v14, 32, v14
	v_lshrrev_b32_e32 v11, 3, v5
	v_subrev_u32_e32 v27, 28, v14
	v_lshlrev_b64 v[38:39], v27, v[10:11]
	v_sub_u32_e32 v14, 29, v14
	v_and_b32_e32 v27, 7, v38
	v_cmp_gt_u32_e32 vcc, 8, v5
	v_cndmask_b32_e32 v5, v11, v14, vcc
	v_cndmask_b32_e32 v3, v3, v27, vcc
	v_lshlrev_b32_e32 v11, 24, v10
	v_bfrev_b32_e32 v14, 60
	v_lshlrev_b32_e32 v3, 20, v3
	v_and_b32_e32 v11, 0x80000000, v11
	v_lshl_add_u32 v5, v5, 23, v14
	v_or3_b32 v3, v11, v5, v3
.LBB2_1169:                             ;   in Loop: Header=BB2_124 Depth=2
	s_or_b64 exec, exec, s[64:65]
.LBB2_1170:                             ;   in Loop: Header=BB2_124 Depth=2
	s_or_b64 exec, exec, s[62:63]
.LBB2_1171:                             ;   in Loop: Header=BB2_124 Depth=2
	s_or_b64 exec, exec, s[60:61]
	v_cmp_ne_u16_sdwa vcc, v2, v55 src0_sel:BYTE_0 src1_sel:DWORD
	s_and_saveexec_b64 s[60:61], vcc
	s_cbranch_execz .LBB2_1177
; %bb.1172:                             ;   in Loop: Header=BB2_124 Depth=2
	v_cmp_ne_u16_sdwa vcc, v2, s74 src0_sel:BYTE_0 src1_sel:DWORD
	v_bfrev_b32_e32 v4, 1
	s_and_saveexec_b64 s[62:63], vcc
	s_cbranch_execz .LBB2_1176
; %bb.1173:                             ;   in Loop: Header=BB2_124 Depth=2
	v_bfe_u32 v5, v12, 16, 7
	v_cmp_ne_u32_e32 vcc, s75, v5
	v_mov_b32_e32 v4, 0x7f800001
	s_and_saveexec_b64 s[64:65], vcc
	s_cbranch_execz .LBB2_1175
; %bb.1174:                             ;   in Loop: Header=BB2_124 Depth=2
	v_and_b32_e32 v4, 7, v2
	v_ffbh_u32_e32 v14, v4
	v_min_u32_e32 v14, 32, v14
	v_subrev_u32_e32 v27, 28, v14
	v_lshlrev_b64 v[38:39], v27, v[2:3]
	v_lshrrev_b32_e32 v11, 3, v5
	v_sub_u32_e32 v14, 29, v14
	v_and_b32_e32 v27, 7, v38
	v_cmp_gt_u32_e32 vcc, 8, v5
	v_cndmask_b32_e32 v5, v11, v14, vcc
	v_cndmask_b32_e32 v4, v4, v27, vcc
	v_lshlrev_b32_e32 v11, 24, v2
	v_bfrev_b32_e32 v14, 60
	v_lshlrev_b32_e32 v4, 20, v4
	v_and_b32_e32 v11, 0x80000000, v11
	v_lshl_add_u32 v5, v5, 23, v14
	v_or3_b32 v4, v11, v5, v4
.LBB2_1175:                             ;   in Loop: Header=BB2_124 Depth=2
	s_or_b64 exec, exec, s[64:65]
.LBB2_1176:                             ;   in Loop: Header=BB2_124 Depth=2
	s_or_b64 exec, exec, s[62:63]
.LBB2_1177:                             ;   in Loop: Header=BB2_124 Depth=2
	s_or_b64 exec, exec, s[60:61]
	v_max_f32_e32 v4, v4, v4
	v_max_f32_e32 v3, v3, v3
	;; [unrolled: 1-line block ×3, first 2 shown]
	s_branch .LBB2_1192
.LBB2_1178:                             ;   in Loop: Header=BB2_124 Depth=2
                                        ; implicit-def: $vgpr3
	s_cbranch_execz .LBB2_1192
; %bb.1179:                             ;   in Loop: Header=BB2_124 Depth=2
	v_mov_b32_e32 v4, 0
	v_mov_b32_e32 v3, 0
	s_and_saveexec_b64 s[60:61], s[24:25]
	s_cbranch_execz .LBB2_1185
; %bb.1180:                             ;   in Loop: Header=BB2_124 Depth=2
	v_cmp_ne_u16_sdwa vcc, v10, s74 src0_sel:BYTE_0 src1_sel:DWORD
	v_bfrev_b32_e32 v3, 1
	s_and_saveexec_b64 s[24:25], vcc
	s_cbranch_execz .LBB2_1184
; %bb.1181:                             ;   in Loop: Header=BB2_124 Depth=2
	v_bfe_u32 v5, v16, 16, 7
	v_cmp_ne_u32_e32 vcc, s75, v5
	v_mov_b32_e32 v3, 0x7f800001
	s_and_saveexec_b64 s[62:63], vcc
	s_cbranch_execz .LBB2_1183
; %bb.1182:                             ;   in Loop: Header=BB2_124 Depth=2
	v_and_b32_e32 v3, 7, v10
	v_ffbh_u32_e32 v14, v3
	v_min_u32_e32 v14, 32, v14
	v_lshrrev_b32_e32 v11, 3, v5
	v_subrev_u32_e32 v27, 28, v14
	v_lshlrev_b64 v[38:39], v27, v[10:11]
	v_sub_u32_e32 v14, 29, v14
	v_and_b32_e32 v27, 7, v38
	v_cmp_gt_u32_e32 vcc, 8, v5
	v_cndmask_b32_e32 v5, v11, v14, vcc
	v_cndmask_b32_e32 v3, v3, v27, vcc
	v_lshlrev_b32_e32 v10, 24, v10
	v_bfrev_b32_e32 v11, 60
	v_lshlrev_b32_e32 v3, 20, v3
	v_and_b32_e32 v10, 0x80000000, v10
	v_lshl_add_u32 v5, v5, 23, v11
	v_or3_b32 v3, v10, v5, v3
.LBB2_1183:                             ;   in Loop: Header=BB2_124 Depth=2
	s_or_b64 exec, exec, s[62:63]
.LBB2_1184:                             ;   in Loop: Header=BB2_124 Depth=2
	s_or_b64 exec, exec, s[24:25]
.LBB2_1185:                             ;   in Loop: Header=BB2_124 Depth=2
	s_or_b64 exec, exec, s[60:61]
	v_cmp_ne_u16_sdwa vcc, v2, v55 src0_sel:BYTE_0 src1_sel:DWORD
	s_and_saveexec_b64 s[24:25], vcc
	s_cbranch_execz .LBB2_1191
; %bb.1186:                             ;   in Loop: Header=BB2_124 Depth=2
	v_cmp_ne_u16_sdwa vcc, v2, s74 src0_sel:BYTE_0 src1_sel:DWORD
	v_bfrev_b32_e32 v4, 1
	s_and_saveexec_b64 s[60:61], vcc
	s_cbranch_execz .LBB2_1190
; %bb.1187:                             ;   in Loop: Header=BB2_124 Depth=2
	v_bfe_u32 v5, v12, 16, 7
	v_cmp_ne_u32_e32 vcc, s75, v5
	v_mov_b32_e32 v4, 0x7f800001
	s_and_saveexec_b64 s[62:63], vcc
	s_cbranch_execz .LBB2_1189
; %bb.1188:                             ;   in Loop: Header=BB2_124 Depth=2
	v_and_b32_e32 v4, 7, v2
	v_ffbh_u32_e32 v10, v4
	v_min_u32_e32 v27, 32, v10
	v_subrev_u32_e32 v10, 28, v27
	v_lshlrev_b64 v[10:11], v10, v[2:3]
	v_lshrrev_b32_e32 v14, 3, v5
	v_sub_u32_e32 v11, 29, v27
	v_and_b32_e32 v10, 7, v10
	v_cmp_gt_u32_e32 vcc, 8, v5
	v_cndmask_b32_e32 v5, v14, v11, vcc
	v_cndmask_b32_e32 v4, v4, v10, vcc
	v_lshlrev_b32_e32 v2, 24, v2
	v_bfrev_b32_e32 v10, 60
	v_lshlrev_b32_e32 v4, 20, v4
	v_and_b32_e32 v2, 0x80000000, v2
	v_lshl_add_u32 v5, v5, 23, v10
	v_or3_b32 v4, v2, v5, v4
.LBB2_1189:                             ;   in Loop: Header=BB2_124 Depth=2
	s_or_b64 exec, exec, s[62:63]
.LBB2_1190:                             ;   in Loop: Header=BB2_124 Depth=2
	s_or_b64 exec, exec, s[60:61]
.LBB2_1191:                             ;   in Loop: Header=BB2_124 Depth=2
	s_or_b64 exec, exec, s[24:25]
	v_max_f32_e32 v2, v4, v4
	v_max_f32_e32 v3, v3, v3
	v_min_f32_e32 v3, v3, v2
.LBB2_1192:                             ;   in Loop: Header=BB2_124 Depth=2
	v_and_b32_sdwa v4, v3, s74 dst_sel:DWORD dst_unused:UNUSED_PAD src0_sel:BYTE_3 src1_sel:DWORD
	v_and_b32_e32 v10, 0x7f800000, v3
	v_mov_b32_e32 v11, v55
	v_and_b32_e32 v54, 0x7fffff, v3
	v_or_b32_e32 v27, 0x7e, v4
	v_cmp_ne_u64_e32 vcc, s[44:45], v[10:11]
	s_and_saveexec_b64 s[24:25], vcc
	s_xor_b64 s[60:61], exec, s[24:25]
	s_cbranch_execz .LBB2_1202
; %bb.1193:                             ;   in Loop: Header=BB2_124 Depth=2
	v_and_b32_e32 v10, 0x7fffffff, v3
	v_mov_b32_e32 v11, v55
	v_cmp_gt_u64_e32 vcc, s[46:47], v[10:11]
	s_and_saveexec_b64 s[62:63], vcc
	s_cbranch_execz .LBB2_1201
; %bb.1194:                             ;   in Loop: Header=BB2_124 Depth=2
	v_cmp_ne_u32_e32 vcc, 0, v3
	v_mov_b32_e32 v27, 0
	s_and_saveexec_b64 s[64:65], vcc
	s_cbranch_execz .LBB2_1200
; %bb.1195:                             ;   in Loop: Header=BB2_124 Depth=2
	v_bfe_u32 v2, v3, 23, 8
	v_sub_u32_e32 v5, 0x79, v2
	v_cmp_gt_u32_e32 vcc, s77, v2
	v_add_u32_e32 v3, 0xffffff81, v2
	v_cndmask_b32_e32 v5, 0, v5, vcc
	v_cmp_eq_u32_e32 vcc, 0, v2
	v_mov_b32_e32 v2, 0xffffff82
	v_cndmask_b32_e32 v11, v3, v2, vcc
	v_mov_b32_e32 v2, 0x78
	v_or_b32_e32 v10, 0x800000, v54
	v_cndmask_b32_e32 v5, v5, v2, vcc
	v_cndmask_b32_e32 v54, v10, v54, vcc
	v_add_u32_e32 v2, 20, v5
	v_lshlrev_b64 v[2:3], v2, -1
	v_add_u32_e32 v10, 19, v5
	v_lshrrev_b64 v[48:49], v5, v[54:55]
	v_not_b32_e32 v3, v3
	v_not_b32_e32 v2, v2
	v_lshlrev_b64 v[38:39], v10, 1
	v_lshrrev_b32_e32 v10, 23, v48
	v_and_b32_e32 v3, 0, v3
	v_and_b32_e32 v2, v54, v2
	v_add3_u32 v11, v5, v11, v10
	v_bfe_u32 v5, v48, 20, 1
	v_add_u32_e32 v5, -1, v5
	v_cmp_eq_u64_e32 vcc, v[2:3], v[38:39]
	v_cndmask_b32_e32 v2, 0, v5, vcc
	v_add_u32_e32 v2, v2, v48
	v_and_b32_e32 v2, 0xfffff, v2
	v_add_co_u32_e32 v2, vcc, v2, v48
	v_add_u32_e32 v10, 6, v11
	v_addc_co_u32_e32 v3, vcc, 0, v49, vcc
	v_cmp_ne_u32_e32 vcc, 0, v10
                                        ; implicit-def: $vgpr5
	s_and_saveexec_b64 s[24:25], vcc
	s_xor_b64 s[24:25], exec, s[24:25]
; %bb.1196:                             ;   in Loop: Header=BB2_124 Depth=2
	v_add_u32_e32 v5, 7, v11
	v_cmp_lt_u64_e32 vcc, s[50:51], v[2:3]
	v_cndmask_b32_e32 v5, v10, v5, vcc
	v_cndmask_b32_e64 v10, 0, 1, vcc
	v_lshrrev_b64 v[2:3], v10, v[2:3]
; %bb.1197:                             ;   in Loop: Header=BB2_124 Depth=2
	s_andn2_saveexec_b64 s[24:25], s[24:25]
; %bb.1198:                             ;   in Loop: Header=BB2_124 Depth=2
	v_bfe_u32 v5, v2, 23, 1
; %bb.1199:                             ;   in Loop: Header=BB2_124 Depth=2
	s_or_b64 exec, exec, s[24:25]
	v_lshrrev_b64 v[2:3], 20, v[2:3]
	v_cmp_gt_i32_e32 vcc, 16, v5
	v_cndmask_b32_e32 v3, 0, v3, vcc
	v_cndmask_b32_e32 v2, 7, v2, vcc
	v_cmp_eq_u64_e64 s[24:25], 0, v[2:3]
	v_min_i32_e32 v3, 15, v5
	v_cmp_eq_u32_e32 vcc, 0, v5
	v_lshlrev_b32_e32 v3, 3, v3
	v_and_or_b32 v2, v2, 7, v3
	s_and_b64 s[24:25], vcc, s[24:25]
	v_cndmask_b32_e64 v2, v2, 0, s[24:25]
	v_or_b32_e32 v27, v2, v4
.LBB2_1200:                             ;   in Loop: Header=BB2_124 Depth=2
	s_or_b64 exec, exec, s[64:65]
.LBB2_1201:                             ;   in Loop: Header=BB2_124 Depth=2
	s_or_b64 exec, exec, s[62:63]
                                        ; implicit-def: $vgpr3
.LBB2_1202:                             ;   in Loop: Header=BB2_124 Depth=2
	s_andn2_saveexec_b64 s[24:25], s[60:61]
; %bb.1203:                             ;   in Loop: Header=BB2_124 Depth=2
	v_or_b32_sdwa v2, v3, s75 dst_sel:DWORD dst_unused:UNUSED_PAD src0_sel:BYTE_3 src1_sel:DWORD
	v_cmp_eq_u64_e32 vcc, 0, v[54:55]
	v_cndmask_b32_e32 v27, v2, v27, vcc
; %bb.1204:                             ;   in Loop: Header=BB2_124 Depth=2
	s_or_b64 exec, exec, s[24:25]
	v_lshrrev_b32_e32 v10, 24, v16
	v_lshrrev_b32_e32 v2, 24, v12
	s_and_b64 vcc, exec, s[22:23]
	v_cmp_lt_u32_e64 s[24:25], s49, v16
	s_cbranch_vccnz .LBB2_1218
; %bb.1205:                             ;   in Loop: Header=BB2_124 Depth=2
	v_mov_b32_e32 v4, 0
	v_mov_b32_e32 v3, 0
	s_and_saveexec_b64 s[60:61], s[24:25]
	s_cbranch_execz .LBB2_1211
; %bb.1206:                             ;   in Loop: Header=BB2_124 Depth=2
	v_cmp_ne_u32_e32 vcc, s74, v10
	v_bfrev_b32_e32 v3, 1
	s_and_saveexec_b64 s[62:63], vcc
	s_cbranch_execz .LBB2_1210
; %bb.1207:                             ;   in Loop: Header=BB2_124 Depth=2
	v_bfe_u32 v5, v16, 24, 7
	v_cmp_ne_u32_e32 vcc, s75, v5
	v_mov_b32_e32 v3, 0x7f800001
	s_and_saveexec_b64 s[64:65], vcc
	s_cbranch_execz .LBB2_1209
; %bb.1208:                             ;   in Loop: Header=BB2_124 Depth=2
	v_and_b32_e32 v3, 7, v10
	v_ffbh_u32_e32 v14, v3
	v_min_u32_e32 v14, 32, v14
	v_lshrrev_b32_e32 v11, 3, v5
	v_subrev_u32_e32 v34, 28, v14
	v_lshlrev_b64 v[38:39], v34, v[10:11]
	v_sub_u32_e32 v14, 29, v14
	v_and_b32_e32 v34, 7, v38
	v_cmp_gt_u32_e32 vcc, 8, v5
	v_cndmask_b32_e32 v5, v11, v14, vcc
	v_cndmask_b32_e32 v3, v3, v34, vcc
	v_lshlrev_b32_e32 v11, 24, v10
	v_bfrev_b32_e32 v14, 60
	v_lshlrev_b32_e32 v3, 20, v3
	v_and_b32_e32 v11, 0x80000000, v11
	v_lshl_add_u32 v5, v5, 23, v14
	v_or3_b32 v3, v11, v5, v3
.LBB2_1209:                             ;   in Loop: Header=BB2_124 Depth=2
	s_or_b64 exec, exec, s[64:65]
.LBB2_1210:                             ;   in Loop: Header=BB2_124 Depth=2
	s_or_b64 exec, exec, s[62:63]
.LBB2_1211:                             ;   in Loop: Header=BB2_124 Depth=2
	s_or_b64 exec, exec, s[60:61]
	v_cmp_lt_u32_e32 vcc, s49, v12
	s_and_saveexec_b64 s[60:61], vcc
	s_cbranch_execz .LBB2_1217
; %bb.1212:                             ;   in Loop: Header=BB2_124 Depth=2
	v_cmp_ne_u32_e32 vcc, s74, v2
	v_bfrev_b32_e32 v4, 1
	s_and_saveexec_b64 s[62:63], vcc
	s_cbranch_execz .LBB2_1216
; %bb.1213:                             ;   in Loop: Header=BB2_124 Depth=2
	v_bfe_u32 v5, v12, 24, 7
	v_cmp_ne_u32_e32 vcc, s75, v5
	v_mov_b32_e32 v4, 0x7f800001
	s_and_saveexec_b64 s[64:65], vcc
	s_cbranch_execz .LBB2_1215
; %bb.1214:                             ;   in Loop: Header=BB2_124 Depth=2
	v_and_b32_e32 v4, 7, v2
	v_ffbh_u32_e32 v14, v4
	v_min_u32_e32 v14, 32, v14
	v_subrev_u32_e32 v34, 28, v14
	v_lshlrev_b64 v[38:39], v34, v[2:3]
	v_lshrrev_b32_e32 v11, 3, v5
	v_sub_u32_e32 v14, 29, v14
	v_and_b32_e32 v34, 7, v38
	v_cmp_gt_u32_e32 vcc, 8, v5
	v_cndmask_b32_e32 v5, v11, v14, vcc
	v_cndmask_b32_e32 v4, v4, v34, vcc
	v_lshlrev_b32_e32 v11, 24, v2
	v_bfrev_b32_e32 v14, 60
	v_lshlrev_b32_e32 v4, 20, v4
	v_and_b32_e32 v11, 0x80000000, v11
	v_lshl_add_u32 v5, v5, 23, v14
	v_or3_b32 v4, v11, v5, v4
.LBB2_1215:                             ;   in Loop: Header=BB2_124 Depth=2
	s_or_b64 exec, exec, s[64:65]
.LBB2_1216:                             ;   in Loop: Header=BB2_124 Depth=2
	s_or_b64 exec, exec, s[62:63]
.LBB2_1217:                             ;   in Loop: Header=BB2_124 Depth=2
	s_or_b64 exec, exec, s[60:61]
	v_max_f32_e32 v4, v4, v4
	v_max_f32_e32 v3, v3, v3
	;; [unrolled: 1-line block ×3, first 2 shown]
	s_branch .LBB2_1232
.LBB2_1218:                             ;   in Loop: Header=BB2_124 Depth=2
                                        ; implicit-def: $vgpr3
	s_cbranch_execz .LBB2_1232
; %bb.1219:                             ;   in Loop: Header=BB2_124 Depth=2
	v_mov_b32_e32 v4, 0
	v_mov_b32_e32 v3, 0
	s_and_saveexec_b64 s[60:61], s[24:25]
	s_cbranch_execz .LBB2_1225
; %bb.1220:                             ;   in Loop: Header=BB2_124 Depth=2
	v_cmp_ne_u32_e32 vcc, s74, v10
	v_bfrev_b32_e32 v3, 1
	s_and_saveexec_b64 s[24:25], vcc
	s_cbranch_execz .LBB2_1224
; %bb.1221:                             ;   in Loop: Header=BB2_124 Depth=2
	v_bfe_u32 v5, v16, 24, 7
	v_cmp_ne_u32_e32 vcc, s75, v5
	v_mov_b32_e32 v3, 0x7f800001
	s_and_saveexec_b64 s[62:63], vcc
	s_cbranch_execz .LBB2_1223
; %bb.1222:                             ;   in Loop: Header=BB2_124 Depth=2
	v_and_b32_e32 v3, 7, v10
	v_ffbh_u32_e32 v14, v3
	v_min_u32_e32 v14, 32, v14
	v_lshrrev_b32_e32 v11, 3, v5
	v_subrev_u32_e32 v34, 28, v14
	v_lshlrev_b64 v[38:39], v34, v[10:11]
	v_sub_u32_e32 v14, 29, v14
	v_and_b32_e32 v34, 7, v38
	v_cmp_gt_u32_e32 vcc, 8, v5
	v_cndmask_b32_e32 v5, v11, v14, vcc
	v_cndmask_b32_e32 v3, v3, v34, vcc
	v_lshlrev_b32_e32 v10, 24, v10
	v_bfrev_b32_e32 v11, 60
	v_lshlrev_b32_e32 v3, 20, v3
	v_and_b32_e32 v10, 0x80000000, v10
	v_lshl_add_u32 v5, v5, 23, v11
	v_or3_b32 v3, v10, v5, v3
.LBB2_1223:                             ;   in Loop: Header=BB2_124 Depth=2
	s_or_b64 exec, exec, s[62:63]
.LBB2_1224:                             ;   in Loop: Header=BB2_124 Depth=2
	s_or_b64 exec, exec, s[24:25]
.LBB2_1225:                             ;   in Loop: Header=BB2_124 Depth=2
	s_or_b64 exec, exec, s[60:61]
	v_cmp_lt_u32_e32 vcc, s49, v12
	s_and_saveexec_b64 s[24:25], vcc
	s_cbranch_execz .LBB2_1231
; %bb.1226:                             ;   in Loop: Header=BB2_124 Depth=2
	v_cmp_ne_u32_e32 vcc, s74, v2
	v_bfrev_b32_e32 v4, 1
	s_and_saveexec_b64 s[60:61], vcc
	s_cbranch_execz .LBB2_1230
; %bb.1227:                             ;   in Loop: Header=BB2_124 Depth=2
	v_bfe_u32 v5, v12, 24, 7
	v_cmp_ne_u32_e32 vcc, s75, v5
	v_mov_b32_e32 v4, 0x7f800001
	s_and_saveexec_b64 s[62:63], vcc
	s_cbranch_execz .LBB2_1229
; %bb.1228:                             ;   in Loop: Header=BB2_124 Depth=2
	v_and_b32_e32 v4, 7, v2
	v_ffbh_u32_e32 v10, v4
	v_min_u32_e32 v34, 32, v10
	v_subrev_u32_e32 v10, 28, v34
	v_lshlrev_b64 v[10:11], v10, v[2:3]
	v_lshrrev_b32_e32 v14, 3, v5
	v_sub_u32_e32 v11, 29, v34
	v_and_b32_e32 v10, 7, v10
	v_cmp_gt_u32_e32 vcc, 8, v5
	v_cndmask_b32_e32 v5, v14, v11, vcc
	v_cndmask_b32_e32 v4, v4, v10, vcc
	v_lshlrev_b32_e32 v2, 24, v2
	v_bfrev_b32_e32 v10, 60
	v_lshlrev_b32_e32 v4, 20, v4
	v_and_b32_e32 v2, 0x80000000, v2
	v_lshl_add_u32 v5, v5, 23, v10
	v_or3_b32 v4, v2, v5, v4
.LBB2_1229:                             ;   in Loop: Header=BB2_124 Depth=2
	s_or_b64 exec, exec, s[62:63]
.LBB2_1230:                             ;   in Loop: Header=BB2_124 Depth=2
	s_or_b64 exec, exec, s[60:61]
.LBB2_1231:                             ;   in Loop: Header=BB2_124 Depth=2
	s_or_b64 exec, exec, s[24:25]
	v_max_f32_e32 v2, v4, v4
	v_max_f32_e32 v3, v3, v3
	v_min_f32_e32 v3, v3, v2
.LBB2_1232:                             ;   in Loop: Header=BB2_124 Depth=2
	v_and_b32_sdwa v5, v3, s74 dst_sel:DWORD dst_unused:UNUSED_PAD src0_sel:BYTE_3 src1_sel:DWORD
	v_and_b32_e32 v10, 0x7f800000, v3
	v_mov_b32_e32 v11, v55
	v_and_b32_e32 v54, 0x7fffff, v3
	v_or_b32_e32 v4, 0x7e, v5
	v_cmp_ne_u64_e32 vcc, s[44:45], v[10:11]
	s_and_saveexec_b64 s[24:25], vcc
	s_xor_b64 s[60:61], exec, s[24:25]
	s_cbranch_execz .LBB2_1242
; %bb.1233:                             ;   in Loop: Header=BB2_124 Depth=2
	v_and_b32_e32 v10, 0x7fffffff, v3
	v_mov_b32_e32 v11, v55
	v_cmp_gt_u64_e32 vcc, s[46:47], v[10:11]
	s_and_saveexec_b64 s[62:63], vcc
	s_cbranch_execz .LBB2_1241
; %bb.1234:                             ;   in Loop: Header=BB2_124 Depth=2
	v_cmp_ne_u32_e32 vcc, 0, v3
	v_mov_b32_e32 v4, 0
	s_and_saveexec_b64 s[64:65], vcc
	s_cbranch_execz .LBB2_1240
; %bb.1235:                             ;   in Loop: Header=BB2_124 Depth=2
	v_bfe_u32 v2, v3, 23, 8
	v_sub_u32_e32 v4, 0x79, v2
	v_cmp_gt_u32_e32 vcc, s77, v2
	v_add_u32_e32 v3, 0xffffff81, v2
	v_cndmask_b32_e32 v4, 0, v4, vcc
	v_cmp_eq_u32_e32 vcc, 0, v2
	v_mov_b32_e32 v2, 0xffffff82
	v_cndmask_b32_e32 v11, v3, v2, vcc
	v_mov_b32_e32 v2, 0x78
	v_or_b32_e32 v10, 0x800000, v54
	v_cndmask_b32_e32 v4, v4, v2, vcc
	v_cndmask_b32_e32 v54, v10, v54, vcc
	v_add_u32_e32 v2, 20, v4
	v_lshlrev_b64 v[2:3], v2, -1
	v_add_u32_e32 v10, 19, v4
	v_lshrrev_b64 v[48:49], v4, v[54:55]
	v_not_b32_e32 v3, v3
	v_not_b32_e32 v2, v2
	v_lshlrev_b64 v[38:39], v10, 1
	v_lshrrev_b32_e32 v10, 23, v48
	v_and_b32_e32 v3, 0, v3
	v_and_b32_e32 v2, v54, v2
	v_add3_u32 v11, v4, v11, v10
	v_bfe_u32 v4, v48, 20, 1
	v_add_u32_e32 v4, -1, v4
	v_cmp_eq_u64_e32 vcc, v[2:3], v[38:39]
	v_cndmask_b32_e32 v2, 0, v4, vcc
	v_add_u32_e32 v2, v2, v48
	v_and_b32_e32 v2, 0xfffff, v2
	v_add_co_u32_e32 v2, vcc, v2, v48
	v_add_u32_e32 v10, 6, v11
	v_addc_co_u32_e32 v3, vcc, 0, v49, vcc
	v_cmp_ne_u32_e32 vcc, 0, v10
                                        ; implicit-def: $vgpr4
	s_and_saveexec_b64 s[24:25], vcc
	s_xor_b64 s[24:25], exec, s[24:25]
; %bb.1236:                             ;   in Loop: Header=BB2_124 Depth=2
	v_add_u32_e32 v4, 7, v11
	v_cmp_lt_u64_e32 vcc, s[50:51], v[2:3]
	v_cndmask_b32_e32 v4, v10, v4, vcc
	v_cndmask_b32_e64 v10, 0, 1, vcc
	v_lshrrev_b64 v[2:3], v10, v[2:3]
; %bb.1237:                             ;   in Loop: Header=BB2_124 Depth=2
	s_andn2_saveexec_b64 s[24:25], s[24:25]
; %bb.1238:                             ;   in Loop: Header=BB2_124 Depth=2
	v_bfe_u32 v4, v2, 23, 1
; %bb.1239:                             ;   in Loop: Header=BB2_124 Depth=2
	s_or_b64 exec, exec, s[24:25]
	v_lshrrev_b64 v[2:3], 20, v[2:3]
	v_cmp_gt_i32_e32 vcc, 16, v4
	v_cndmask_b32_e32 v3, 0, v3, vcc
	v_cndmask_b32_e32 v2, 7, v2, vcc
	v_cmp_eq_u64_e64 s[24:25], 0, v[2:3]
	v_min_i32_e32 v3, 15, v4
	v_cmp_eq_u32_e32 vcc, 0, v4
	v_lshlrev_b32_e32 v3, 3, v3
	v_and_or_b32 v2, v2, 7, v3
	s_and_b64 s[24:25], vcc, s[24:25]
	v_cndmask_b32_e64 v2, v2, 0, s[24:25]
	v_or_b32_e32 v4, v2, v5
.LBB2_1240:                             ;   in Loop: Header=BB2_124 Depth=2
	s_or_b64 exec, exec, s[64:65]
.LBB2_1241:                             ;   in Loop: Header=BB2_124 Depth=2
	s_or_b64 exec, exec, s[62:63]
                                        ; implicit-def: $vgpr3
.LBB2_1242:                             ;   in Loop: Header=BB2_124 Depth=2
	s_andn2_saveexec_b64 s[24:25], s[60:61]
; %bb.1243:                             ;   in Loop: Header=BB2_124 Depth=2
	v_or_b32_sdwa v2, v3, s75 dst_sel:DWORD dst_unused:UNUSED_PAD src0_sel:BYTE_3 src1_sel:DWORD
	v_cmp_eq_u64_e32 vcc, 0, v[54:55]
	v_cndmask_b32_e32 v4, v2, v4, vcc
; %bb.1244:                             ;   in Loop: Header=BB2_124 Depth=2
	s_or_b64 exec, exec, s[24:25]
	v_mov_b32_e32 v54, v17
	v_mov_b32_e32 v2, v13
	;; [unrolled: 1-line block ×3, first 2 shown]
	s_and_b64 vcc, exec, s[22:23]
	v_cmp_ne_u16_sdwa s[24:25], v17, v55 src0_sel:BYTE_0 src1_sel:DWORD
	s_cbranch_vccnz .LBB2_1258
; %bb.1245:                             ;   in Loop: Header=BB2_124 Depth=2
	v_mov_b32_e32 v10, 0
	v_mov_b32_e32 v5, 0
	s_and_saveexec_b64 s[60:61], s[24:25]
	s_cbranch_execz .LBB2_1251
; %bb.1246:                             ;   in Loop: Header=BB2_124 Depth=2
	v_cmp_ne_u16_sdwa vcc, v17, s74 src0_sel:BYTE_0 src1_sel:DWORD
	v_bfrev_b32_e32 v5, 1
	s_and_saveexec_b64 s[62:63], vcc
	s_cbranch_execz .LBB2_1250
; %bb.1247:                             ;   in Loop: Header=BB2_124 Depth=2
	v_and_b32_e32 v11, 0x7f, v17
	v_cmp_ne_u32_e32 vcc, s75, v11
	v_mov_b32_e32 v5, 0x7f800001
	s_and_saveexec_b64 s[64:65], vcc
	s_cbranch_execz .LBB2_1249
; %bb.1248:                             ;   in Loop: Header=BB2_124 Depth=2
	v_and_b32_e32 v5, 7, v17
	v_ffbh_u32_e32 v5, v5
	v_min_u32_e32 v5, 32, v5
	v_subrev_u32_e32 v34, 28, v5
	v_cmp_gt_u32_e32 vcc, 8, v11
	v_lshrrev_b32_e32 v14, 3, v11
	v_cndmask_b32_e32 v11, 0, v34, vcc
	v_sub_u32_e32 v5, 29, v5
	v_lshlrev_b64 v[38:39], v11, v[54:55]
	v_cndmask_b32_e32 v5, v14, v5, vcc
	v_lshlrev_b32_e32 v11, 20, v38
	v_lshlrev_b32_e32 v14, 24, v54
	v_bfrev_b32_e32 v34, 60
	v_and_b32_e32 v11, 0x700000, v11
	v_and_b32_e32 v14, 0x80000000, v14
	v_lshl_add_u32 v5, v5, 23, v34
	v_or3_b32 v5, v14, v5, v11
.LBB2_1249:                             ;   in Loop: Header=BB2_124 Depth=2
	s_or_b64 exec, exec, s[64:65]
.LBB2_1250:                             ;   in Loop: Header=BB2_124 Depth=2
	s_or_b64 exec, exec, s[62:63]
.LBB2_1251:                             ;   in Loop: Header=BB2_124 Depth=2
	s_or_b64 exec, exec, s[60:61]
	v_cmp_ne_u16_sdwa vcc, v13, v55 src0_sel:BYTE_0 src1_sel:DWORD
	s_and_saveexec_b64 s[60:61], vcc
	s_cbranch_execz .LBB2_1257
; %bb.1252:                             ;   in Loop: Header=BB2_124 Depth=2
	v_cmp_ne_u16_sdwa vcc, v13, s74 src0_sel:BYTE_0 src1_sel:DWORD
	v_bfrev_b32_e32 v10, 1
	s_and_saveexec_b64 s[62:63], vcc
	s_cbranch_execz .LBB2_1256
; %bb.1253:                             ;   in Loop: Header=BB2_124 Depth=2
	v_and_b32_e32 v11, 0x7f, v13
	v_cmp_ne_u32_e32 vcc, s75, v11
	v_mov_b32_e32 v10, 0x7f800001
	s_and_saveexec_b64 s[64:65], vcc
	s_cbranch_execz .LBB2_1255
; %bb.1254:                             ;   in Loop: Header=BB2_124 Depth=2
	v_and_b32_e32 v10, 7, v13
	v_ffbh_u32_e32 v10, v10
	v_min_u32_e32 v10, 32, v10
	v_lshrrev_b32_e32 v14, 3, v11
	v_subrev_u32_e32 v34, 28, v10
	v_sub_u32_e32 v10, 29, v10
	v_cmp_gt_u32_e32 vcc, 8, v11
	v_cndmask_b32_e32 v14, v14, v10, vcc
	v_cndmask_b32_e32 v10, 0, v34, vcc
	v_lshlrev_b64 v[10:11], v10, v[2:3]
	v_lshlrev_b32_e32 v10, 20, v10
	v_lshlrev_b32_e32 v11, 24, v2
	v_bfrev_b32_e32 v34, 60
	v_and_b32_e32 v10, 0x700000, v10
	v_and_b32_e32 v11, 0x80000000, v11
	v_lshl_add_u32 v14, v14, 23, v34
	v_or3_b32 v10, v11, v14, v10
.LBB2_1255:                             ;   in Loop: Header=BB2_124 Depth=2
	s_or_b64 exec, exec, s[64:65]
.LBB2_1256:                             ;   in Loop: Header=BB2_124 Depth=2
	s_or_b64 exec, exec, s[62:63]
.LBB2_1257:                             ;   in Loop: Header=BB2_124 Depth=2
	s_or_b64 exec, exec, s[60:61]
	v_max_f32_e32 v10, v10, v10
	v_max_f32_e32 v5, v5, v5
	;; [unrolled: 1-line block ×3, first 2 shown]
	s_branch .LBB2_1272
.LBB2_1258:                             ;   in Loop: Header=BB2_124 Depth=2
                                        ; implicit-def: $vgpr14
	s_cbranch_execz .LBB2_1272
; %bb.1259:                             ;   in Loop: Header=BB2_124 Depth=2
	v_mov_b32_e32 v10, 0
	v_mov_b32_e32 v5, 0
	s_and_saveexec_b64 s[60:61], s[24:25]
	s_cbranch_execz .LBB2_1265
; %bb.1260:                             ;   in Loop: Header=BB2_124 Depth=2
	v_cmp_ne_u16_sdwa vcc, v17, s74 src0_sel:BYTE_0 src1_sel:DWORD
	v_bfrev_b32_e32 v5, 1
	s_and_saveexec_b64 s[24:25], vcc
	s_cbranch_execz .LBB2_1264
; %bb.1261:                             ;   in Loop: Header=BB2_124 Depth=2
	v_and_b32_e32 v11, 0x7f, v17
	v_cmp_ne_u32_e32 vcc, s75, v11
	v_mov_b32_e32 v5, 0x7f800001
	s_and_saveexec_b64 s[62:63], vcc
	s_cbranch_execz .LBB2_1263
; %bb.1262:                             ;   in Loop: Header=BB2_124 Depth=2
	v_and_b32_e32 v5, 7, v17
	v_ffbh_u32_e32 v5, v5
	v_min_u32_e32 v5, 32, v5
	v_subrev_u32_e32 v34, 28, v5
	v_cmp_gt_u32_e32 vcc, 8, v11
	v_lshrrev_b32_e32 v14, 3, v11
	v_cndmask_b32_e32 v11, 0, v34, vcc
	v_sub_u32_e32 v5, 29, v5
	v_lshlrev_b64 v[38:39], v11, v[54:55]
	v_cndmask_b32_e32 v5, v14, v5, vcc
	v_lshlrev_b32_e32 v11, 20, v38
	v_lshlrev_b32_e32 v14, 24, v54
	v_bfrev_b32_e32 v34, 60
	v_and_b32_e32 v11, 0x700000, v11
	v_and_b32_e32 v14, 0x80000000, v14
	v_lshl_add_u32 v5, v5, 23, v34
	v_or3_b32 v5, v14, v5, v11
.LBB2_1263:                             ;   in Loop: Header=BB2_124 Depth=2
	s_or_b64 exec, exec, s[62:63]
.LBB2_1264:                             ;   in Loop: Header=BB2_124 Depth=2
	s_or_b64 exec, exec, s[24:25]
.LBB2_1265:                             ;   in Loop: Header=BB2_124 Depth=2
	s_or_b64 exec, exec, s[60:61]
	v_cmp_ne_u16_sdwa vcc, v13, v55 src0_sel:BYTE_0 src1_sel:DWORD
	s_and_saveexec_b64 s[24:25], vcc
	s_cbranch_execz .LBB2_1271
; %bb.1266:                             ;   in Loop: Header=BB2_124 Depth=2
	v_cmp_ne_u16_sdwa vcc, v13, s74 src0_sel:BYTE_0 src1_sel:DWORD
	v_bfrev_b32_e32 v10, 1
	s_and_saveexec_b64 s[60:61], vcc
	s_cbranch_execz .LBB2_1270
; %bb.1267:                             ;   in Loop: Header=BB2_124 Depth=2
	v_and_b32_e32 v11, 0x7f, v13
	v_cmp_ne_u32_e32 vcc, s75, v11
	v_mov_b32_e32 v10, 0x7f800001
	s_and_saveexec_b64 s[62:63], vcc
	s_cbranch_execz .LBB2_1269
; %bb.1268:                             ;   in Loop: Header=BB2_124 Depth=2
	v_and_b32_e32 v10, 7, v13
	v_ffbh_u32_e32 v10, v10
	v_min_u32_e32 v10, 32, v10
	v_lshrrev_b32_e32 v14, 3, v11
	v_subrev_u32_e32 v34, 28, v10
	v_sub_u32_e32 v10, 29, v10
	v_cmp_gt_u32_e32 vcc, 8, v11
	v_cndmask_b32_e32 v14, v14, v10, vcc
	v_cndmask_b32_e32 v10, 0, v34, vcc
	v_lshlrev_b64 v[10:11], v10, v[2:3]
	v_lshlrev_b32_e32 v3, 20, v10
	v_lshlrev_b32_e32 v10, 24, v2
	v_bfrev_b32_e32 v11, 60
	v_and_b32_e32 v3, 0x700000, v3
	v_and_b32_e32 v10, 0x80000000, v10
	v_lshl_add_u32 v11, v14, 23, v11
	v_or3_b32 v10, v10, v11, v3
.LBB2_1269:                             ;   in Loop: Header=BB2_124 Depth=2
	s_or_b64 exec, exec, s[62:63]
.LBB2_1270:                             ;   in Loop: Header=BB2_124 Depth=2
	s_or_b64 exec, exec, s[60:61]
.LBB2_1271:                             ;   in Loop: Header=BB2_124 Depth=2
	s_or_b64 exec, exec, s[24:25]
	v_max_f32_e32 v3, v10, v10
	v_max_f32_e32 v5, v5, v5
	v_min_f32_e32 v14, v5, v3
.LBB2_1272:                             ;   in Loop: Header=BB2_124 Depth=2
	v_and_b32_sdwa v3, v14, s74 dst_sel:DWORD dst_unused:UNUSED_PAD src0_sel:BYTE_3 src1_sel:DWORD
	v_and_b32_e32 v38, 0x7f800000, v14
	v_mov_b32_e32 v39, v55
	v_and_b32_e32 v10, 0x7fffff, v14
	v_mov_b32_e32 v11, v55
	v_or_b32_e32 v5, 0x7e, v3
	v_cmp_ne_u64_e32 vcc, s[44:45], v[38:39]
	s_and_saveexec_b64 s[24:25], vcc
	s_xor_b64 s[60:61], exec, s[24:25]
	s_cbranch_execz .LBB2_1282
; %bb.1273:                             ;   in Loop: Header=BB2_124 Depth=2
	v_and_b32_e32 v38, 0x7fffffff, v14
	v_mov_b32_e32 v39, v55
	v_cmp_gt_u64_e32 vcc, s[46:47], v[38:39]
	s_and_saveexec_b64 s[62:63], vcc
	s_cbranch_execz .LBB2_1281
; %bb.1274:                             ;   in Loop: Header=BB2_124 Depth=2
	v_cmp_ne_u32_e32 vcc, 0, v14
	v_mov_b32_e32 v5, 0
	s_and_saveexec_b64 s[64:65], vcc
	s_cbranch_execz .LBB2_1280
; %bb.1275:                             ;   in Loop: Header=BB2_124 Depth=2
	v_bfe_u32 v5, v14, 23, 8
	v_sub_u32_e32 v34, 0x79, v5
	v_cmp_gt_u32_e32 vcc, s77, v5
	v_add_u32_e32 v14, 0xffffff81, v5
	v_cndmask_b32_e32 v34, 0, v34, vcc
	v_cmp_eq_u32_e32 vcc, 0, v5
	v_mov_b32_e32 v5, 0xffffff82
	v_cndmask_b32_e32 v5, v14, v5, vcc
	v_mov_b32_e32 v14, 0x78
	v_cndmask_b32_e32 v14, v34, v14, vcc
	v_add_u32_e32 v34, 20, v14
	v_or_b32_e32 v35, 0x800000, v10
	v_lshlrev_b64 v[38:39], v34, -1
	v_cndmask_b32_e32 v10, v35, v10, vcc
	v_not_b32_e32 v35, v38
	v_not_b32_e32 v34, v39
	v_and_b32_e32 v38, v10, v35
	v_lshrrev_b64 v[10:11], v14, v[10:11]
	v_and_b32_e32 v39, 0, v34
	v_add_u32_e32 v34, 19, v14
	v_lshrrev_b32_e32 v48, 23, v10
	v_lshlrev_b64 v[34:35], v34, 1
	v_add3_u32 v48, v14, v5, v48
	v_bfe_u32 v5, v10, 20, 1
	v_add_u32_e32 v5, -1, v5
	v_cmp_eq_u64_e32 vcc, v[38:39], v[34:35]
	v_cndmask_b32_e32 v5, 0, v5, vcc
	v_add_u32_e32 v5, v5, v10
	v_and_b32_e32 v5, 0xfffff, v5
	v_add_co_u32_e32 v10, vcc, v5, v10
	v_add_u32_e32 v14, 6, v48
	v_addc_co_u32_e32 v11, vcc, 0, v11, vcc
	v_cmp_ne_u32_e32 vcc, 0, v14
                                        ; implicit-def: $vgpr5
	s_and_saveexec_b64 s[24:25], vcc
	s_xor_b64 s[24:25], exec, s[24:25]
; %bb.1276:                             ;   in Loop: Header=BB2_124 Depth=2
	v_add_u32_e32 v5, 7, v48
	v_cmp_lt_u64_e32 vcc, s[50:51], v[10:11]
	v_cndmask_b32_e32 v5, v14, v5, vcc
	v_cndmask_b32_e64 v14, 0, 1, vcc
	v_lshrrev_b64 v[10:11], v14, v[10:11]
; %bb.1277:                             ;   in Loop: Header=BB2_124 Depth=2
	s_andn2_saveexec_b64 s[24:25], s[24:25]
; %bb.1278:                             ;   in Loop: Header=BB2_124 Depth=2
	v_bfe_u32 v5, v10, 23, 1
; %bb.1279:                             ;   in Loop: Header=BB2_124 Depth=2
	s_or_b64 exec, exec, s[24:25]
	v_lshrrev_b64 v[10:11], 20, v[10:11]
	v_cmp_gt_i32_e32 vcc, 16, v5
	v_cndmask_b32_e32 v11, 0, v11, vcc
	v_cndmask_b32_e32 v10, 7, v10, vcc
	v_cmp_eq_u32_e32 vcc, 0, v5
	v_min_i32_e32 v5, 15, v5
	v_cmp_eq_u64_e64 s[24:25], 0, v[10:11]
	v_lshlrev_b32_e32 v5, 3, v5
	v_and_or_b32 v5, v10, 7, v5
	s_and_b64 s[24:25], vcc, s[24:25]
	v_cndmask_b32_e64 v5, v5, 0, s[24:25]
	v_or_b32_e32 v5, v5, v3
.LBB2_1280:                             ;   in Loop: Header=BB2_124 Depth=2
	s_or_b64 exec, exec, s[64:65]
.LBB2_1281:                             ;   in Loop: Header=BB2_124 Depth=2
	s_or_b64 exec, exec, s[62:63]
                                        ; implicit-def: $vgpr14
                                        ; implicit-def: $vgpr10_vgpr11
.LBB2_1282:                             ;   in Loop: Header=BB2_124 Depth=2
	s_andn2_saveexec_b64 s[24:25], s[60:61]
; %bb.1283:                             ;   in Loop: Header=BB2_124 Depth=2
	v_or_b32_sdwa v3, v14, s75 dst_sel:DWORD dst_unused:UNUSED_PAD src0_sel:BYTE_3 src1_sel:DWORD
	v_cmp_eq_u64_e32 vcc, 0, v[10:11]
	v_cndmask_b32_e32 v5, v3, v5, vcc
; %bb.1284:                             ;   in Loop: Header=BB2_124 Depth=2
	s_or_b64 exec, exec, s[24:25]
	v_lshrrev_b16_e32 v14, 8, v54
	v_lshrrev_b16_e32 v10, 8, v2
	s_and_b64 vcc, exec, s[22:23]
	v_cmp_ne_u16_e64 s[24:25], 0, v14
	s_cbranch_vccnz .LBB2_1298
; %bb.1285:                             ;   in Loop: Header=BB2_124 Depth=2
	v_mov_b32_e32 v11, 0
	v_mov_b32_e32 v3, 0
	s_and_saveexec_b64 s[60:61], s[24:25]
	s_cbranch_execz .LBB2_1291
; %bb.1286:                             ;   in Loop: Header=BB2_124 Depth=2
	v_cmp_ne_u16_e32 vcc, s74, v14
	v_bfrev_b32_e32 v3, 1
	s_and_saveexec_b64 s[62:63], vcc
	s_cbranch_execz .LBB2_1290
; %bb.1287:                             ;   in Loop: Header=BB2_124 Depth=2
	v_and_b32_e32 v48, 0x7f, v14
	v_cmp_ne_u32_e32 vcc, s75, v48
	v_mov_b32_e32 v3, 0x7f800001
	s_and_saveexec_b64 s[64:65], vcc
	s_cbranch_execz .LBB2_1289
; %bb.1288:                             ;   in Loop: Header=BB2_124 Depth=2
	v_and_b32_e32 v3, 7, v14
	v_ffbh_u32_e32 v34, v3
	v_min_u32_e32 v39, 32, v34
	v_subrev_u32_e32 v34, 28, v39
	v_lshlrev_b64 v[34:35], v34, v[14:15]
	v_lshrrev_b32_e32 v38, 3, v48
	v_sub_u32_e32 v35, 29, v39
	v_and_b32_e32 v34, 7, v34
	v_cmp_gt_u32_e32 vcc, 8, v48
	v_cndmask_b32_e32 v35, v38, v35, vcc
	v_cndmask_b32_e32 v3, v3, v34, vcc
	v_lshlrev_b32_e32 v34, 16, v54
	v_bfrev_b32_e32 v38, 60
	v_lshlrev_b32_e32 v3, 20, v3
	v_and_b32_e32 v34, 0x80000000, v34
	v_lshl_add_u32 v35, v35, 23, v38
	v_or3_b32 v3, v34, v35, v3
.LBB2_1289:                             ;   in Loop: Header=BB2_124 Depth=2
	s_or_b64 exec, exec, s[64:65]
.LBB2_1290:                             ;   in Loop: Header=BB2_124 Depth=2
	s_or_b64 exec, exec, s[62:63]
.LBB2_1291:                             ;   in Loop: Header=BB2_124 Depth=2
	s_or_b64 exec, exec, s[60:61]
	v_cmp_ne_u16_e32 vcc, 0, v10
	s_and_saveexec_b64 s[60:61], vcc
	s_cbranch_execz .LBB2_1297
; %bb.1292:                             ;   in Loop: Header=BB2_124 Depth=2
	v_cmp_ne_u16_e32 vcc, s74, v10
	v_bfrev_b32_e32 v11, 1
	s_and_saveexec_b64 s[62:63], vcc
	s_cbranch_execz .LBB2_1296
; %bb.1293:                             ;   in Loop: Header=BB2_124 Depth=2
	v_and_b32_e32 v48, 0x7f, v10
	v_cmp_ne_u32_e32 vcc, s75, v48
	v_mov_b32_e32 v11, 0x7f800001
	s_and_saveexec_b64 s[64:65], vcc
	s_cbranch_execz .LBB2_1295
; %bb.1294:                             ;   in Loop: Header=BB2_124 Depth=2
	v_and_b32_e32 v11, 7, v10
	v_ffbh_u32_e32 v34, v11
	v_min_u32_e32 v39, 32, v34
	v_subrev_u32_e32 v34, 28, v39
	v_lshlrev_b64 v[34:35], v34, v[10:11]
	v_lshrrev_b32_e32 v38, 3, v48
	v_sub_u32_e32 v35, 29, v39
	v_and_b32_e32 v34, 7, v34
	v_cmp_gt_u32_e32 vcc, 8, v48
	v_cndmask_b32_e32 v35, v38, v35, vcc
	v_cndmask_b32_e32 v11, v11, v34, vcc
	v_lshlrev_b32_e32 v34, 16, v2
	v_bfrev_b32_e32 v38, 60
	v_lshlrev_b32_e32 v11, 20, v11
	v_and_b32_e32 v34, 0x80000000, v34
	v_lshl_add_u32 v35, v35, 23, v38
	v_or3_b32 v11, v34, v35, v11
.LBB2_1295:                             ;   in Loop: Header=BB2_124 Depth=2
	s_or_b64 exec, exec, s[64:65]
.LBB2_1296:                             ;   in Loop: Header=BB2_124 Depth=2
	s_or_b64 exec, exec, s[62:63]
.LBB2_1297:                             ;   in Loop: Header=BB2_124 Depth=2
	s_or_b64 exec, exec, s[60:61]
	v_max_f32_e32 v11, v11, v11
	v_max_f32_e32 v3, v3, v3
	;; [unrolled: 1-line block ×3, first 2 shown]
	s_branch .LBB2_1312
.LBB2_1298:                             ;   in Loop: Header=BB2_124 Depth=2
                                        ; implicit-def: $vgpr3
	s_cbranch_execz .LBB2_1312
; %bb.1299:                             ;   in Loop: Header=BB2_124 Depth=2
	v_mov_b32_e32 v11, 0
	v_mov_b32_e32 v3, 0
	s_and_saveexec_b64 s[60:61], s[24:25]
	s_cbranch_execz .LBB2_1305
; %bb.1300:                             ;   in Loop: Header=BB2_124 Depth=2
	v_cmp_ne_u16_e32 vcc, s74, v14
	v_bfrev_b32_e32 v3, 1
	s_and_saveexec_b64 s[24:25], vcc
	s_cbranch_execz .LBB2_1304
; %bb.1301:                             ;   in Loop: Header=BB2_124 Depth=2
	v_and_b32_e32 v48, 0x7f, v14
	v_cmp_ne_u32_e32 vcc, s75, v48
	v_mov_b32_e32 v3, 0x7f800001
	s_and_saveexec_b64 s[62:63], vcc
	s_cbranch_execz .LBB2_1303
; %bb.1302:                             ;   in Loop: Header=BB2_124 Depth=2
	v_and_b32_e32 v3, 7, v14
	v_ffbh_u32_e32 v34, v3
	v_min_u32_e32 v39, 32, v34
	v_subrev_u32_e32 v34, 28, v39
	v_lshlrev_b64 v[34:35], v34, v[14:15]
	v_lshrrev_b32_e32 v38, 3, v48
	v_sub_u32_e32 v14, 29, v39
	v_and_b32_e32 v34, 7, v34
	v_cmp_gt_u32_e32 vcc, 8, v48
	v_cndmask_b32_e32 v14, v38, v14, vcc
	v_cndmask_b32_e32 v3, v3, v34, vcc
	v_lshlrev_b32_e32 v34, 16, v54
	v_bfrev_b32_e32 v35, 60
	v_lshlrev_b32_e32 v3, 20, v3
	v_and_b32_e32 v34, 0x80000000, v34
	v_lshl_add_u32 v14, v14, 23, v35
	v_or3_b32 v3, v34, v14, v3
.LBB2_1303:                             ;   in Loop: Header=BB2_124 Depth=2
	s_or_b64 exec, exec, s[62:63]
.LBB2_1304:                             ;   in Loop: Header=BB2_124 Depth=2
	s_or_b64 exec, exec, s[24:25]
.LBB2_1305:                             ;   in Loop: Header=BB2_124 Depth=2
	s_or_b64 exec, exec, s[60:61]
	v_cmp_ne_u16_e32 vcc, 0, v10
	s_and_saveexec_b64 s[24:25], vcc
	s_cbranch_execz .LBB2_1311
; %bb.1306:                             ;   in Loop: Header=BB2_124 Depth=2
	v_cmp_ne_u16_e32 vcc, s74, v10
	v_bfrev_b32_e32 v11, 1
	s_and_saveexec_b64 s[60:61], vcc
	s_cbranch_execz .LBB2_1310
; %bb.1307:                             ;   in Loop: Header=BB2_124 Depth=2
	v_and_b32_e32 v14, 0x7f, v10
	v_cmp_ne_u32_e32 vcc, s75, v14
	v_mov_b32_e32 v11, 0x7f800001
	s_and_saveexec_b64 s[62:63], vcc
	s_cbranch_execz .LBB2_1309
; %bb.1308:                             ;   in Loop: Header=BB2_124 Depth=2
	v_and_b32_e32 v34, 7, v10
	v_ffbh_u32_e32 v11, v34
	v_min_u32_e32 v38, 32, v11
	v_subrev_u32_e32 v11, 28, v38
	v_lshlrev_b64 v[10:11], v11, v[10:11]
	v_lshrrev_b32_e32 v35, 3, v14
	v_sub_u32_e32 v11, 29, v38
	v_and_b32_e32 v10, 7, v10
	v_cmp_gt_u32_e32 vcc, 8, v14
	v_cndmask_b32_e32 v11, v35, v11, vcc
	v_cndmask_b32_e32 v10, v34, v10, vcc
	v_lshlrev_b32_e32 v2, 16, v2
	v_bfrev_b32_e32 v14, 60
	v_lshlrev_b32_e32 v10, 20, v10
	v_and_b32_e32 v2, 0x80000000, v2
	v_lshl_add_u32 v11, v11, 23, v14
	v_or3_b32 v11, v2, v11, v10
.LBB2_1309:                             ;   in Loop: Header=BB2_124 Depth=2
	s_or_b64 exec, exec, s[62:63]
.LBB2_1310:                             ;   in Loop: Header=BB2_124 Depth=2
	s_or_b64 exec, exec, s[60:61]
.LBB2_1311:                             ;   in Loop: Header=BB2_124 Depth=2
	s_or_b64 exec, exec, s[24:25]
	v_max_f32_e32 v2, v11, v11
	v_max_f32_e32 v3, v3, v3
	v_min_f32_e32 v3, v3, v2
.LBB2_1312:                             ;   in Loop: Header=BB2_124 Depth=2
	v_and_b32_sdwa v10, v3, s74 dst_sel:DWORD dst_unused:UNUSED_PAD src0_sel:BYTE_3 src1_sel:DWORD
	v_and_b32_e32 v34, 0x7f800000, v3
	v_mov_b32_e32 v35, v55
	v_and_b32_e32 v54, 0x7fffff, v3
	v_or_b32_e32 v11, 0x7e, v10
	v_cmp_ne_u64_e32 vcc, s[44:45], v[34:35]
	s_and_saveexec_b64 s[24:25], vcc
	s_xor_b64 s[60:61], exec, s[24:25]
	s_cbranch_execz .LBB2_1322
; %bb.1313:                             ;   in Loop: Header=BB2_124 Depth=2
	v_and_b32_e32 v34, 0x7fffffff, v3
	v_mov_b32_e32 v35, v55
	v_cmp_gt_u64_e32 vcc, s[46:47], v[34:35]
	s_and_saveexec_b64 s[62:63], vcc
	s_cbranch_execz .LBB2_1321
; %bb.1314:                             ;   in Loop: Header=BB2_124 Depth=2
	v_cmp_ne_u32_e32 vcc, 0, v3
	v_mov_b32_e32 v11, 0
	s_and_saveexec_b64 s[64:65], vcc
	s_cbranch_execz .LBB2_1320
; %bb.1315:                             ;   in Loop: Header=BB2_124 Depth=2
	v_bfe_u32 v2, v3, 23, 8
	v_sub_u32_e32 v11, 0x79, v2
	v_cmp_gt_u32_e32 vcc, s77, v2
	v_add_u32_e32 v3, 0xffffff81, v2
	v_cndmask_b32_e32 v11, 0, v11, vcc
	v_cmp_eq_u32_e32 vcc, 0, v2
	v_mov_b32_e32 v2, 0xffffff82
	v_cndmask_b32_e32 v48, v3, v2, vcc
	v_mov_b32_e32 v2, 0x78
	v_or_b32_e32 v14, 0x800000, v54
	v_cndmask_b32_e32 v11, v11, v2, vcc
	v_cndmask_b32_e32 v54, v14, v54, vcc
	v_add_u32_e32 v2, 20, v11
	v_lshlrev_b64 v[2:3], v2, -1
	v_add_u32_e32 v14, 19, v11
	v_lshrrev_b64 v[38:39], v11, v[54:55]
	v_not_b32_e32 v3, v3
	v_not_b32_e32 v2, v2
	v_lshlrev_b64 v[34:35], v14, 1
	v_lshrrev_b32_e32 v14, 23, v38
	v_and_b32_e32 v3, 0, v3
	v_and_b32_e32 v2, v54, v2
	v_add3_u32 v48, v11, v48, v14
	v_bfe_u32 v11, v38, 20, 1
	v_add_u32_e32 v11, -1, v11
	v_cmp_eq_u64_e32 vcc, v[2:3], v[34:35]
	v_cndmask_b32_e32 v2, 0, v11, vcc
	v_add_u32_e32 v2, v2, v38
	v_and_b32_e32 v2, 0xfffff, v2
	v_add_co_u32_e32 v2, vcc, v2, v38
	v_add_u32_e32 v14, 6, v48
	v_addc_co_u32_e32 v3, vcc, 0, v39, vcc
	v_cmp_ne_u32_e32 vcc, 0, v14
                                        ; implicit-def: $vgpr11
	s_and_saveexec_b64 s[24:25], vcc
	s_xor_b64 s[24:25], exec, s[24:25]
; %bb.1316:                             ;   in Loop: Header=BB2_124 Depth=2
	v_add_u32_e32 v11, 7, v48
	v_cmp_lt_u64_e32 vcc, s[50:51], v[2:3]
	v_cndmask_b32_e32 v11, v14, v11, vcc
	v_cndmask_b32_e64 v14, 0, 1, vcc
	v_lshrrev_b64 v[2:3], v14, v[2:3]
; %bb.1317:                             ;   in Loop: Header=BB2_124 Depth=2
	s_andn2_saveexec_b64 s[24:25], s[24:25]
; %bb.1318:                             ;   in Loop: Header=BB2_124 Depth=2
	v_bfe_u32 v11, v2, 23, 1
; %bb.1319:                             ;   in Loop: Header=BB2_124 Depth=2
	s_or_b64 exec, exec, s[24:25]
	v_lshrrev_b64 v[2:3], 20, v[2:3]
	v_cmp_gt_i32_e32 vcc, 16, v11
	v_cndmask_b32_e32 v3, 0, v3, vcc
	v_cndmask_b32_e32 v2, 7, v2, vcc
	v_cmp_eq_u64_e64 s[24:25], 0, v[2:3]
	v_min_i32_e32 v3, 15, v11
	v_cmp_eq_u32_e32 vcc, 0, v11
	v_lshlrev_b32_e32 v3, 3, v3
	v_and_or_b32 v2, v2, 7, v3
	s_and_b64 s[24:25], vcc, s[24:25]
	v_cndmask_b32_e64 v2, v2, 0, s[24:25]
	v_or_b32_e32 v11, v2, v10
.LBB2_1320:                             ;   in Loop: Header=BB2_124 Depth=2
	s_or_b64 exec, exec, s[64:65]
.LBB2_1321:                             ;   in Loop: Header=BB2_124 Depth=2
	s_or_b64 exec, exec, s[62:63]
                                        ; implicit-def: $vgpr3
.LBB2_1322:                             ;   in Loop: Header=BB2_124 Depth=2
	s_andn2_saveexec_b64 s[24:25], s[60:61]
; %bb.1323:                             ;   in Loop: Header=BB2_124 Depth=2
	v_or_b32_sdwa v2, v3, s75 dst_sel:DWORD dst_unused:UNUSED_PAD src0_sel:BYTE_3 src1_sel:DWORD
	v_cmp_eq_u64_e32 vcc, 0, v[54:55]
	v_cndmask_b32_e32 v11, v2, v11, vcc
; %bb.1324:                             ;   in Loop: Header=BB2_124 Depth=2
	s_or_b64 exec, exec, s[24:25]
	v_lshrrev_b32_e32 v10, 16, v17
	v_lshrrev_b32_e32 v2, 16, v13
	s_and_b64 vcc, exec, s[22:23]
	v_cmp_ne_u16_sdwa s[24:25], v10, v55 src0_sel:BYTE_0 src1_sel:DWORD
	s_cbranch_vccnz .LBB2_1338
; %bb.1325:                             ;   in Loop: Header=BB2_124 Depth=2
	v_mov_b32_e32 v14, 0
	v_mov_b32_e32 v3, 0
	s_and_saveexec_b64 s[60:61], s[24:25]
	s_cbranch_execz .LBB2_1331
; %bb.1326:                             ;   in Loop: Header=BB2_124 Depth=2
	v_cmp_ne_u16_sdwa vcc, v10, s74 src0_sel:BYTE_0 src1_sel:DWORD
	v_bfrev_b32_e32 v3, 1
	s_and_saveexec_b64 s[62:63], vcc
	s_cbranch_execz .LBB2_1330
; %bb.1327:                             ;   in Loop: Header=BB2_124 Depth=2
	v_bfe_u32 v48, v17, 16, 7
	v_cmp_ne_u32_e32 vcc, s75, v48
	v_mov_b32_e32 v3, 0x7f800001
	s_and_saveexec_b64 s[64:65], vcc
	s_cbranch_execz .LBB2_1329
; %bb.1328:                             ;   in Loop: Header=BB2_124 Depth=2
	v_and_b32_e32 v3, 7, v10
	v_ffbh_u32_e32 v34, v3
	v_min_u32_e32 v39, 32, v34
	v_subrev_u32_e32 v34, 28, v39
	v_lshlrev_b64 v[34:35], v34, v[10:11]
	v_lshrrev_b32_e32 v38, 3, v48
	v_sub_u32_e32 v35, 29, v39
	v_and_b32_e32 v34, 7, v34
	v_cmp_gt_u32_e32 vcc, 8, v48
	v_cndmask_b32_e32 v35, v38, v35, vcc
	v_cndmask_b32_e32 v3, v3, v34, vcc
	v_lshlrev_b32_e32 v34, 24, v10
	v_bfrev_b32_e32 v38, 60
	v_lshlrev_b32_e32 v3, 20, v3
	v_and_b32_e32 v34, 0x80000000, v34
	v_lshl_add_u32 v35, v35, 23, v38
	v_or3_b32 v3, v34, v35, v3
.LBB2_1329:                             ;   in Loop: Header=BB2_124 Depth=2
	s_or_b64 exec, exec, s[64:65]
.LBB2_1330:                             ;   in Loop: Header=BB2_124 Depth=2
	s_or_b64 exec, exec, s[62:63]
.LBB2_1331:                             ;   in Loop: Header=BB2_124 Depth=2
	s_or_b64 exec, exec, s[60:61]
	v_cmp_ne_u16_sdwa vcc, v2, v55 src0_sel:BYTE_0 src1_sel:DWORD
	s_and_saveexec_b64 s[60:61], vcc
	s_cbranch_execz .LBB2_1337
; %bb.1332:                             ;   in Loop: Header=BB2_124 Depth=2
	v_cmp_ne_u16_sdwa vcc, v2, s74 src0_sel:BYTE_0 src1_sel:DWORD
	v_bfrev_b32_e32 v14, 1
	s_and_saveexec_b64 s[62:63], vcc
	s_cbranch_execz .LBB2_1336
; %bb.1333:                             ;   in Loop: Header=BB2_124 Depth=2
	v_bfe_u32 v48, v13, 16, 7
	v_cmp_ne_u32_e32 vcc, s75, v48
	v_mov_b32_e32 v14, 0x7f800001
	s_and_saveexec_b64 s[64:65], vcc
	s_cbranch_execz .LBB2_1335
; %bb.1334:                             ;   in Loop: Header=BB2_124 Depth=2
	v_and_b32_e32 v14, 7, v2
	v_ffbh_u32_e32 v34, v14
	v_min_u32_e32 v39, 32, v34
	v_subrev_u32_e32 v34, 28, v39
	v_lshlrev_b64 v[34:35], v34, v[2:3]
	v_lshrrev_b32_e32 v38, 3, v48
	v_sub_u32_e32 v35, 29, v39
	v_and_b32_e32 v34, 7, v34
	v_cmp_gt_u32_e32 vcc, 8, v48
	v_cndmask_b32_e32 v35, v38, v35, vcc
	v_cndmask_b32_e32 v14, v14, v34, vcc
	v_lshlrev_b32_e32 v34, 24, v2
	v_bfrev_b32_e32 v38, 60
	v_lshlrev_b32_e32 v14, 20, v14
	v_and_b32_e32 v34, 0x80000000, v34
	v_lshl_add_u32 v35, v35, 23, v38
	v_or3_b32 v14, v34, v35, v14
.LBB2_1335:                             ;   in Loop: Header=BB2_124 Depth=2
	s_or_b64 exec, exec, s[64:65]
.LBB2_1336:                             ;   in Loop: Header=BB2_124 Depth=2
	s_or_b64 exec, exec, s[62:63]
.LBB2_1337:                             ;   in Loop: Header=BB2_124 Depth=2
	s_or_b64 exec, exec, s[60:61]
	v_max_f32_e32 v14, v14, v14
	v_max_f32_e32 v3, v3, v3
	v_max_f32_e32 v3, v3, v14
	s_branch .LBB2_1352
.LBB2_1338:                             ;   in Loop: Header=BB2_124 Depth=2
                                        ; implicit-def: $vgpr3
	s_cbranch_execz .LBB2_1352
; %bb.1339:                             ;   in Loop: Header=BB2_124 Depth=2
	v_mov_b32_e32 v14, 0
	v_mov_b32_e32 v3, 0
	s_and_saveexec_b64 s[60:61], s[24:25]
	s_cbranch_execz .LBB2_1345
; %bb.1340:                             ;   in Loop: Header=BB2_124 Depth=2
	v_cmp_ne_u16_sdwa vcc, v10, s74 src0_sel:BYTE_0 src1_sel:DWORD
	v_bfrev_b32_e32 v3, 1
	s_and_saveexec_b64 s[24:25], vcc
	s_cbranch_execz .LBB2_1344
; %bb.1341:                             ;   in Loop: Header=BB2_124 Depth=2
	v_bfe_u32 v48, v17, 16, 7
	v_cmp_ne_u32_e32 vcc, s75, v48
	v_mov_b32_e32 v3, 0x7f800001
	s_and_saveexec_b64 s[62:63], vcc
	s_cbranch_execz .LBB2_1343
; %bb.1342:                             ;   in Loop: Header=BB2_124 Depth=2
	v_and_b32_e32 v3, 7, v10
	v_ffbh_u32_e32 v34, v3
	v_min_u32_e32 v39, 32, v34
	v_subrev_u32_e32 v34, 28, v39
	v_lshlrev_b64 v[34:35], v34, v[10:11]
	v_lshrrev_b32_e32 v38, 3, v48
	v_sub_u32_e32 v35, 29, v39
	v_and_b32_e32 v34, 7, v34
	v_cmp_gt_u32_e32 vcc, 8, v48
	v_cndmask_b32_e32 v35, v38, v35, vcc
	v_cndmask_b32_e32 v3, v3, v34, vcc
	v_lshlrev_b32_e32 v10, 24, v10
	v_bfrev_b32_e32 v34, 60
	v_lshlrev_b32_e32 v3, 20, v3
	v_and_b32_e32 v10, 0x80000000, v10
	v_lshl_add_u32 v34, v35, 23, v34
	v_or3_b32 v3, v10, v34, v3
.LBB2_1343:                             ;   in Loop: Header=BB2_124 Depth=2
	s_or_b64 exec, exec, s[62:63]
.LBB2_1344:                             ;   in Loop: Header=BB2_124 Depth=2
	s_or_b64 exec, exec, s[24:25]
.LBB2_1345:                             ;   in Loop: Header=BB2_124 Depth=2
	s_or_b64 exec, exec, s[60:61]
	v_cmp_ne_u16_sdwa vcc, v2, v55 src0_sel:BYTE_0 src1_sel:DWORD
	s_and_saveexec_b64 s[24:25], vcc
	s_cbranch_execz .LBB2_1351
; %bb.1346:                             ;   in Loop: Header=BB2_124 Depth=2
	v_cmp_ne_u16_sdwa vcc, v2, s74 src0_sel:BYTE_0 src1_sel:DWORD
	v_bfrev_b32_e32 v14, 1
	s_and_saveexec_b64 s[60:61], vcc
	s_cbranch_execz .LBB2_1350
; %bb.1347:                             ;   in Loop: Header=BB2_124 Depth=2
	v_bfe_u32 v10, v13, 16, 7
	v_cmp_ne_u32_e32 vcc, s75, v10
	v_mov_b32_e32 v14, 0x7f800001
	s_and_saveexec_b64 s[62:63], vcc
	s_cbranch_execz .LBB2_1349
; %bb.1348:                             ;   in Loop: Header=BB2_124 Depth=2
	v_and_b32_e32 v14, 7, v2
	v_ffbh_u32_e32 v34, v14
	v_min_u32_e32 v39, 32, v34
	v_subrev_u32_e32 v34, 28, v39
	v_lshlrev_b64 v[34:35], v34, v[2:3]
	v_lshrrev_b32_e32 v38, 3, v10
	v_sub_u32_e32 v35, 29, v39
	v_and_b32_e32 v34, 7, v34
	v_cmp_gt_u32_e32 vcc, 8, v10
	v_cndmask_b32_e32 v10, v38, v35, vcc
	v_cndmask_b32_e32 v14, v14, v34, vcc
	v_lshlrev_b32_e32 v2, 24, v2
	v_bfrev_b32_e32 v34, 60
	v_lshlrev_b32_e32 v14, 20, v14
	v_and_b32_e32 v2, 0x80000000, v2
	v_lshl_add_u32 v10, v10, 23, v34
	v_or3_b32 v14, v2, v10, v14
.LBB2_1349:                             ;   in Loop: Header=BB2_124 Depth=2
	s_or_b64 exec, exec, s[62:63]
.LBB2_1350:                             ;   in Loop: Header=BB2_124 Depth=2
	s_or_b64 exec, exec, s[60:61]
.LBB2_1351:                             ;   in Loop: Header=BB2_124 Depth=2
	s_or_b64 exec, exec, s[24:25]
	v_max_f32_e32 v2, v14, v14
	v_max_f32_e32 v3, v3, v3
	v_min_f32_e32 v3, v3, v2
.LBB2_1352:                             ;   in Loop: Header=BB2_124 Depth=2
	v_and_b32_sdwa v10, v3, s74 dst_sel:DWORD dst_unused:UNUSED_PAD src0_sel:BYTE_3 src1_sel:DWORD
	v_and_b32_e32 v34, 0x7f800000, v3
	v_mov_b32_e32 v35, v55
	v_and_b32_e32 v54, 0x7fffff, v3
	v_or_b32_e32 v14, 0x7e, v10
	v_cmp_ne_u64_e32 vcc, s[44:45], v[34:35]
	s_and_saveexec_b64 s[24:25], vcc
	s_xor_b64 s[60:61], exec, s[24:25]
	s_cbranch_execz .LBB2_1362
; %bb.1353:                             ;   in Loop: Header=BB2_124 Depth=2
	v_and_b32_e32 v34, 0x7fffffff, v3
	v_mov_b32_e32 v35, v55
	v_cmp_gt_u64_e32 vcc, s[46:47], v[34:35]
	s_and_saveexec_b64 s[62:63], vcc
	s_cbranch_execz .LBB2_1361
; %bb.1354:                             ;   in Loop: Header=BB2_124 Depth=2
	v_cmp_ne_u32_e32 vcc, 0, v3
	v_mov_b32_e32 v14, 0
	s_and_saveexec_b64 s[64:65], vcc
	s_cbranch_execz .LBB2_1360
; %bb.1355:                             ;   in Loop: Header=BB2_124 Depth=2
	v_bfe_u32 v2, v3, 23, 8
	v_sub_u32_e32 v14, 0x79, v2
	v_cmp_gt_u32_e32 vcc, s77, v2
	v_add_u32_e32 v3, 0xffffff81, v2
	v_cndmask_b32_e32 v14, 0, v14, vcc
	v_cmp_eq_u32_e32 vcc, 0, v2
	v_mov_b32_e32 v2, 0xffffff82
	v_cndmask_b32_e32 v48, v3, v2, vcc
	v_mov_b32_e32 v2, 0x78
	v_or_b32_e32 v34, 0x800000, v54
	v_cndmask_b32_e32 v14, v14, v2, vcc
	v_cndmask_b32_e32 v54, v34, v54, vcc
	v_add_u32_e32 v2, 20, v14
	v_lshlrev_b64 v[2:3], v2, -1
	v_lshrrev_b64 v[38:39], v14, v[54:55]
	v_not_b32_e32 v3, v3
	v_not_b32_e32 v2, v2
	v_add_u32_e32 v34, 19, v14
	v_lshrrev_b32_e32 v49, 23, v38
	v_and_b32_e32 v3, 0, v3
	v_and_b32_e32 v2, v54, v2
	v_lshlrev_b64 v[34:35], v34, 1
	v_add3_u32 v48, v14, v48, v49
	v_bfe_u32 v14, v38, 20, 1
	v_add_u32_e32 v14, -1, v14
	v_cmp_eq_u64_e32 vcc, v[2:3], v[34:35]
	v_cndmask_b32_e32 v2, 0, v14, vcc
	v_add_u32_e32 v2, v2, v38
	v_and_b32_e32 v2, 0xfffff, v2
	v_add_co_u32_e32 v2, vcc, v2, v38
	v_add_u32_e32 v54, 6, v48
	v_addc_co_u32_e32 v3, vcc, 0, v39, vcc
	v_cmp_ne_u32_e32 vcc, 0, v54
                                        ; implicit-def: $vgpr14
	s_and_saveexec_b64 s[24:25], vcc
	s_xor_b64 s[24:25], exec, s[24:25]
; %bb.1356:                             ;   in Loop: Header=BB2_124 Depth=2
	v_cmp_lt_u64_e32 vcc, s[50:51], v[2:3]
	v_add_u32_e32 v14, 7, v48
	v_cndmask_b32_e64 v34, 0, 1, vcc
	v_cndmask_b32_e32 v14, v54, v14, vcc
	v_lshrrev_b64 v[2:3], v34, v[2:3]
; %bb.1357:                             ;   in Loop: Header=BB2_124 Depth=2
	s_andn2_saveexec_b64 s[24:25], s[24:25]
; %bb.1358:                             ;   in Loop: Header=BB2_124 Depth=2
	v_bfe_u32 v14, v2, 23, 1
; %bb.1359:                             ;   in Loop: Header=BB2_124 Depth=2
	s_or_b64 exec, exec, s[24:25]
	v_lshrrev_b64 v[2:3], 20, v[2:3]
	v_cmp_gt_i32_e32 vcc, 16, v14
	v_cndmask_b32_e32 v3, 0, v3, vcc
	v_cndmask_b32_e32 v2, 7, v2, vcc
	v_cmp_eq_u64_e64 s[24:25], 0, v[2:3]
	v_min_i32_e32 v3, 15, v14
	v_lshlrev_b32_e32 v3, 3, v3
	v_cmp_eq_u32_e32 vcc, 0, v14
	v_and_b32_e32 v3, 0xf8, v3
	v_and_or_b32 v2, v2, 7, v3
	s_and_b64 s[24:25], vcc, s[24:25]
	v_cndmask_b32_e64 v2, v2, 0, s[24:25]
	v_or_b32_e32 v14, v2, v10
.LBB2_1360:                             ;   in Loop: Header=BB2_124 Depth=2
	s_or_b64 exec, exec, s[64:65]
.LBB2_1361:                             ;   in Loop: Header=BB2_124 Depth=2
	s_or_b64 exec, exec, s[62:63]
                                        ; implicit-def: $vgpr3
.LBB2_1362:                             ;   in Loop: Header=BB2_124 Depth=2
	s_andn2_saveexec_b64 s[24:25], s[60:61]
; %bb.1363:                             ;   in Loop: Header=BB2_124 Depth=2
	v_or_b32_sdwa v2, v3, s75 dst_sel:DWORD dst_unused:UNUSED_PAD src0_sel:BYTE_3 src1_sel:DWORD
	v_cmp_eq_u64_e32 vcc, 0, v[54:55]
	v_cndmask_b32_e32 v14, v2, v14, vcc
; %bb.1364:                             ;   in Loop: Header=BB2_124 Depth=2
	s_or_b64 exec, exec, s[24:25]
	v_accvgpr_read_b32 v35, a11
	v_lshrrev_b32_e32 v10, 24, v17
	v_lshrrev_b32_e32 v2, 24, v13
	s_and_b64 vcc, exec, s[22:23]
	v_cmp_lt_u64_e64 s[22:23], s[48:49], v[16:17]
	v_accvgpr_read_b32 v34, a10
	s_cbranch_vccnz .LBB2_1378
; %bb.1365:                             ;   in Loop: Header=BB2_124 Depth=2
	v_mov_b32_e32 v16, 0
	v_mov_b32_e32 v3, 0
	s_and_saveexec_b64 s[24:25], s[22:23]
	s_cbranch_execz .LBB2_1371
; %bb.1366:                             ;   in Loop: Header=BB2_124 Depth=2
	v_cmp_ne_u32_e32 vcc, s74, v10
	v_bfrev_b32_e32 v3, 1
	s_and_saveexec_b64 s[60:61], vcc
	s_cbranch_execz .LBB2_1370
; %bb.1367:                             ;   in Loop: Header=BB2_124 Depth=2
	v_bfe_u32 v48, v17, 24, 7
	v_cmp_ne_u32_e32 vcc, s75, v48
	v_mov_b32_e32 v3, 0x7f800001
	s_and_saveexec_b64 s[62:63], vcc
	s_cbranch_execz .LBB2_1369
; %bb.1368:                             ;   in Loop: Header=BB2_124 Depth=2
	v_and_b32_e32 v3, 7, v10
	v_ffbh_u32_e32 v34, v3
	v_min_u32_e32 v39, 32, v34
	v_subrev_u32_e32 v34, 28, v39
	v_lshlrev_b64 v[34:35], v34, v[10:11]
	v_lshrrev_b32_e32 v38, 3, v48
	v_sub_u32_e32 v35, 29, v39
	v_and_b32_e32 v34, 7, v34
	v_cmp_gt_u32_e32 vcc, 8, v48
	v_cndmask_b32_e32 v35, v38, v35, vcc
	v_cndmask_b32_e32 v3, v3, v34, vcc
	v_lshlrev_b32_e32 v34, 24, v10
	v_bfrev_b32_e32 v38, 60
	v_lshlrev_b32_e32 v3, 20, v3
	v_and_b32_e32 v34, 0x80000000, v34
	v_lshl_add_u32 v35, v35, 23, v38
	v_or3_b32 v3, v34, v35, v3
	v_accvgpr_read_b32 v35, a11
	v_accvgpr_read_b32 v34, a10
.LBB2_1369:                             ;   in Loop: Header=BB2_124 Depth=2
	s_or_b64 exec, exec, s[62:63]
.LBB2_1370:                             ;   in Loop: Header=BB2_124 Depth=2
	s_or_b64 exec, exec, s[60:61]
.LBB2_1371:                             ;   in Loop: Header=BB2_124 Depth=2
	s_or_b64 exec, exec, s[24:25]
	v_cmp_lt_u64_e32 vcc, s[48:49], v[12:13]
	s_and_saveexec_b64 s[24:25], vcc
	s_cbranch_execz .LBB2_1377
; %bb.1372:                             ;   in Loop: Header=BB2_124 Depth=2
	v_cmp_ne_u32_e32 vcc, s74, v2
	v_bfrev_b32_e32 v16, 1
	s_and_saveexec_b64 s[60:61], vcc
	s_cbranch_execz .LBB2_1376
; %bb.1373:                             ;   in Loop: Header=BB2_124 Depth=2
	v_bfe_u32 v48, v13, 24, 7
	v_cmp_ne_u32_e32 vcc, s75, v48
	v_mov_b32_e32 v16, 0x7f800001
	s_and_saveexec_b64 s[62:63], vcc
	s_cbranch_execz .LBB2_1375
; %bb.1374:                             ;   in Loop: Header=BB2_124 Depth=2
	v_and_b32_e32 v16, 7, v2
	v_ffbh_u32_e32 v34, v16
	v_min_u32_e32 v39, 32, v34
	v_subrev_u32_e32 v34, 28, v39
	v_lshlrev_b64 v[34:35], v34, v[2:3]
	v_lshrrev_b32_e32 v38, 3, v48
	v_sub_u32_e32 v35, 29, v39
	v_and_b32_e32 v34, 7, v34
	v_cmp_gt_u32_e32 vcc, 8, v48
	v_cndmask_b32_e32 v35, v38, v35, vcc
	v_cndmask_b32_e32 v16, v16, v34, vcc
	v_lshlrev_b32_e32 v34, 24, v2
	v_bfrev_b32_e32 v38, 60
	v_lshlrev_b32_e32 v16, 20, v16
	v_and_b32_e32 v34, 0x80000000, v34
	v_lshl_add_u32 v35, v35, 23, v38
	v_or3_b32 v16, v34, v35, v16
	v_accvgpr_read_b32 v35, a11
	v_accvgpr_read_b32 v34, a10
.LBB2_1375:                             ;   in Loop: Header=BB2_124 Depth=2
	s_or_b64 exec, exec, s[62:63]
.LBB2_1376:                             ;   in Loop: Header=BB2_124 Depth=2
	s_or_b64 exec, exec, s[60:61]
.LBB2_1377:                             ;   in Loop: Header=BB2_124 Depth=2
	s_or_b64 exec, exec, s[24:25]
	v_max_f32_e32 v16, v16, v16
	v_max_f32_e32 v3, v3, v3
	;; [unrolled: 1-line block ×3, first 2 shown]
	s_branch .LBB2_1392
.LBB2_1378:                             ;   in Loop: Header=BB2_124 Depth=2
                                        ; implicit-def: $vgpr3
	s_cbranch_execz .LBB2_1392
; %bb.1379:                             ;   in Loop: Header=BB2_124 Depth=2
	v_mov_b32_e32 v16, 0
	v_mov_b32_e32 v3, 0
	s_and_saveexec_b64 s[24:25], s[22:23]
	s_cbranch_execz .LBB2_1385
; %bb.1380:                             ;   in Loop: Header=BB2_124 Depth=2
	v_cmp_ne_u32_e32 vcc, s74, v10
	v_bfrev_b32_e32 v3, 1
	s_and_saveexec_b64 s[22:23], vcc
	s_cbranch_execz .LBB2_1384
; %bb.1381:                             ;   in Loop: Header=BB2_124 Depth=2
	v_bfe_u32 v17, v17, 24, 7
	v_cmp_ne_u32_e32 vcc, s75, v17
	v_mov_b32_e32 v3, 0x7f800001
	s_and_saveexec_b64 s[60:61], vcc
	s_cbranch_execz .LBB2_1383
; %bb.1382:                             ;   in Loop: Header=BB2_124 Depth=2
	v_and_b32_e32 v3, 7, v10
	v_ffbh_u32_e32 v34, v3
	v_min_u32_e32 v39, 32, v34
	v_subrev_u32_e32 v34, 28, v39
	v_lshlrev_b64 v[34:35], v34, v[10:11]
	v_lshrrev_b32_e32 v38, 3, v17
	v_sub_u32_e32 v35, 29, v39
	v_and_b32_e32 v34, 7, v34
	v_cmp_gt_u32_e32 vcc, 8, v17
	v_cndmask_b32_e32 v17, v38, v35, vcc
	v_cndmask_b32_e32 v3, v3, v34, vcc
	v_lshlrev_b32_e32 v10, 24, v10
	v_bfrev_b32_e32 v38, 60
	v_accvgpr_read_b32 v35, a11
	v_lshlrev_b32_e32 v3, 20, v3
	v_and_b32_e32 v10, 0x80000000, v10
	v_lshl_add_u32 v17, v17, 23, v38
	v_accvgpr_read_b32 v34, a10
	v_or3_b32 v3, v10, v17, v3
.LBB2_1383:                             ;   in Loop: Header=BB2_124 Depth=2
	s_or_b64 exec, exec, s[60:61]
.LBB2_1384:                             ;   in Loop: Header=BB2_124 Depth=2
	s_or_b64 exec, exec, s[22:23]
.LBB2_1385:                             ;   in Loop: Header=BB2_124 Depth=2
	s_or_b64 exec, exec, s[24:25]
	v_cmp_lt_u64_e32 vcc, s[48:49], v[12:13]
	s_and_saveexec_b64 s[22:23], vcc
	s_cbranch_execz .LBB2_1391
; %bb.1386:                             ;   in Loop: Header=BB2_124 Depth=2
	v_cmp_ne_u32_e32 vcc, s74, v2
	v_bfrev_b32_e32 v16, 1
	s_and_saveexec_b64 s[24:25], vcc
	s_cbranch_execz .LBB2_1390
; %bb.1387:                             ;   in Loop: Header=BB2_124 Depth=2
	v_bfe_u32 v10, v13, 24, 7
	v_cmp_ne_u32_e32 vcc, s75, v10
	v_mov_b32_e32 v16, 0x7f800001
	s_and_saveexec_b64 s[60:61], vcc
	s_cbranch_execz .LBB2_1389
; %bb.1388:                             ;   in Loop: Header=BB2_124 Depth=2
	v_and_b32_e32 v16, 7, v2
	v_ffbh_u32_e32 v12, v16
	v_min_u32_e32 v34, 32, v12
	v_subrev_u32_e32 v12, 28, v34
	v_lshlrev_b64 v[12:13], v12, v[2:3]
	v_lshrrev_b32_e32 v17, 3, v10
	v_sub_u32_e32 v13, 29, v34
	v_and_b32_e32 v12, 7, v12
	v_cmp_gt_u32_e32 vcc, 8, v10
	v_cndmask_b32_e32 v10, v17, v13, vcc
	v_cndmask_b32_e32 v12, v16, v12, vcc
	v_lshlrev_b32_e32 v2, 24, v2
	v_bfrev_b32_e32 v13, 60
	v_accvgpr_read_b32 v35, a11
	v_lshlrev_b32_e32 v12, 20, v12
	v_and_b32_e32 v2, 0x80000000, v2
	v_lshl_add_u32 v10, v10, 23, v13
	v_accvgpr_read_b32 v34, a10
	v_or3_b32 v16, v2, v10, v12
.LBB2_1389:                             ;   in Loop: Header=BB2_124 Depth=2
	s_or_b64 exec, exec, s[60:61]
.LBB2_1390:                             ;   in Loop: Header=BB2_124 Depth=2
	s_or_b64 exec, exec, s[24:25]
.LBB2_1391:                             ;   in Loop: Header=BB2_124 Depth=2
	s_or_b64 exec, exec, s[22:23]
	v_max_f32_e32 v2, v16, v16
	v_max_f32_e32 v3, v3, v3
	v_min_f32_e32 v3, v3, v2
.LBB2_1392:                             ;   in Loop: Header=BB2_124 Depth=2
	v_and_b32_sdwa v10, v3, s74 dst_sel:DWORD dst_unused:UNUSED_PAD src0_sel:BYTE_3 src1_sel:DWORD
	v_and_b32_e32 v12, 0x7f800000, v3
	v_mov_b32_e32 v13, v55
	v_and_b32_e32 v54, 0x7fffff, v3
	v_or_b32_e32 v2, 0x7e, v10
	v_cmp_ne_u64_e32 vcc, s[44:45], v[12:13]
	s_and_saveexec_b64 s[22:23], vcc
	s_xor_b64 s[24:25], exec, s[22:23]
	s_cbranch_execz .LBB2_1402
; %bb.1393:                             ;   in Loop: Header=BB2_124 Depth=2
	v_and_b32_e32 v12, 0x7fffffff, v3
	v_mov_b32_e32 v13, v55
	v_cmp_gt_u64_e32 vcc, s[46:47], v[12:13]
	s_and_saveexec_b64 s[60:61], vcc
	s_cbranch_execz .LBB2_1401
; %bb.1394:                             ;   in Loop: Header=BB2_124 Depth=2
	v_cmp_ne_u32_e32 vcc, 0, v3
	v_mov_b32_e32 v2, 0
	s_and_saveexec_b64 s[62:63], vcc
	s_cbranch_execz .LBB2_1400
; %bb.1395:                             ;   in Loop: Header=BB2_124 Depth=2
	v_bfe_u32 v2, v3, 23, 8
	v_sub_u32_e32 v12, 0x79, v2
	v_cmp_gt_u32_e32 vcc, s77, v2
	v_add_u32_e32 v3, 0xffffff81, v2
	v_cndmask_b32_e32 v12, 0, v12, vcc
	v_cmp_eq_u32_e32 vcc, 0, v2
	v_mov_b32_e32 v2, 0xffffff82
	v_cndmask_b32_e32 v16, v3, v2, vcc
	v_mov_b32_e32 v2, 0x78
	v_or_b32_e32 v13, 0x800000, v54
	v_cndmask_b32_e32 v12, v12, v2, vcc
	v_cndmask_b32_e32 v54, v13, v54, vcc
	v_add_u32_e32 v2, 20, v12
	v_lshlrev_b64 v[2:3], v2, -1
	v_add_u32_e32 v13, 19, v12
	v_lshrrev_b64 v[38:39], v12, v[54:55]
	v_not_b32_e32 v3, v3
	v_not_b32_e32 v2, v2
	v_lshlrev_b64 v[34:35], v13, 1
	v_lshrrev_b32_e32 v13, 23, v38
	v_and_b32_e32 v3, 0, v3
	v_and_b32_e32 v2, v54, v2
	v_add3_u32 v16, v12, v16, v13
	v_bfe_u32 v12, v38, 20, 1
	v_add_u32_e32 v12, -1, v12
	v_cmp_eq_u64_e32 vcc, v[2:3], v[34:35]
	v_cndmask_b32_e32 v2, 0, v12, vcc
	v_add_u32_e32 v2, v2, v38
	v_and_b32_e32 v2, 0xfffff, v2
	v_add_co_u32_e32 v2, vcc, v2, v38
	v_add_u32_e32 v13, 6, v16
	v_addc_co_u32_e32 v3, vcc, 0, v39, vcc
	v_cmp_ne_u32_e32 vcc, 0, v13
                                        ; implicit-def: $vgpr12
	s_and_saveexec_b64 s[22:23], vcc
	s_xor_b64 s[22:23], exec, s[22:23]
; %bb.1396:                             ;   in Loop: Header=BB2_124 Depth=2
	v_add_u32_e32 v12, 7, v16
	v_cmp_lt_u64_e32 vcc, s[50:51], v[2:3]
	v_cndmask_b32_e32 v12, v13, v12, vcc
	v_cndmask_b32_e64 v13, 0, 1, vcc
	v_lshrrev_b64 v[2:3], v13, v[2:3]
; %bb.1397:                             ;   in Loop: Header=BB2_124 Depth=2
	s_andn2_saveexec_b64 s[22:23], s[22:23]
; %bb.1398:                             ;   in Loop: Header=BB2_124 Depth=2
	v_bfe_u32 v12, v2, 23, 1
; %bb.1399:                             ;   in Loop: Header=BB2_124 Depth=2
	s_or_b64 exec, exec, s[22:23]
	v_lshrrev_b64 v[2:3], 20, v[2:3]
	v_cmp_gt_i32_e32 vcc, 16, v12
	v_cndmask_b32_e32 v3, 0, v3, vcc
	v_cndmask_b32_e32 v2, 7, v2, vcc
	v_cmp_eq_u64_e64 s[22:23], 0, v[2:3]
	v_min_i32_e32 v3, 15, v12
	v_lshlrev_b32_e32 v3, 3, v3
	v_cmp_eq_u32_e32 vcc, 0, v12
	v_and_b32_e32 v3, 0xf8, v3
	v_and_or_b32 v2, v2, 7, v3
	s_and_b64 s[22:23], vcc, s[22:23]
	v_cndmask_b32_e64 v2, v2, 0, s[22:23]
	v_accvgpr_read_b32 v35, a11
	v_or_b32_e32 v2, v2, v10
	v_accvgpr_read_b32 v34, a10
.LBB2_1400:                             ;   in Loop: Header=BB2_124 Depth=2
	s_or_b64 exec, exec, s[62:63]
.LBB2_1401:                             ;   in Loop: Header=BB2_124 Depth=2
	s_or_b64 exec, exec, s[60:61]
                                        ; implicit-def: $vgpr3
.LBB2_1402:                             ;   in Loop: Header=BB2_124 Depth=2
	s_andn2_saveexec_b64 s[22:23], s[24:25]
	s_cbranch_execz .LBB2_123
; %bb.1403:                             ;   in Loop: Header=BB2_124 Depth=2
	v_or_b32_sdwa v3, v3, s75 dst_sel:DWORD dst_unused:UNUSED_PAD src0_sel:BYTE_3 src1_sel:DWORD
	v_cmp_eq_u64_e32 vcc, 0, v[54:55]
	v_cndmask_b32_e32 v2, v3, v2, vcc
	s_branch .LBB2_123
.LBB2_1404:                             ;   in Loop: Header=BB2_49 Depth=1
	s_or_b64 exec, exec, s[56:57]
	v_accvgpr_read_b32 v41, a5
	v_accvgpr_read_b32 v43, a21
	;; [unrolled: 1-line block ×11, first 2 shown]
.LBB2_1405:                             ;   in Loop: Header=BB2_49 Depth=1
	s_or_b64 exec, exec, s[26:27]
	v_accvgpr_read_b32 v0, a37
	v_and_b32_e32 v3, 0x3ffff800, v0
	v_cmp_ne_u32_e32 vcc, v3, v0
	s_mov_b64 s[22:23], 0
	v_mov_b32_e32 v17, 0
                                        ; implicit-def: $vgpr18
                                        ; implicit-def: $vgpr19
                                        ; implicit-def: $vgpr2
	s_and_saveexec_b64 s[26:27], vcc
	s_cbranch_execz .LBB2_2053
; %bb.1406:                             ;   in Loop: Header=BB2_49 Depth=1
	v_lshlrev_b32_e32 v1, 6, v57
	v_accvgpr_read_b32 v2, a23
	v_sub_u32_e32 v1, v2, v1
	v_ashrrev_i32_e32 v2, 31, v1
	v_lshrrev_b32_e32 v2, 26, v2
	v_add_u32_e32 v2, v1, v2
	v_accvgpr_read_b32 v10, a37
	v_ashrrev_i32_e32 v4, 6, v2
	v_and_b32_e32 v2, 0xffffffc0, v2
	v_and_b32_e32 v0, 0x7ff, v10
	v_sub_u32_e32 v1, v1, v2
	v_bfe_u32 v5, v10, 10, 1
	v_and_b32_e32 v10, 0x400, v10
	v_lshlrev_b32_e32 v2, 4, v1
	v_sub_u32_e32 v31, v0, v10
	v_lshl_add_u32 v2, v4, 10, v2
	v_cmp_lt_i32_e64 s[22:23], 15, v31
	v_sub_u32_e32 v34, v0, v2
	v_addc_co_u32_e64 v0, vcc, 0, v5, s[22:23]
	v_sub_u32_e32 v30, v0, v4
	v_cmp_lt_i32_e32 vcc, 15, v34
	s_mov_b64 s[56:57], exec
	s_and_b64 s[24:25], s[56:57], vcc
	v_accvgpr_read_b32 v57, a29
	s_mov_b64 exec, s[24:25]
	s_cbranch_execz .LBB2_2050
; %bb.1407:                             ;   in Loop: Header=BB2_49 Depth=1
	s_trap 2
	ds_read_b128 v[10:13], v0
	v_add_u32_e32 v0, v2, v3
	ds_read_b64 v[2:3], v0
	v_ashrrev_i32_e32 v4, 31, v0
	s_bitcmp1_b32 s68, 0
	s_waitcnt lgkmcnt(0)
	v_add_co_u32_e32 v18, vcc, v10, v0
	v_addc_co_u32_e32 v19, vcc, v11, v4, vcc
	v_add_co_u32_e32 v20, vcc, v12, v0
	v_addc_co_u32_e32 v21, vcc, v13, v4, vcc
	;; [unrolled: 2-line block ×3, first 2 shown]
	s_mov_b64 s[58:59], 0
	s_cselect_b64 s[60:61], -1, 0
	s_branch .LBB2_1409
.LBB2_1408:                             ;   in Loop: Header=BB2_1409 Depth=2
	s_or_b64 exec, exec, s[24:25]
	v_lshlrev_b32_e32 v0, 8, v28
	v_perm_b32 v0, v0, v25, s78
	v_lshl_or_b32 v0, v29, 16, v0
	v_lshl_or_b32 v49, v15, 24, v0
	v_and_b32_e32 v0, 0xff, v51
	v_lshlrev_b32_e32 v10, 8, v50
	v_lshlrev_b32_e32 v3, 24, v52
	;; [unrolled: 1-line block ×3, first 2 shown]
	v_perm_b32 v10, v10, v35, s78
	v_or3_b32 v48, v3, v0, v10
	v_and_b32_e32 v0, 0xff, v27
	v_lshlrev_b32_e32 v3, 24, v4
	v_lshlrev_b32_e32 v4, 8, v26
	;; [unrolled: 1-line block ×3, first 2 shown]
	v_perm_b32 v4, v4, v24, s78
	v_or3_b32 v50, v3, v0, v4
	v_lshlrev_b32_e32 v0, 8, v11
	v_perm_b32 v0, v0, v5, s78
	v_lshl_or_b32 v0, v14, 16, v0
	v_lshl_or_b32 v51, v2, 24, v0
	v_accvgpr_read_b32 v0, a30
	v_add_co_u32_e32 v18, vcc, v18, v0
	v_accvgpr_read_b32 v2, a31
	v_addc_co_u32_e32 v19, vcc, v19, v2, vcc
	v_add_co_u32_e32 v20, vcc, v20, v0
	v_addc_co_u32_e32 v21, vcc, v21, v2, vcc
	global_store_dwordx4 v[22:23], v[48:51], off glc slc
	v_add_co_u32_e32 v22, vcc, v22, v0
	v_addc_co_u32_e32 v23, vcc, v23, v2, vcc
	v_sub_u32_e32 v34, v34, v57
	v_cmp_gt_i32_e32 vcc, 16, v34
	s_or_b64 s[58:59], vcc, s[58:59]
	v_sub_u32_e32 v30, v30, v60
	s_andn2_b64 exec, exec, s[58:59]
	s_cbranch_execz .LBB2_2049
.LBB2_1409:                             ;   Parent Loop BB2_49 Depth=1
                                        ; =>  This Inner Loop Header: Depth=2
	global_load_dwordx4 v[14:17], v[18:19], off glc slc
	global_load_dwordx4 v[10:13], v[20:21], off glc slc
	s_and_b64 vcc, exec, s[60:61]
	s_waitcnt vmcnt(0)
	v_cmp_ne_u16_sdwa s[24:25], v14, v55 src0_sel:BYTE_0 src1_sel:DWORD
	s_cbranch_vccz .LBB2_1423
; %bb.1410:                             ;   in Loop: Header=BB2_1409 Depth=2
	v_mov_b32_e32 v3, 0
	v_mov_b32_e32 v2, 0
	s_and_saveexec_b64 s[62:63], s[24:25]
	s_cbranch_execz .LBB2_1416
; %bb.1411:                             ;   in Loop: Header=BB2_1409 Depth=2
	v_cmp_ne_u16_sdwa vcc, v14, s74 src0_sel:BYTE_0 src1_sel:DWORD
	v_bfrev_b32_e32 v2, 1
	s_and_saveexec_b64 s[64:65], vcc
	s_cbranch_execz .LBB2_1415
; %bb.1412:                             ;   in Loop: Header=BB2_1409 Depth=2
	v_and_b32_e32 v4, 0x7f, v14
	v_cmp_ne_u32_e32 vcc, s75, v4
	v_mov_b32_e32 v2, 0x7f800001
	s_and_saveexec_b64 s[66:67], vcc
	s_cbranch_execz .LBB2_1414
; %bb.1413:                             ;   in Loop: Header=BB2_1409 Depth=2
	v_and_b32_e32 v0, 7, v14
	v_ffbh_u32_e32 v0, v0
	v_min_u32_e32 v0, 32, v0
	v_lshrrev_b32_e32 v2, 3, v4
	v_subrev_u32_e32 v5, 28, v0
	v_sub_u32_e32 v0, 29, v0
	v_cmp_gt_u32_e32 vcc, 8, v4
	v_cndmask_b32_e32 v0, v2, v0, vcc
	v_cndmask_b32_e32 v2, 0, v5, vcc
	v_lshlrev_b64 v[4:5], v2, v[14:15]
	v_lshlrev_b32_e32 v2, 20, v4
	v_lshlrev_b32_e32 v4, 24, v14
	v_bfrev_b32_e32 v5, 60
	v_and_b32_e32 v2, 0x700000, v2
	v_and_b32_e32 v4, 0x80000000, v4
	v_lshl_add_u32 v0, v0, 23, v5
	v_or3_b32 v2, v4, v0, v2
.LBB2_1414:                             ;   in Loop: Header=BB2_1409 Depth=2
	s_or_b64 exec, exec, s[66:67]
.LBB2_1415:                             ;   in Loop: Header=BB2_1409 Depth=2
	s_or_b64 exec, exec, s[64:65]
.LBB2_1416:                             ;   in Loop: Header=BB2_1409 Depth=2
	s_or_b64 exec, exec, s[62:63]
	v_cmp_ne_u16_sdwa vcc, v10, v55 src0_sel:BYTE_0 src1_sel:DWORD
	s_and_saveexec_b64 s[62:63], vcc
	s_cbranch_execz .LBB2_1422
; %bb.1417:                             ;   in Loop: Header=BB2_1409 Depth=2
	v_cmp_ne_u16_sdwa vcc, v10, s74 src0_sel:BYTE_0 src1_sel:DWORD
	v_bfrev_b32_e32 v3, 1
	s_and_saveexec_b64 s[64:65], vcc
	s_cbranch_execz .LBB2_1421
; %bb.1418:                             ;   in Loop: Header=BB2_1409 Depth=2
	v_and_b32_e32 v4, 0x7f, v10
	v_cmp_ne_u32_e32 vcc, s75, v4
	v_mov_b32_e32 v3, 0x7f800001
	s_and_saveexec_b64 s[66:67], vcc
	s_cbranch_execz .LBB2_1420
; %bb.1419:                             ;   in Loop: Header=BB2_1409 Depth=2
	v_and_b32_e32 v0, 7, v10
	v_ffbh_u32_e32 v0, v0
	v_min_u32_e32 v0, 32, v0
	v_lshrrev_b32_e32 v3, 3, v4
	v_subrev_u32_e32 v5, 28, v0
	v_sub_u32_e32 v0, 29, v0
	v_cmp_gt_u32_e32 vcc, 8, v4
	v_cndmask_b32_e32 v0, v3, v0, vcc
	v_cndmask_b32_e32 v3, 0, v5, vcc
	v_lshlrev_b64 v[4:5], v3, v[10:11]
	v_lshlrev_b32_e32 v3, 20, v4
	v_lshlrev_b32_e32 v4, 24, v10
	v_bfrev_b32_e32 v5, 60
	v_and_b32_e32 v3, 0x700000, v3
	v_and_b32_e32 v4, 0x80000000, v4
	v_lshl_add_u32 v0, v0, 23, v5
	v_or3_b32 v3, v4, v0, v3
.LBB2_1420:                             ;   in Loop: Header=BB2_1409 Depth=2
	s_or_b64 exec, exec, s[66:67]
.LBB2_1421:                             ;   in Loop: Header=BB2_1409 Depth=2
	s_or_b64 exec, exec, s[64:65]
.LBB2_1422:                             ;   in Loop: Header=BB2_1409 Depth=2
	s_or_b64 exec, exec, s[62:63]
	v_max_f32_e32 v0, v3, v3
	v_max_f32_e32 v2, v2, v2
	;; [unrolled: 1-line block ×3, first 2 shown]
	s_branch .LBB2_1437
.LBB2_1423:                             ;   in Loop: Header=BB2_1409 Depth=2
                                        ; implicit-def: $vgpr2
	s_cbranch_execz .LBB2_1437
; %bb.1424:                             ;   in Loop: Header=BB2_1409 Depth=2
	v_mov_b32_e32 v3, 0
	v_mov_b32_e32 v2, 0
	s_and_saveexec_b64 s[62:63], s[24:25]
	s_cbranch_execz .LBB2_1430
; %bb.1425:                             ;   in Loop: Header=BB2_1409 Depth=2
	v_cmp_ne_u16_sdwa vcc, v14, s74 src0_sel:BYTE_0 src1_sel:DWORD
	v_bfrev_b32_e32 v2, 1
	s_and_saveexec_b64 s[24:25], vcc
	s_cbranch_execz .LBB2_1429
; %bb.1426:                             ;   in Loop: Header=BB2_1409 Depth=2
	v_and_b32_e32 v4, 0x7f, v14
	v_cmp_ne_u32_e32 vcc, s75, v4
	v_mov_b32_e32 v2, 0x7f800001
	s_and_saveexec_b64 s[64:65], vcc
	s_cbranch_execz .LBB2_1428
; %bb.1427:                             ;   in Loop: Header=BB2_1409 Depth=2
	v_and_b32_e32 v0, 7, v14
	v_ffbh_u32_e32 v0, v0
	v_min_u32_e32 v0, 32, v0
	v_lshrrev_b32_e32 v2, 3, v4
	v_subrev_u32_e32 v5, 28, v0
	v_sub_u32_e32 v0, 29, v0
	v_cmp_gt_u32_e32 vcc, 8, v4
	v_cndmask_b32_e32 v0, v2, v0, vcc
	v_cndmask_b32_e32 v2, 0, v5, vcc
	v_lshlrev_b64 v[4:5], v2, v[14:15]
	v_lshlrev_b32_e32 v2, 20, v4
	v_lshlrev_b32_e32 v4, 24, v14
	v_bfrev_b32_e32 v5, 60
	v_and_b32_e32 v2, 0x700000, v2
	v_and_b32_e32 v4, 0x80000000, v4
	v_lshl_add_u32 v0, v0, 23, v5
	v_or3_b32 v2, v4, v0, v2
.LBB2_1428:                             ;   in Loop: Header=BB2_1409 Depth=2
	s_or_b64 exec, exec, s[64:65]
.LBB2_1429:                             ;   in Loop: Header=BB2_1409 Depth=2
	s_or_b64 exec, exec, s[24:25]
.LBB2_1430:                             ;   in Loop: Header=BB2_1409 Depth=2
	s_or_b64 exec, exec, s[62:63]
	v_cmp_ne_u16_sdwa vcc, v10, v55 src0_sel:BYTE_0 src1_sel:DWORD
	s_and_saveexec_b64 s[24:25], vcc
	s_cbranch_execz .LBB2_1436
; %bb.1431:                             ;   in Loop: Header=BB2_1409 Depth=2
	v_cmp_ne_u16_sdwa vcc, v10, s74 src0_sel:BYTE_0 src1_sel:DWORD
	v_bfrev_b32_e32 v3, 1
	s_and_saveexec_b64 s[62:63], vcc
	s_cbranch_execz .LBB2_1435
; %bb.1432:                             ;   in Loop: Header=BB2_1409 Depth=2
	v_and_b32_e32 v4, 0x7f, v10
	v_cmp_ne_u32_e32 vcc, s75, v4
	v_mov_b32_e32 v3, 0x7f800001
	s_and_saveexec_b64 s[64:65], vcc
	s_cbranch_execz .LBB2_1434
; %bb.1433:                             ;   in Loop: Header=BB2_1409 Depth=2
	v_and_b32_e32 v0, 7, v10
	v_ffbh_u32_e32 v0, v0
	v_min_u32_e32 v0, 32, v0
	v_lshrrev_b32_e32 v3, 3, v4
	v_subrev_u32_e32 v5, 28, v0
	v_sub_u32_e32 v0, 29, v0
	v_cmp_gt_u32_e32 vcc, 8, v4
	v_cndmask_b32_e32 v0, v3, v0, vcc
	v_cndmask_b32_e32 v3, 0, v5, vcc
	v_lshlrev_b64 v[4:5], v3, v[10:11]
	v_lshlrev_b32_e32 v3, 20, v4
	v_lshlrev_b32_e32 v4, 24, v10
	v_bfrev_b32_e32 v5, 60
	v_and_b32_e32 v3, 0x700000, v3
	v_and_b32_e32 v4, 0x80000000, v4
	v_lshl_add_u32 v0, v0, 23, v5
	v_or3_b32 v3, v4, v0, v3
.LBB2_1434:                             ;   in Loop: Header=BB2_1409 Depth=2
	s_or_b64 exec, exec, s[64:65]
.LBB2_1435:                             ;   in Loop: Header=BB2_1409 Depth=2
	s_or_b64 exec, exec, s[62:63]
.LBB2_1436:                             ;   in Loop: Header=BB2_1409 Depth=2
	s_or_b64 exec, exec, s[24:25]
	v_max_f32_e32 v0, v3, v3
	v_max_f32_e32 v2, v2, v2
	v_min_f32_e32 v2, v2, v0
.LBB2_1437:                             ;   in Loop: Header=BB2_1409 Depth=2
	v_and_b32_sdwa v4, v2, s74 dst_sel:DWORD dst_unused:UNUSED_PAD src0_sel:BYTE_3 src1_sel:DWORD
	v_and_b32_e32 v24, 0x7f800000, v2
	v_mov_b32_e32 v25, v55
	v_and_b32_e32 v54, 0x7fffff, v2
	v_or_b32_e32 v35, 0x7e, v4
	v_cmp_ne_u64_e32 vcc, s[44:45], v[24:25]
	s_and_saveexec_b64 s[24:25], vcc
	s_xor_b64 s[62:63], exec, s[24:25]
	s_cbranch_execz .LBB2_1447
; %bb.1438:                             ;   in Loop: Header=BB2_1409 Depth=2
	v_and_b32_e32 v24, 0x7fffffff, v2
	v_mov_b32_e32 v25, v55
	v_cmp_gt_u64_e32 vcc, s[46:47], v[24:25]
	s_and_saveexec_b64 s[64:65], vcc
	s_cbranch_execz .LBB2_1446
; %bb.1439:                             ;   in Loop: Header=BB2_1409 Depth=2
	v_cmp_ne_u32_e32 vcc, 0, v2
	v_mov_b32_e32 v35, 0
	s_and_saveexec_b64 s[66:67], vcc
	s_cbranch_execz .LBB2_1445
; %bb.1440:                             ;   in Loop: Header=BB2_1409 Depth=2
	v_bfe_u32 v0, v2, 23, 8
	v_sub_u32_e32 v3, 0x79, v0
	v_cmp_gt_u32_e32 vcc, s77, v0
	v_add_u32_e32 v2, 0xffffff81, v0
	v_cndmask_b32_e32 v3, 0, v3, vcc
	v_cmp_eq_u32_e32 vcc, 0, v0
	v_mov_b32_e32 v0, 0xffffff82
	v_cndmask_b32_e32 v0, v2, v0, vcc
	v_mov_b32_e32 v2, 0x78
	v_or_b32_e32 v5, 0x800000, v54
	v_cndmask_b32_e32 v24, v3, v2, vcc
	v_cndmask_b32_e32 v54, v5, v54, vcc
	v_add_u32_e32 v2, 20, v24
	v_lshlrev_b64 v[2:3], v2, -1
	v_add_u32_e32 v5, 19, v24
	v_lshrrev_b64 v[28:29], v24, v[54:55]
	v_not_b32_e32 v3, v3
	v_not_b32_e32 v2, v2
	v_lshlrev_b64 v[26:27], v5, 1
	v_lshrrev_b32_e32 v5, 23, v28
	v_and_b32_e32 v3, 0, v3
	v_and_b32_e32 v2, v54, v2
	v_add3_u32 v25, v24, v0, v5
	v_bfe_u32 v0, v28, 20, 1
	v_add_u32_e32 v0, -1, v0
	v_cmp_eq_u64_e32 vcc, v[2:3], v[26:27]
	v_cndmask_b32_e32 v0, 0, v0, vcc
	v_add_u32_e32 v0, v0, v28
	v_and_b32_e32 v0, 0xfffff, v0
	v_add_co_u32_e32 v2, vcc, v0, v28
	v_add_u32_e32 v24, 6, v25
	v_addc_co_u32_e32 v3, vcc, 0, v29, vcc
	v_cmp_ne_u32_e32 vcc, 0, v24
                                        ; implicit-def: $vgpr5
	s_and_saveexec_b64 s[24:25], vcc
	s_xor_b64 s[24:25], exec, s[24:25]
; %bb.1441:                             ;   in Loop: Header=BB2_1409 Depth=2
	v_add_u32_e32 v0, 7, v25
	v_cmp_lt_u64_e32 vcc, s[50:51], v[2:3]
	v_cndmask_b32_e32 v5, v24, v0, vcc
	v_cndmask_b32_e64 v0, 0, 1, vcc
	v_lshrrev_b64 v[2:3], v0, v[2:3]
; %bb.1442:                             ;   in Loop: Header=BB2_1409 Depth=2
	s_andn2_saveexec_b64 s[24:25], s[24:25]
; %bb.1443:                             ;   in Loop: Header=BB2_1409 Depth=2
	v_bfe_u32 v5, v2, 23, 1
; %bb.1444:                             ;   in Loop: Header=BB2_1409 Depth=2
	s_or_b64 exec, exec, s[24:25]
	v_lshrrev_b64 v[2:3], 20, v[2:3]
	v_cmp_gt_i32_e32 vcc, 16, v5
	v_cndmask_b32_e32 v3, 0, v3, vcc
	v_cndmask_b32_e32 v2, 7, v2, vcc
	v_min_i32_e32 v0, 15, v5
	v_cmp_eq_u32_e32 vcc, 0, v5
	v_cmp_eq_u64_e64 s[24:25], 0, v[2:3]
	v_lshlrev_b32_e32 v0, 3, v0
	v_and_or_b32 v0, v2, 7, v0
	s_and_b64 s[24:25], vcc, s[24:25]
	v_cndmask_b32_e64 v0, v0, 0, s[24:25]
	v_or_b32_e32 v35, v0, v4
.LBB2_1445:                             ;   in Loop: Header=BB2_1409 Depth=2
	s_or_b64 exec, exec, s[66:67]
.LBB2_1446:                             ;   in Loop: Header=BB2_1409 Depth=2
	s_or_b64 exec, exec, s[64:65]
                                        ; implicit-def: $vgpr2
.LBB2_1447:                             ;   in Loop: Header=BB2_1409 Depth=2
	s_andn2_saveexec_b64 s[24:25], s[62:63]
; %bb.1448:                             ;   in Loop: Header=BB2_1409 Depth=2
	v_or_b32_sdwa v0, v2, s75 dst_sel:DWORD dst_unused:UNUSED_PAD src0_sel:BYTE_3 src1_sel:DWORD
	v_cmp_eq_u64_e32 vcc, 0, v[54:55]
	v_cndmask_b32_e32 v35, v0, v35, vcc
; %bb.1449:                             ;   in Loop: Header=BB2_1409 Depth=2
	s_or_b64 exec, exec, s[24:25]
	v_lshrrev_b16_e32 v24, 8, v14
	v_lshrrev_b16_e32 v2, 8, v10
	v_cmp_ne_u16_e64 s[24:25], 0, v24
	s_and_b64 vcc, exec, s[60:61]
	s_cbranch_vccz .LBB2_1463
; %bb.1450:                             ;   in Loop: Header=BB2_1409 Depth=2
	v_mov_b32_e32 v4, 0
	v_mov_b32_e32 v3, 0
	s_and_saveexec_b64 s[62:63], s[24:25]
	s_cbranch_execz .LBB2_1456
; %bb.1451:                             ;   in Loop: Header=BB2_1409 Depth=2
	v_cmp_ne_u16_e32 vcc, s74, v24
	v_bfrev_b32_e32 v3, 1
	s_and_saveexec_b64 s[64:65], vcc
	s_cbranch_execz .LBB2_1455
; %bb.1452:                             ;   in Loop: Header=BB2_1409 Depth=2
	v_and_b32_e32 v5, 0x7f, v24
	v_cmp_ne_u32_e32 vcc, s75, v5
	v_mov_b32_e32 v3, 0x7f800001
	s_and_saveexec_b64 s[66:67], vcc
	s_cbranch_execz .LBB2_1454
; %bb.1453:                             ;   in Loop: Header=BB2_1409 Depth=2
	v_and_b32_e32 v0, 7, v24
	v_ffbh_u32_e32 v25, v0
	v_min_u32_e32 v25, 32, v25
	v_subrev_u32_e32 v26, 28, v25
	v_lshlrev_b64 v[26:27], v26, v[24:25]
	v_lshrrev_b32_e32 v3, 3, v5
	v_sub_u32_e32 v25, 29, v25
	v_and_b32_e32 v26, 7, v26
	v_cmp_gt_u32_e32 vcc, 8, v5
	v_cndmask_b32_e32 v3, v3, v25, vcc
	v_cndmask_b32_e32 v0, v0, v26, vcc
	v_lshlrev_b32_e32 v5, 16, v14
	v_bfrev_b32_e32 v25, 60
	v_lshlrev_b32_e32 v0, 20, v0
	v_and_b32_e32 v5, 0x80000000, v5
	v_lshl_add_u32 v3, v3, 23, v25
	v_or3_b32 v3, v5, v3, v0
.LBB2_1454:                             ;   in Loop: Header=BB2_1409 Depth=2
	s_or_b64 exec, exec, s[66:67]
.LBB2_1455:                             ;   in Loop: Header=BB2_1409 Depth=2
	s_or_b64 exec, exec, s[64:65]
.LBB2_1456:                             ;   in Loop: Header=BB2_1409 Depth=2
	s_or_b64 exec, exec, s[62:63]
	v_cmp_ne_u16_e32 vcc, 0, v2
	s_and_saveexec_b64 s[62:63], vcc
	s_cbranch_execz .LBB2_1462
; %bb.1457:                             ;   in Loop: Header=BB2_1409 Depth=2
	v_cmp_ne_u16_e32 vcc, s74, v2
	v_bfrev_b32_e32 v4, 1
	s_and_saveexec_b64 s[64:65], vcc
	s_cbranch_execz .LBB2_1461
; %bb.1458:                             ;   in Loop: Header=BB2_1409 Depth=2
	v_and_b32_e32 v5, 0x7f, v2
	v_cmp_ne_u32_e32 vcc, s75, v5
	v_mov_b32_e32 v4, 0x7f800001
	s_and_saveexec_b64 s[66:67], vcc
	s_cbranch_execz .LBB2_1460
; %bb.1459:                             ;   in Loop: Header=BB2_1409 Depth=2
	v_and_b32_e32 v0, 7, v2
	v_ffbh_u32_e32 v25, v0
	v_min_u32_e32 v25, 32, v25
	v_subrev_u32_e32 v26, 28, v25
	v_lshlrev_b64 v[26:27], v26, v[2:3]
	v_lshrrev_b32_e32 v4, 3, v5
	v_sub_u32_e32 v25, 29, v25
	v_and_b32_e32 v26, 7, v26
	v_cmp_gt_u32_e32 vcc, 8, v5
	v_cndmask_b32_e32 v4, v4, v25, vcc
	v_cndmask_b32_e32 v0, v0, v26, vcc
	v_lshlrev_b32_e32 v5, 16, v10
	v_bfrev_b32_e32 v25, 60
	v_lshlrev_b32_e32 v0, 20, v0
	v_and_b32_e32 v5, 0x80000000, v5
	v_lshl_add_u32 v4, v4, 23, v25
	v_or3_b32 v4, v5, v4, v0
.LBB2_1460:                             ;   in Loop: Header=BB2_1409 Depth=2
	s_or_b64 exec, exec, s[66:67]
.LBB2_1461:                             ;   in Loop: Header=BB2_1409 Depth=2
	s_or_b64 exec, exec, s[64:65]
.LBB2_1462:                             ;   in Loop: Header=BB2_1409 Depth=2
	s_or_b64 exec, exec, s[62:63]
	v_max_f32_e32 v0, v4, v4
	v_max_f32_e32 v3, v3, v3
	;; [unrolled: 1-line block ×3, first 2 shown]
	s_branch .LBB2_1477
.LBB2_1463:                             ;   in Loop: Header=BB2_1409 Depth=2
                                        ; implicit-def: $vgpr3
	s_cbranch_execz .LBB2_1477
; %bb.1464:                             ;   in Loop: Header=BB2_1409 Depth=2
	v_mov_b32_e32 v4, 0
	v_mov_b32_e32 v3, 0
	s_and_saveexec_b64 s[62:63], s[24:25]
	s_cbranch_execz .LBB2_1470
; %bb.1465:                             ;   in Loop: Header=BB2_1409 Depth=2
	v_cmp_ne_u16_e32 vcc, s74, v24
	v_bfrev_b32_e32 v3, 1
	s_and_saveexec_b64 s[24:25], vcc
	s_cbranch_execz .LBB2_1469
; %bb.1466:                             ;   in Loop: Header=BB2_1409 Depth=2
	v_and_b32_e32 v5, 0x7f, v24
	v_cmp_ne_u32_e32 vcc, s75, v5
	v_mov_b32_e32 v3, 0x7f800001
	s_and_saveexec_b64 s[64:65], vcc
	s_cbranch_execz .LBB2_1468
; %bb.1467:                             ;   in Loop: Header=BB2_1409 Depth=2
	v_and_b32_e32 v0, 7, v24
	v_ffbh_u32_e32 v25, v0
	v_min_u32_e32 v26, 32, v25
	v_subrev_u32_e32 v25, 28, v26
	v_lshlrev_b64 v[24:25], v25, v[24:25]
	v_lshrrev_b32_e32 v3, 3, v5
	v_sub_u32_e32 v25, 29, v26
	v_and_b32_e32 v24, 7, v24
	v_cmp_gt_u32_e32 vcc, 8, v5
	v_cndmask_b32_e32 v3, v3, v25, vcc
	v_cndmask_b32_e32 v0, v0, v24, vcc
	v_lshlrev_b32_e32 v5, 16, v14
	v_bfrev_b32_e32 v24, 60
	v_lshlrev_b32_e32 v0, 20, v0
	v_and_b32_e32 v5, 0x80000000, v5
	v_lshl_add_u32 v3, v3, 23, v24
	v_or3_b32 v3, v5, v3, v0
.LBB2_1468:                             ;   in Loop: Header=BB2_1409 Depth=2
	s_or_b64 exec, exec, s[64:65]
.LBB2_1469:                             ;   in Loop: Header=BB2_1409 Depth=2
	s_or_b64 exec, exec, s[24:25]
.LBB2_1470:                             ;   in Loop: Header=BB2_1409 Depth=2
	s_or_b64 exec, exec, s[62:63]
	v_cmp_ne_u16_e32 vcc, 0, v2
	s_and_saveexec_b64 s[24:25], vcc
	s_cbranch_execz .LBB2_1476
; %bb.1471:                             ;   in Loop: Header=BB2_1409 Depth=2
	v_cmp_ne_u16_e32 vcc, s74, v2
	v_bfrev_b32_e32 v4, 1
	s_and_saveexec_b64 s[62:63], vcc
	s_cbranch_execz .LBB2_1475
; %bb.1472:                             ;   in Loop: Header=BB2_1409 Depth=2
	v_and_b32_e32 v5, 0x7f, v2
	v_cmp_ne_u32_e32 vcc, s75, v5
	v_mov_b32_e32 v4, 0x7f800001
	s_and_saveexec_b64 s[64:65], vcc
	s_cbranch_execz .LBB2_1474
; %bb.1473:                             ;   in Loop: Header=BB2_1409 Depth=2
	v_and_b32_e32 v0, 7, v2
	v_ffbh_u32_e32 v24, v0
	v_min_u32_e32 v26, 32, v24
	v_subrev_u32_e32 v24, 28, v26
	v_lshlrev_b64 v[24:25], v24, v[2:3]
	v_lshrrev_b32_e32 v4, 3, v5
	v_sub_u32_e32 v2, 29, v26
	v_and_b32_e32 v24, 7, v24
	v_cmp_gt_u32_e32 vcc, 8, v5
	v_cndmask_b32_e32 v2, v4, v2, vcc
	v_cndmask_b32_e32 v0, v0, v24, vcc
	v_lshlrev_b32_e32 v4, 16, v10
	v_bfrev_b32_e32 v5, 60
	v_lshlrev_b32_e32 v0, 20, v0
	v_and_b32_e32 v4, 0x80000000, v4
	v_lshl_add_u32 v2, v2, 23, v5
	v_or3_b32 v4, v4, v2, v0
.LBB2_1474:                             ;   in Loop: Header=BB2_1409 Depth=2
	s_or_b64 exec, exec, s[64:65]
.LBB2_1475:                             ;   in Loop: Header=BB2_1409 Depth=2
	s_or_b64 exec, exec, s[62:63]
.LBB2_1476:                             ;   in Loop: Header=BB2_1409 Depth=2
	s_or_b64 exec, exec, s[24:25]
	v_max_f32_e32 v0, v4, v4
	v_max_f32_e32 v2, v3, v3
	v_min_f32_e32 v3, v2, v0
.LBB2_1477:                             ;   in Loop: Header=BB2_1409 Depth=2
	v_and_b32_sdwa v4, v3, s74 dst_sel:DWORD dst_unused:UNUSED_PAD src0_sel:BYTE_3 src1_sel:DWORD
	v_and_b32_e32 v24, 0x7f800000, v3
	v_mov_b32_e32 v25, v55
	v_and_b32_e32 v54, 0x7fffff, v3
	v_or_b32_e32 v50, 0x7e, v4
	v_cmp_ne_u64_e32 vcc, s[44:45], v[24:25]
	s_and_saveexec_b64 s[24:25], vcc
	s_xor_b64 s[62:63], exec, s[24:25]
	s_cbranch_execz .LBB2_1487
; %bb.1478:                             ;   in Loop: Header=BB2_1409 Depth=2
	v_and_b32_e32 v24, 0x7fffffff, v3
	v_mov_b32_e32 v25, v55
	v_cmp_gt_u64_e32 vcc, s[46:47], v[24:25]
	s_and_saveexec_b64 s[64:65], vcc
	s_cbranch_execz .LBB2_1486
; %bb.1479:                             ;   in Loop: Header=BB2_1409 Depth=2
	v_cmp_ne_u32_e32 vcc, 0, v3
	v_mov_b32_e32 v50, 0
	s_and_saveexec_b64 s[66:67], vcc
	s_cbranch_execz .LBB2_1485
; %bb.1480:                             ;   in Loop: Header=BB2_1409 Depth=2
	v_bfe_u32 v0, v3, 23, 8
	v_sub_u32_e32 v3, 0x79, v0
	v_cmp_gt_u32_e32 vcc, s77, v0
	v_add_u32_e32 v2, 0xffffff81, v0
	v_cndmask_b32_e32 v3, 0, v3, vcc
	v_cmp_eq_u32_e32 vcc, 0, v0
	v_mov_b32_e32 v0, 0xffffff82
	v_cndmask_b32_e32 v0, v2, v0, vcc
	v_mov_b32_e32 v2, 0x78
	v_or_b32_e32 v5, 0x800000, v54
	v_cndmask_b32_e32 v24, v3, v2, vcc
	v_cndmask_b32_e32 v54, v5, v54, vcc
	v_add_u32_e32 v2, 20, v24
	v_lshlrev_b64 v[2:3], v2, -1
	v_add_u32_e32 v5, 19, v24
	v_lshrrev_b64 v[28:29], v24, v[54:55]
	v_not_b32_e32 v3, v3
	v_not_b32_e32 v2, v2
	v_lshlrev_b64 v[26:27], v5, 1
	v_lshrrev_b32_e32 v5, 23, v28
	v_and_b32_e32 v3, 0, v3
	v_and_b32_e32 v2, v54, v2
	v_add3_u32 v25, v24, v0, v5
	v_bfe_u32 v0, v28, 20, 1
	v_add_u32_e32 v0, -1, v0
	v_cmp_eq_u64_e32 vcc, v[2:3], v[26:27]
	v_cndmask_b32_e32 v0, 0, v0, vcc
	v_add_u32_e32 v0, v0, v28
	v_and_b32_e32 v0, 0xfffff, v0
	v_add_co_u32_e32 v2, vcc, v0, v28
	v_add_u32_e32 v24, 6, v25
	v_addc_co_u32_e32 v3, vcc, 0, v29, vcc
	v_cmp_ne_u32_e32 vcc, 0, v24
                                        ; implicit-def: $vgpr5
	s_and_saveexec_b64 s[24:25], vcc
	s_xor_b64 s[24:25], exec, s[24:25]
; %bb.1481:                             ;   in Loop: Header=BB2_1409 Depth=2
	v_add_u32_e32 v0, 7, v25
	v_cmp_lt_u64_e32 vcc, s[50:51], v[2:3]
	v_cndmask_b32_e32 v5, v24, v0, vcc
	v_cndmask_b32_e64 v0, 0, 1, vcc
	v_lshrrev_b64 v[2:3], v0, v[2:3]
; %bb.1482:                             ;   in Loop: Header=BB2_1409 Depth=2
	s_andn2_saveexec_b64 s[24:25], s[24:25]
; %bb.1483:                             ;   in Loop: Header=BB2_1409 Depth=2
	v_bfe_u32 v5, v2, 23, 1
; %bb.1484:                             ;   in Loop: Header=BB2_1409 Depth=2
	s_or_b64 exec, exec, s[24:25]
	v_lshrrev_b64 v[2:3], 20, v[2:3]
	v_cmp_gt_i32_e32 vcc, 16, v5
	v_cndmask_b32_e32 v3, 0, v3, vcc
	v_cndmask_b32_e32 v2, 7, v2, vcc
	v_min_i32_e32 v0, 15, v5
	v_cmp_eq_u32_e32 vcc, 0, v5
	v_cmp_eq_u64_e64 s[24:25], 0, v[2:3]
	v_lshlrev_b32_e32 v0, 3, v0
	v_and_or_b32 v0, v2, 7, v0
	s_and_b64 s[24:25], vcc, s[24:25]
	v_cndmask_b32_e64 v0, v0, 0, s[24:25]
	v_or_b32_e32 v50, v0, v4
.LBB2_1485:                             ;   in Loop: Header=BB2_1409 Depth=2
	s_or_b64 exec, exec, s[66:67]
.LBB2_1486:                             ;   in Loop: Header=BB2_1409 Depth=2
	s_or_b64 exec, exec, s[64:65]
                                        ; implicit-def: $vgpr3
.LBB2_1487:                             ;   in Loop: Header=BB2_1409 Depth=2
	s_andn2_saveexec_b64 s[24:25], s[62:63]
; %bb.1488:                             ;   in Loop: Header=BB2_1409 Depth=2
	v_or_b32_sdwa v0, v3, s75 dst_sel:DWORD dst_unused:UNUSED_PAD src0_sel:BYTE_3 src1_sel:DWORD
	v_cmp_eq_u64_e32 vcc, 0, v[54:55]
	v_cndmask_b32_e32 v50, v0, v50, vcc
; %bb.1489:                             ;   in Loop: Header=BB2_1409 Depth=2
	s_or_b64 exec, exec, s[24:25]
	v_lshrrev_b32_e32 v24, 16, v14
	v_lshrrev_b32_e32 v2, 16, v10
	v_cmp_ne_u16_sdwa s[24:25], v24, v55 src0_sel:BYTE_0 src1_sel:DWORD
	s_and_b64 vcc, exec, s[60:61]
	s_cbranch_vccz .LBB2_1503
; %bb.1490:                             ;   in Loop: Header=BB2_1409 Depth=2
	v_mov_b32_e32 v4, 0
	v_mov_b32_e32 v3, 0
	s_and_saveexec_b64 s[62:63], s[24:25]
	s_cbranch_execz .LBB2_1496
; %bb.1491:                             ;   in Loop: Header=BB2_1409 Depth=2
	v_cmp_ne_u16_sdwa vcc, v24, s74 src0_sel:BYTE_0 src1_sel:DWORD
	v_bfrev_b32_e32 v3, 1
	s_and_saveexec_b64 s[64:65], vcc
	s_cbranch_execz .LBB2_1495
; %bb.1492:                             ;   in Loop: Header=BB2_1409 Depth=2
	v_bfe_u32 v5, v14, 16, 7
	v_cmp_ne_u32_e32 vcc, s75, v5
	v_mov_b32_e32 v3, 0x7f800001
	s_and_saveexec_b64 s[66:67], vcc
	s_cbranch_execz .LBB2_1494
; %bb.1493:                             ;   in Loop: Header=BB2_1409 Depth=2
	v_and_b32_e32 v0, 7, v24
	v_ffbh_u32_e32 v25, v0
	v_min_u32_e32 v25, 32, v25
	v_subrev_u32_e32 v26, 28, v25
	v_lshlrev_b64 v[26:27], v26, v[24:25]
	v_lshrrev_b32_e32 v3, 3, v5
	v_sub_u32_e32 v25, 29, v25
	v_and_b32_e32 v26, 7, v26
	v_cmp_gt_u32_e32 vcc, 8, v5
	v_cndmask_b32_e32 v3, v3, v25, vcc
	v_cndmask_b32_e32 v0, v0, v26, vcc
	v_lshlrev_b32_e32 v5, 24, v24
	v_bfrev_b32_e32 v25, 60
	v_lshlrev_b32_e32 v0, 20, v0
	v_and_b32_e32 v5, 0x80000000, v5
	v_lshl_add_u32 v3, v3, 23, v25
	v_or3_b32 v3, v5, v3, v0
.LBB2_1494:                             ;   in Loop: Header=BB2_1409 Depth=2
	s_or_b64 exec, exec, s[66:67]
.LBB2_1495:                             ;   in Loop: Header=BB2_1409 Depth=2
	s_or_b64 exec, exec, s[64:65]
.LBB2_1496:                             ;   in Loop: Header=BB2_1409 Depth=2
	s_or_b64 exec, exec, s[62:63]
	v_cmp_ne_u16_sdwa vcc, v2, v55 src0_sel:BYTE_0 src1_sel:DWORD
	s_and_saveexec_b64 s[62:63], vcc
	s_cbranch_execz .LBB2_1502
; %bb.1497:                             ;   in Loop: Header=BB2_1409 Depth=2
	v_cmp_ne_u16_sdwa vcc, v2, s74 src0_sel:BYTE_0 src1_sel:DWORD
	v_bfrev_b32_e32 v4, 1
	s_and_saveexec_b64 s[64:65], vcc
	s_cbranch_execz .LBB2_1501
; %bb.1498:                             ;   in Loop: Header=BB2_1409 Depth=2
	v_bfe_u32 v5, v10, 16, 7
	v_cmp_ne_u32_e32 vcc, s75, v5
	v_mov_b32_e32 v4, 0x7f800001
	s_and_saveexec_b64 s[66:67], vcc
	s_cbranch_execz .LBB2_1500
; %bb.1499:                             ;   in Loop: Header=BB2_1409 Depth=2
	v_and_b32_e32 v0, 7, v2
	v_ffbh_u32_e32 v25, v0
	v_min_u32_e32 v25, 32, v25
	v_subrev_u32_e32 v26, 28, v25
	v_lshlrev_b64 v[26:27], v26, v[2:3]
	v_lshrrev_b32_e32 v4, 3, v5
	v_sub_u32_e32 v25, 29, v25
	v_and_b32_e32 v26, 7, v26
	v_cmp_gt_u32_e32 vcc, 8, v5
	v_cndmask_b32_e32 v4, v4, v25, vcc
	v_cndmask_b32_e32 v0, v0, v26, vcc
	v_lshlrev_b32_e32 v5, 24, v2
	v_bfrev_b32_e32 v25, 60
	v_lshlrev_b32_e32 v0, 20, v0
	v_and_b32_e32 v5, 0x80000000, v5
	v_lshl_add_u32 v4, v4, 23, v25
	v_or3_b32 v4, v5, v4, v0
.LBB2_1500:                             ;   in Loop: Header=BB2_1409 Depth=2
	s_or_b64 exec, exec, s[66:67]
.LBB2_1501:                             ;   in Loop: Header=BB2_1409 Depth=2
	s_or_b64 exec, exec, s[64:65]
.LBB2_1502:                             ;   in Loop: Header=BB2_1409 Depth=2
	s_or_b64 exec, exec, s[62:63]
	v_max_f32_e32 v0, v4, v4
	v_max_f32_e32 v3, v3, v3
	;; [unrolled: 1-line block ×3, first 2 shown]
	s_branch .LBB2_1517
.LBB2_1503:                             ;   in Loop: Header=BB2_1409 Depth=2
                                        ; implicit-def: $vgpr3
	s_cbranch_execz .LBB2_1517
; %bb.1504:                             ;   in Loop: Header=BB2_1409 Depth=2
	v_mov_b32_e32 v4, 0
	v_mov_b32_e32 v3, 0
	s_and_saveexec_b64 s[62:63], s[24:25]
	s_cbranch_execz .LBB2_1510
; %bb.1505:                             ;   in Loop: Header=BB2_1409 Depth=2
	v_cmp_ne_u16_sdwa vcc, v24, s74 src0_sel:BYTE_0 src1_sel:DWORD
	v_bfrev_b32_e32 v3, 1
	s_and_saveexec_b64 s[24:25], vcc
	s_cbranch_execz .LBB2_1509
; %bb.1506:                             ;   in Loop: Header=BB2_1409 Depth=2
	v_bfe_u32 v5, v14, 16, 7
	v_cmp_ne_u32_e32 vcc, s75, v5
	v_mov_b32_e32 v3, 0x7f800001
	s_and_saveexec_b64 s[64:65], vcc
	s_cbranch_execz .LBB2_1508
; %bb.1507:                             ;   in Loop: Header=BB2_1409 Depth=2
	v_and_b32_e32 v0, 7, v24
	v_ffbh_u32_e32 v25, v0
	v_min_u32_e32 v25, 32, v25
	v_subrev_u32_e32 v26, 28, v25
	v_lshlrev_b64 v[26:27], v26, v[24:25]
	v_lshrrev_b32_e32 v3, 3, v5
	v_sub_u32_e32 v25, 29, v25
	v_and_b32_e32 v26, 7, v26
	v_cmp_gt_u32_e32 vcc, 8, v5
	v_cndmask_b32_e32 v3, v3, v25, vcc
	v_cndmask_b32_e32 v0, v0, v26, vcc
	v_lshlrev_b32_e32 v5, 24, v24
	v_bfrev_b32_e32 v24, 60
	v_lshlrev_b32_e32 v0, 20, v0
	v_and_b32_e32 v5, 0x80000000, v5
	v_lshl_add_u32 v3, v3, 23, v24
	v_or3_b32 v3, v5, v3, v0
.LBB2_1508:                             ;   in Loop: Header=BB2_1409 Depth=2
	s_or_b64 exec, exec, s[64:65]
.LBB2_1509:                             ;   in Loop: Header=BB2_1409 Depth=2
	s_or_b64 exec, exec, s[24:25]
.LBB2_1510:                             ;   in Loop: Header=BB2_1409 Depth=2
	s_or_b64 exec, exec, s[62:63]
	v_cmp_ne_u16_sdwa vcc, v2, v55 src0_sel:BYTE_0 src1_sel:DWORD
	s_and_saveexec_b64 s[24:25], vcc
	s_cbranch_execz .LBB2_1516
; %bb.1511:                             ;   in Loop: Header=BB2_1409 Depth=2
	v_cmp_ne_u16_sdwa vcc, v2, s74 src0_sel:BYTE_0 src1_sel:DWORD
	v_bfrev_b32_e32 v4, 1
	s_and_saveexec_b64 s[62:63], vcc
	s_cbranch_execz .LBB2_1515
; %bb.1512:                             ;   in Loop: Header=BB2_1409 Depth=2
	v_bfe_u32 v5, v10, 16, 7
	v_cmp_ne_u32_e32 vcc, s75, v5
	v_mov_b32_e32 v4, 0x7f800001
	s_and_saveexec_b64 s[64:65], vcc
	s_cbranch_execz .LBB2_1514
; %bb.1513:                             ;   in Loop: Header=BB2_1409 Depth=2
	v_and_b32_e32 v0, 7, v2
	v_ffbh_u32_e32 v24, v0
	v_min_u32_e32 v26, 32, v24
	v_subrev_u32_e32 v24, 28, v26
	v_lshlrev_b64 v[24:25], v24, v[2:3]
	v_lshrrev_b32_e32 v4, 3, v5
	v_sub_u32_e32 v25, 29, v26
	v_and_b32_e32 v24, 7, v24
	v_cmp_gt_u32_e32 vcc, 8, v5
	v_cndmask_b32_e32 v4, v4, v25, vcc
	v_cndmask_b32_e32 v0, v0, v24, vcc
	v_lshlrev_b32_e32 v2, 24, v2
	v_bfrev_b32_e32 v5, 60
	v_lshlrev_b32_e32 v0, 20, v0
	v_and_b32_e32 v2, 0x80000000, v2
	v_lshl_add_u32 v4, v4, 23, v5
	v_or3_b32 v4, v2, v4, v0
.LBB2_1514:                             ;   in Loop: Header=BB2_1409 Depth=2
	s_or_b64 exec, exec, s[64:65]
.LBB2_1515:                             ;   in Loop: Header=BB2_1409 Depth=2
	s_or_b64 exec, exec, s[62:63]
.LBB2_1516:                             ;   in Loop: Header=BB2_1409 Depth=2
	s_or_b64 exec, exec, s[24:25]
	v_max_f32_e32 v0, v4, v4
	v_max_f32_e32 v2, v3, v3
	v_min_f32_e32 v3, v2, v0
.LBB2_1517:                             ;   in Loop: Header=BB2_1409 Depth=2
	v_and_b32_sdwa v4, v3, s74 dst_sel:DWORD dst_unused:UNUSED_PAD src0_sel:BYTE_3 src1_sel:DWORD
	v_and_b32_e32 v24, 0x7f800000, v3
	v_mov_b32_e32 v25, v55
	v_and_b32_e32 v54, 0x7fffff, v3
	v_or_b32_e32 v51, 0x7e, v4
	v_cmp_ne_u64_e32 vcc, s[44:45], v[24:25]
	s_and_saveexec_b64 s[24:25], vcc
	s_xor_b64 s[62:63], exec, s[24:25]
	s_cbranch_execz .LBB2_1527
; %bb.1518:                             ;   in Loop: Header=BB2_1409 Depth=2
	v_and_b32_e32 v24, 0x7fffffff, v3
	v_mov_b32_e32 v25, v55
	v_cmp_gt_u64_e32 vcc, s[46:47], v[24:25]
	s_and_saveexec_b64 s[64:65], vcc
	s_cbranch_execz .LBB2_1526
; %bb.1519:                             ;   in Loop: Header=BB2_1409 Depth=2
	v_cmp_ne_u32_e32 vcc, 0, v3
	v_mov_b32_e32 v51, 0
	s_and_saveexec_b64 s[66:67], vcc
	s_cbranch_execz .LBB2_1525
; %bb.1520:                             ;   in Loop: Header=BB2_1409 Depth=2
	v_bfe_u32 v0, v3, 23, 8
	v_sub_u32_e32 v3, 0x79, v0
	v_cmp_gt_u32_e32 vcc, s77, v0
	v_add_u32_e32 v2, 0xffffff81, v0
	v_cndmask_b32_e32 v3, 0, v3, vcc
	v_cmp_eq_u32_e32 vcc, 0, v0
	v_mov_b32_e32 v0, 0xffffff82
	v_cndmask_b32_e32 v0, v2, v0, vcc
	v_mov_b32_e32 v2, 0x78
	v_or_b32_e32 v5, 0x800000, v54
	v_cndmask_b32_e32 v24, v3, v2, vcc
	v_cndmask_b32_e32 v54, v5, v54, vcc
	v_add_u32_e32 v2, 20, v24
	v_lshlrev_b64 v[2:3], v2, -1
	v_add_u32_e32 v5, 19, v24
	v_lshrrev_b64 v[28:29], v24, v[54:55]
	v_not_b32_e32 v3, v3
	v_not_b32_e32 v2, v2
	v_lshlrev_b64 v[26:27], v5, 1
	v_lshrrev_b32_e32 v5, 23, v28
	v_and_b32_e32 v3, 0, v3
	v_and_b32_e32 v2, v54, v2
	v_add3_u32 v25, v24, v0, v5
	v_bfe_u32 v0, v28, 20, 1
	v_add_u32_e32 v0, -1, v0
	v_cmp_eq_u64_e32 vcc, v[2:3], v[26:27]
	v_cndmask_b32_e32 v0, 0, v0, vcc
	v_add_u32_e32 v0, v0, v28
	v_and_b32_e32 v0, 0xfffff, v0
	v_add_co_u32_e32 v2, vcc, v0, v28
	v_add_u32_e32 v24, 6, v25
	v_addc_co_u32_e32 v3, vcc, 0, v29, vcc
	v_cmp_ne_u32_e32 vcc, 0, v24
                                        ; implicit-def: $vgpr5
	s_and_saveexec_b64 s[24:25], vcc
	s_xor_b64 s[24:25], exec, s[24:25]
; %bb.1521:                             ;   in Loop: Header=BB2_1409 Depth=2
	v_add_u32_e32 v0, 7, v25
	v_cmp_lt_u64_e32 vcc, s[50:51], v[2:3]
	v_cndmask_b32_e32 v5, v24, v0, vcc
	v_cndmask_b32_e64 v0, 0, 1, vcc
	v_lshrrev_b64 v[2:3], v0, v[2:3]
; %bb.1522:                             ;   in Loop: Header=BB2_1409 Depth=2
	s_andn2_saveexec_b64 s[24:25], s[24:25]
; %bb.1523:                             ;   in Loop: Header=BB2_1409 Depth=2
	v_bfe_u32 v5, v2, 23, 1
; %bb.1524:                             ;   in Loop: Header=BB2_1409 Depth=2
	s_or_b64 exec, exec, s[24:25]
	v_lshrrev_b64 v[2:3], 20, v[2:3]
	v_cmp_gt_i32_e32 vcc, 16, v5
	v_cndmask_b32_e32 v3, 0, v3, vcc
	v_cndmask_b32_e32 v2, 7, v2, vcc
	v_min_i32_e32 v0, 15, v5
	v_cmp_eq_u32_e32 vcc, 0, v5
	v_cmp_eq_u64_e64 s[24:25], 0, v[2:3]
	v_lshlrev_b32_e32 v0, 3, v0
	v_and_or_b32 v0, v2, 7, v0
	s_and_b64 s[24:25], vcc, s[24:25]
	v_cndmask_b32_e64 v0, v0, 0, s[24:25]
	v_or_b32_e32 v51, v0, v4
.LBB2_1525:                             ;   in Loop: Header=BB2_1409 Depth=2
	s_or_b64 exec, exec, s[66:67]
.LBB2_1526:                             ;   in Loop: Header=BB2_1409 Depth=2
	s_or_b64 exec, exec, s[64:65]
                                        ; implicit-def: $vgpr3
.LBB2_1527:                             ;   in Loop: Header=BB2_1409 Depth=2
	s_andn2_saveexec_b64 s[24:25], s[62:63]
; %bb.1528:                             ;   in Loop: Header=BB2_1409 Depth=2
	v_or_b32_sdwa v0, v3, s75 dst_sel:DWORD dst_unused:UNUSED_PAD src0_sel:BYTE_3 src1_sel:DWORD
	v_cmp_eq_u64_e32 vcc, 0, v[54:55]
	v_cndmask_b32_e32 v51, v0, v51, vcc
; %bb.1529:                             ;   in Loop: Header=BB2_1409 Depth=2
	s_or_b64 exec, exec, s[24:25]
	v_lshrrev_b32_e32 v24, 24, v14
	v_lshrrev_b32_e32 v2, 24, v10
	v_cmp_lt_u32_e64 s[24:25], s49, v14
	s_and_b64 vcc, exec, s[60:61]
	s_cbranch_vccz .LBB2_1543
; %bb.1530:                             ;   in Loop: Header=BB2_1409 Depth=2
	v_mov_b32_e32 v4, 0
	v_mov_b32_e32 v3, 0
	s_and_saveexec_b64 s[62:63], s[24:25]
	s_cbranch_execz .LBB2_1536
; %bb.1531:                             ;   in Loop: Header=BB2_1409 Depth=2
	v_cmp_ne_u32_e32 vcc, s74, v24
	v_bfrev_b32_e32 v3, 1
	s_and_saveexec_b64 s[64:65], vcc
	s_cbranch_execz .LBB2_1535
; %bb.1532:                             ;   in Loop: Header=BB2_1409 Depth=2
	v_bfe_u32 v5, v14, 24, 7
	v_cmp_ne_u32_e32 vcc, s75, v5
	v_mov_b32_e32 v3, 0x7f800001
	s_and_saveexec_b64 s[66:67], vcc
	s_cbranch_execz .LBB2_1534
; %bb.1533:                             ;   in Loop: Header=BB2_1409 Depth=2
	v_and_b32_e32 v0, 7, v24
	v_ffbh_u32_e32 v25, v0
	v_min_u32_e32 v25, 32, v25
	v_subrev_u32_e32 v26, 28, v25
	v_lshlrev_b64 v[26:27], v26, v[24:25]
	v_lshrrev_b32_e32 v3, 3, v5
	v_sub_u32_e32 v25, 29, v25
	v_and_b32_e32 v26, 7, v26
	v_cmp_gt_u32_e32 vcc, 8, v5
	v_cndmask_b32_e32 v3, v3, v25, vcc
	v_cndmask_b32_e32 v0, v0, v26, vcc
	v_lshlrev_b32_e32 v5, 24, v24
	v_bfrev_b32_e32 v25, 60
	v_lshlrev_b32_e32 v0, 20, v0
	v_and_b32_e32 v5, 0x80000000, v5
	v_lshl_add_u32 v3, v3, 23, v25
	v_or3_b32 v3, v5, v3, v0
.LBB2_1534:                             ;   in Loop: Header=BB2_1409 Depth=2
	s_or_b64 exec, exec, s[66:67]
.LBB2_1535:                             ;   in Loop: Header=BB2_1409 Depth=2
	s_or_b64 exec, exec, s[64:65]
.LBB2_1536:                             ;   in Loop: Header=BB2_1409 Depth=2
	s_or_b64 exec, exec, s[62:63]
	v_cmp_lt_u32_e32 vcc, s49, v10
	s_and_saveexec_b64 s[62:63], vcc
	s_cbranch_execz .LBB2_1542
; %bb.1537:                             ;   in Loop: Header=BB2_1409 Depth=2
	v_cmp_ne_u32_e32 vcc, s74, v2
	v_bfrev_b32_e32 v4, 1
	s_and_saveexec_b64 s[64:65], vcc
	s_cbranch_execz .LBB2_1541
; %bb.1538:                             ;   in Loop: Header=BB2_1409 Depth=2
	v_bfe_u32 v5, v10, 24, 7
	v_cmp_ne_u32_e32 vcc, s75, v5
	v_mov_b32_e32 v4, 0x7f800001
	s_and_saveexec_b64 s[66:67], vcc
	s_cbranch_execz .LBB2_1540
; %bb.1539:                             ;   in Loop: Header=BB2_1409 Depth=2
	v_and_b32_e32 v0, 7, v2
	v_ffbh_u32_e32 v25, v0
	v_min_u32_e32 v25, 32, v25
	v_subrev_u32_e32 v26, 28, v25
	v_lshlrev_b64 v[26:27], v26, v[2:3]
	v_lshrrev_b32_e32 v4, 3, v5
	v_sub_u32_e32 v25, 29, v25
	v_and_b32_e32 v26, 7, v26
	v_cmp_gt_u32_e32 vcc, 8, v5
	v_cndmask_b32_e32 v4, v4, v25, vcc
	v_cndmask_b32_e32 v0, v0, v26, vcc
	v_lshlrev_b32_e32 v5, 24, v2
	v_bfrev_b32_e32 v25, 60
	v_lshlrev_b32_e32 v0, 20, v0
	v_and_b32_e32 v5, 0x80000000, v5
	v_lshl_add_u32 v4, v4, 23, v25
	v_or3_b32 v4, v5, v4, v0
.LBB2_1540:                             ;   in Loop: Header=BB2_1409 Depth=2
	s_or_b64 exec, exec, s[66:67]
.LBB2_1541:                             ;   in Loop: Header=BB2_1409 Depth=2
	s_or_b64 exec, exec, s[64:65]
.LBB2_1542:                             ;   in Loop: Header=BB2_1409 Depth=2
	s_or_b64 exec, exec, s[62:63]
	v_max_f32_e32 v0, v4, v4
	v_max_f32_e32 v3, v3, v3
	;; [unrolled: 1-line block ×3, first 2 shown]
	s_branch .LBB2_1557
.LBB2_1543:                             ;   in Loop: Header=BB2_1409 Depth=2
                                        ; implicit-def: $vgpr3
	s_cbranch_execz .LBB2_1557
; %bb.1544:                             ;   in Loop: Header=BB2_1409 Depth=2
	v_mov_b32_e32 v4, 0
	v_mov_b32_e32 v3, 0
	s_and_saveexec_b64 s[62:63], s[24:25]
	s_cbranch_execz .LBB2_1550
; %bb.1545:                             ;   in Loop: Header=BB2_1409 Depth=2
	v_cmp_ne_u32_e32 vcc, s74, v24
	v_bfrev_b32_e32 v3, 1
	s_and_saveexec_b64 s[24:25], vcc
	s_cbranch_execz .LBB2_1549
; %bb.1546:                             ;   in Loop: Header=BB2_1409 Depth=2
	v_bfe_u32 v5, v14, 24, 7
	v_cmp_ne_u32_e32 vcc, s75, v5
	v_mov_b32_e32 v3, 0x7f800001
	s_and_saveexec_b64 s[64:65], vcc
	s_cbranch_execz .LBB2_1548
; %bb.1547:                             ;   in Loop: Header=BB2_1409 Depth=2
	v_and_b32_e32 v0, 7, v24
	v_ffbh_u32_e32 v25, v0
	v_min_u32_e32 v25, 32, v25
	v_subrev_u32_e32 v26, 28, v25
	v_lshlrev_b64 v[26:27], v26, v[24:25]
	v_lshrrev_b32_e32 v3, 3, v5
	v_sub_u32_e32 v25, 29, v25
	v_and_b32_e32 v26, 7, v26
	v_cmp_gt_u32_e32 vcc, 8, v5
	v_cndmask_b32_e32 v3, v3, v25, vcc
	v_cndmask_b32_e32 v0, v0, v26, vcc
	v_lshlrev_b32_e32 v5, 24, v24
	v_bfrev_b32_e32 v24, 60
	v_lshlrev_b32_e32 v0, 20, v0
	v_and_b32_e32 v5, 0x80000000, v5
	v_lshl_add_u32 v3, v3, 23, v24
	v_or3_b32 v3, v5, v3, v0
.LBB2_1548:                             ;   in Loop: Header=BB2_1409 Depth=2
	s_or_b64 exec, exec, s[64:65]
.LBB2_1549:                             ;   in Loop: Header=BB2_1409 Depth=2
	s_or_b64 exec, exec, s[24:25]
.LBB2_1550:                             ;   in Loop: Header=BB2_1409 Depth=2
	s_or_b64 exec, exec, s[62:63]
	v_cmp_lt_u32_e32 vcc, s49, v10
	s_and_saveexec_b64 s[24:25], vcc
	s_cbranch_execz .LBB2_1556
; %bb.1551:                             ;   in Loop: Header=BB2_1409 Depth=2
	v_cmp_ne_u32_e32 vcc, s74, v2
	v_bfrev_b32_e32 v4, 1
	s_and_saveexec_b64 s[62:63], vcc
	s_cbranch_execz .LBB2_1555
; %bb.1552:                             ;   in Loop: Header=BB2_1409 Depth=2
	v_bfe_u32 v5, v10, 24, 7
	v_cmp_ne_u32_e32 vcc, s75, v5
	v_mov_b32_e32 v4, 0x7f800001
	s_and_saveexec_b64 s[64:65], vcc
	s_cbranch_execz .LBB2_1554
; %bb.1553:                             ;   in Loop: Header=BB2_1409 Depth=2
	v_and_b32_e32 v0, 7, v2
	v_ffbh_u32_e32 v24, v0
	v_min_u32_e32 v26, 32, v24
	v_subrev_u32_e32 v24, 28, v26
	v_lshlrev_b64 v[24:25], v24, v[2:3]
	v_lshrrev_b32_e32 v4, 3, v5
	v_sub_u32_e32 v25, 29, v26
	v_and_b32_e32 v24, 7, v24
	v_cmp_gt_u32_e32 vcc, 8, v5
	v_cndmask_b32_e32 v4, v4, v25, vcc
	v_cndmask_b32_e32 v0, v0, v24, vcc
	v_lshlrev_b32_e32 v2, 24, v2
	v_bfrev_b32_e32 v5, 60
	v_lshlrev_b32_e32 v0, 20, v0
	v_and_b32_e32 v2, 0x80000000, v2
	v_lshl_add_u32 v4, v4, 23, v5
	v_or3_b32 v4, v2, v4, v0
.LBB2_1554:                             ;   in Loop: Header=BB2_1409 Depth=2
	s_or_b64 exec, exec, s[64:65]
.LBB2_1555:                             ;   in Loop: Header=BB2_1409 Depth=2
	s_or_b64 exec, exec, s[62:63]
.LBB2_1556:                             ;   in Loop: Header=BB2_1409 Depth=2
	s_or_b64 exec, exec, s[24:25]
	v_max_f32_e32 v0, v4, v4
	v_max_f32_e32 v2, v3, v3
	v_min_f32_e32 v3, v2, v0
.LBB2_1557:                             ;   in Loop: Header=BB2_1409 Depth=2
	v_and_b32_sdwa v4, v3, s74 dst_sel:DWORD dst_unused:UNUSED_PAD src0_sel:BYTE_3 src1_sel:DWORD
	v_and_b32_e32 v24, 0x7f800000, v3
	v_mov_b32_e32 v25, v55
	v_and_b32_e32 v54, 0x7fffff, v3
	v_or_b32_e32 v52, 0x7e, v4
	v_cmp_ne_u64_e32 vcc, s[44:45], v[24:25]
	s_and_saveexec_b64 s[24:25], vcc
	s_xor_b64 s[62:63], exec, s[24:25]
	s_cbranch_execz .LBB2_1567
; %bb.1558:                             ;   in Loop: Header=BB2_1409 Depth=2
	v_and_b32_e32 v24, 0x7fffffff, v3
	v_mov_b32_e32 v25, v55
	v_cmp_gt_u64_e32 vcc, s[46:47], v[24:25]
	s_and_saveexec_b64 s[64:65], vcc
	s_cbranch_execz .LBB2_1566
; %bb.1559:                             ;   in Loop: Header=BB2_1409 Depth=2
	v_cmp_ne_u32_e32 vcc, 0, v3
	v_mov_b32_e32 v52, 0
	s_and_saveexec_b64 s[66:67], vcc
	s_cbranch_execz .LBB2_1565
; %bb.1560:                             ;   in Loop: Header=BB2_1409 Depth=2
	v_bfe_u32 v0, v3, 23, 8
	v_sub_u32_e32 v3, 0x79, v0
	v_cmp_gt_u32_e32 vcc, s77, v0
	v_add_u32_e32 v2, 0xffffff81, v0
	v_cndmask_b32_e32 v3, 0, v3, vcc
	v_cmp_eq_u32_e32 vcc, 0, v0
	v_mov_b32_e32 v0, 0xffffff82
	v_cndmask_b32_e32 v0, v2, v0, vcc
	v_mov_b32_e32 v2, 0x78
	v_or_b32_e32 v5, 0x800000, v54
	v_cndmask_b32_e32 v24, v3, v2, vcc
	v_cndmask_b32_e32 v54, v5, v54, vcc
	v_add_u32_e32 v2, 20, v24
	v_lshlrev_b64 v[2:3], v2, -1
	v_add_u32_e32 v5, 19, v24
	v_lshrrev_b64 v[28:29], v24, v[54:55]
	v_not_b32_e32 v3, v3
	v_not_b32_e32 v2, v2
	v_lshlrev_b64 v[26:27], v5, 1
	v_lshrrev_b32_e32 v5, 23, v28
	v_and_b32_e32 v3, 0, v3
	v_and_b32_e32 v2, v54, v2
	v_add3_u32 v25, v24, v0, v5
	v_bfe_u32 v0, v28, 20, 1
	v_add_u32_e32 v0, -1, v0
	v_cmp_eq_u64_e32 vcc, v[2:3], v[26:27]
	v_cndmask_b32_e32 v0, 0, v0, vcc
	v_add_u32_e32 v0, v0, v28
	v_and_b32_e32 v0, 0xfffff, v0
	v_add_co_u32_e32 v2, vcc, v0, v28
	v_add_u32_e32 v24, 6, v25
	v_addc_co_u32_e32 v3, vcc, 0, v29, vcc
	v_cmp_ne_u32_e32 vcc, 0, v24
                                        ; implicit-def: $vgpr5
	s_and_saveexec_b64 s[24:25], vcc
	s_xor_b64 s[24:25], exec, s[24:25]
; %bb.1561:                             ;   in Loop: Header=BB2_1409 Depth=2
	v_add_u32_e32 v0, 7, v25
	v_cmp_lt_u64_e32 vcc, s[50:51], v[2:3]
	v_cndmask_b32_e32 v5, v24, v0, vcc
	v_cndmask_b32_e64 v0, 0, 1, vcc
	v_lshrrev_b64 v[2:3], v0, v[2:3]
; %bb.1562:                             ;   in Loop: Header=BB2_1409 Depth=2
	s_andn2_saveexec_b64 s[24:25], s[24:25]
; %bb.1563:                             ;   in Loop: Header=BB2_1409 Depth=2
	v_bfe_u32 v5, v2, 23, 1
; %bb.1564:                             ;   in Loop: Header=BB2_1409 Depth=2
	s_or_b64 exec, exec, s[24:25]
	v_lshrrev_b64 v[2:3], 20, v[2:3]
	v_cmp_gt_i32_e32 vcc, 16, v5
	v_cndmask_b32_e32 v3, 0, v3, vcc
	v_cndmask_b32_e32 v2, 7, v2, vcc
	v_min_i32_e32 v0, 15, v5
	v_cmp_eq_u32_e32 vcc, 0, v5
	v_cmp_eq_u64_e64 s[24:25], 0, v[2:3]
	v_lshlrev_b32_e32 v0, 3, v0
	v_and_or_b32 v0, v2, 7, v0
	s_and_b64 s[24:25], vcc, s[24:25]
	v_cndmask_b32_e64 v0, v0, 0, s[24:25]
	v_or_b32_e32 v52, v0, v4
.LBB2_1565:                             ;   in Loop: Header=BB2_1409 Depth=2
	s_or_b64 exec, exec, s[66:67]
.LBB2_1566:                             ;   in Loop: Header=BB2_1409 Depth=2
	s_or_b64 exec, exec, s[64:65]
                                        ; implicit-def: $vgpr3
.LBB2_1567:                             ;   in Loop: Header=BB2_1409 Depth=2
	s_andn2_saveexec_b64 s[24:25], s[62:63]
; %bb.1568:                             ;   in Loop: Header=BB2_1409 Depth=2
	v_or_b32_sdwa v0, v3, s75 dst_sel:DWORD dst_unused:UNUSED_PAD src0_sel:BYTE_3 src1_sel:DWORD
	v_cmp_eq_u64_e32 vcc, 0, v[54:55]
	v_cndmask_b32_e32 v52, v0, v52, vcc
; %bb.1569:                             ;   in Loop: Header=BB2_1409 Depth=2
	s_or_b64 exec, exec, s[24:25]
	v_mov_b32_e32 v54, v15
	v_mov_b32_e32 v24, v11
	;; [unrolled: 1-line block ×3, first 2 shown]
	v_cmp_ne_u16_sdwa s[24:25], v15, v55 src0_sel:BYTE_0 src1_sel:DWORD
	s_and_b64 vcc, exec, s[60:61]
	s_cbranch_vccz .LBB2_1583
; %bb.1570:                             ;   in Loop: Header=BB2_1409 Depth=2
	v_mov_b32_e32 v3, 0
	v_mov_b32_e32 v2, 0
	s_and_saveexec_b64 s[62:63], s[24:25]
	s_cbranch_execz .LBB2_1576
; %bb.1571:                             ;   in Loop: Header=BB2_1409 Depth=2
	v_cmp_ne_u16_sdwa vcc, v15, s74 src0_sel:BYTE_0 src1_sel:DWORD
	v_bfrev_b32_e32 v2, 1
	s_and_saveexec_b64 s[64:65], vcc
	s_cbranch_execz .LBB2_1575
; %bb.1572:                             ;   in Loop: Header=BB2_1409 Depth=2
	v_and_b32_e32 v4, 0x7f, v15
	v_cmp_ne_u32_e32 vcc, s75, v4
	v_mov_b32_e32 v2, 0x7f800001
	s_and_saveexec_b64 s[66:67], vcc
	s_cbranch_execz .LBB2_1574
; %bb.1573:                             ;   in Loop: Header=BB2_1409 Depth=2
	v_and_b32_e32 v0, 7, v15
	v_ffbh_u32_e32 v0, v0
	v_min_u32_e32 v0, 32, v0
	v_lshrrev_b32_e32 v2, 3, v4
	v_subrev_u32_e32 v5, 28, v0
	v_sub_u32_e32 v0, 29, v0
	v_cmp_gt_u32_e32 vcc, 8, v4
	v_cndmask_b32_e32 v0, v2, v0, vcc
	v_cndmask_b32_e32 v2, 0, v5, vcc
	v_lshlrev_b64 v[4:5], v2, v[54:55]
	v_lshlrev_b32_e32 v2, 20, v4
	v_lshlrev_b32_e32 v4, 24, v54
	v_bfrev_b32_e32 v5, 60
	v_and_b32_e32 v2, 0x700000, v2
	v_and_b32_e32 v4, 0x80000000, v4
	v_lshl_add_u32 v0, v0, 23, v5
	v_or3_b32 v2, v4, v0, v2
.LBB2_1574:                             ;   in Loop: Header=BB2_1409 Depth=2
	s_or_b64 exec, exec, s[66:67]
.LBB2_1575:                             ;   in Loop: Header=BB2_1409 Depth=2
	s_or_b64 exec, exec, s[64:65]
.LBB2_1576:                             ;   in Loop: Header=BB2_1409 Depth=2
	s_or_b64 exec, exec, s[62:63]
	v_cmp_ne_u16_sdwa vcc, v11, v55 src0_sel:BYTE_0 src1_sel:DWORD
	s_and_saveexec_b64 s[62:63], vcc
	s_cbranch_execz .LBB2_1582
; %bb.1577:                             ;   in Loop: Header=BB2_1409 Depth=2
	v_cmp_ne_u16_sdwa vcc, v11, s74 src0_sel:BYTE_0 src1_sel:DWORD
	v_bfrev_b32_e32 v3, 1
	s_and_saveexec_b64 s[64:65], vcc
	s_cbranch_execz .LBB2_1581
; %bb.1578:                             ;   in Loop: Header=BB2_1409 Depth=2
	v_and_b32_e32 v4, 0x7f, v11
	v_cmp_ne_u32_e32 vcc, s75, v4
	v_mov_b32_e32 v3, 0x7f800001
	s_and_saveexec_b64 s[66:67], vcc
	s_cbranch_execz .LBB2_1580
; %bb.1579:                             ;   in Loop: Header=BB2_1409 Depth=2
	v_and_b32_e32 v0, 7, v11
	v_ffbh_u32_e32 v0, v0
	v_min_u32_e32 v0, 32, v0
	v_lshrrev_b32_e32 v3, 3, v4
	v_subrev_u32_e32 v5, 28, v0
	v_sub_u32_e32 v0, 29, v0
	v_cmp_gt_u32_e32 vcc, 8, v4
	v_cndmask_b32_e32 v0, v3, v0, vcc
	v_cndmask_b32_e32 v3, 0, v5, vcc
	v_lshlrev_b64 v[4:5], v3, v[24:25]
	v_lshlrev_b32_e32 v3, 20, v4
	v_lshlrev_b32_e32 v4, 24, v24
	v_bfrev_b32_e32 v5, 60
	v_and_b32_e32 v3, 0x700000, v3
	v_and_b32_e32 v4, 0x80000000, v4
	v_lshl_add_u32 v0, v0, 23, v5
	v_or3_b32 v3, v4, v0, v3
.LBB2_1580:                             ;   in Loop: Header=BB2_1409 Depth=2
	s_or_b64 exec, exec, s[66:67]
.LBB2_1581:                             ;   in Loop: Header=BB2_1409 Depth=2
	s_or_b64 exec, exec, s[64:65]
.LBB2_1582:                             ;   in Loop: Header=BB2_1409 Depth=2
	s_or_b64 exec, exec, s[62:63]
	v_max_f32_e32 v0, v3, v3
	v_max_f32_e32 v2, v2, v2
	;; [unrolled: 1-line block ×3, first 2 shown]
	s_branch .LBB2_1597
.LBB2_1583:                             ;   in Loop: Header=BB2_1409 Depth=2
                                        ; implicit-def: $vgpr5
	s_cbranch_execz .LBB2_1597
; %bb.1584:                             ;   in Loop: Header=BB2_1409 Depth=2
	v_mov_b32_e32 v3, 0
	v_mov_b32_e32 v2, 0
	s_and_saveexec_b64 s[62:63], s[24:25]
	s_cbranch_execz .LBB2_1590
; %bb.1585:                             ;   in Loop: Header=BB2_1409 Depth=2
	v_cmp_ne_u16_sdwa vcc, v15, s74 src0_sel:BYTE_0 src1_sel:DWORD
	v_bfrev_b32_e32 v2, 1
	s_and_saveexec_b64 s[24:25], vcc
	s_cbranch_execz .LBB2_1589
; %bb.1586:                             ;   in Loop: Header=BB2_1409 Depth=2
	v_and_b32_e32 v4, 0x7f, v15
	v_cmp_ne_u32_e32 vcc, s75, v4
	v_mov_b32_e32 v2, 0x7f800001
	s_and_saveexec_b64 s[64:65], vcc
	s_cbranch_execz .LBB2_1588
; %bb.1587:                             ;   in Loop: Header=BB2_1409 Depth=2
	v_and_b32_e32 v0, 7, v15
	v_ffbh_u32_e32 v0, v0
	v_min_u32_e32 v0, 32, v0
	v_lshrrev_b32_e32 v2, 3, v4
	v_subrev_u32_e32 v5, 28, v0
	v_sub_u32_e32 v0, 29, v0
	v_cmp_gt_u32_e32 vcc, 8, v4
	v_cndmask_b32_e32 v0, v2, v0, vcc
	v_cndmask_b32_e32 v2, 0, v5, vcc
	v_lshlrev_b64 v[4:5], v2, v[54:55]
	v_lshlrev_b32_e32 v2, 20, v4
	v_lshlrev_b32_e32 v4, 24, v54
	v_bfrev_b32_e32 v5, 60
	v_and_b32_e32 v2, 0x700000, v2
	v_and_b32_e32 v4, 0x80000000, v4
	v_lshl_add_u32 v0, v0, 23, v5
	v_or3_b32 v2, v4, v0, v2
.LBB2_1588:                             ;   in Loop: Header=BB2_1409 Depth=2
	s_or_b64 exec, exec, s[64:65]
.LBB2_1589:                             ;   in Loop: Header=BB2_1409 Depth=2
	s_or_b64 exec, exec, s[24:25]
.LBB2_1590:                             ;   in Loop: Header=BB2_1409 Depth=2
	s_or_b64 exec, exec, s[62:63]
	v_cmp_ne_u16_sdwa vcc, v11, v55 src0_sel:BYTE_0 src1_sel:DWORD
	s_and_saveexec_b64 s[24:25], vcc
	s_cbranch_execz .LBB2_1596
; %bb.1591:                             ;   in Loop: Header=BB2_1409 Depth=2
	v_cmp_ne_u16_sdwa vcc, v11, s74 src0_sel:BYTE_0 src1_sel:DWORD
	v_bfrev_b32_e32 v3, 1
	s_and_saveexec_b64 s[62:63], vcc
	s_cbranch_execz .LBB2_1595
; %bb.1592:                             ;   in Loop: Header=BB2_1409 Depth=2
	v_and_b32_e32 v4, 0x7f, v11
	v_cmp_ne_u32_e32 vcc, s75, v4
	v_mov_b32_e32 v3, 0x7f800001
	s_and_saveexec_b64 s[64:65], vcc
	s_cbranch_execz .LBB2_1594
; %bb.1593:                             ;   in Loop: Header=BB2_1409 Depth=2
	v_and_b32_e32 v0, 7, v11
	v_ffbh_u32_e32 v0, v0
	v_min_u32_e32 v0, 32, v0
	v_lshrrev_b32_e32 v3, 3, v4
	v_subrev_u32_e32 v5, 28, v0
	v_sub_u32_e32 v0, 29, v0
	v_cmp_gt_u32_e32 vcc, 8, v4
	v_cndmask_b32_e32 v0, v3, v0, vcc
	v_cndmask_b32_e32 v3, 0, v5, vcc
	v_lshlrev_b64 v[4:5], v3, v[24:25]
	v_lshlrev_b32_e32 v3, 20, v4
	v_lshlrev_b32_e32 v4, 24, v24
	v_bfrev_b32_e32 v5, 60
	v_and_b32_e32 v3, 0x700000, v3
	v_and_b32_e32 v4, 0x80000000, v4
	v_lshl_add_u32 v0, v0, 23, v5
	v_or3_b32 v3, v4, v0, v3
.LBB2_1594:                             ;   in Loop: Header=BB2_1409 Depth=2
	s_or_b64 exec, exec, s[64:65]
.LBB2_1595:                             ;   in Loop: Header=BB2_1409 Depth=2
	s_or_b64 exec, exec, s[62:63]
.LBB2_1596:                             ;   in Loop: Header=BB2_1409 Depth=2
	s_or_b64 exec, exec, s[24:25]
	v_max_f32_e32 v0, v3, v3
	v_max_f32_e32 v2, v2, v2
	v_min_f32_e32 v5, v2, v0
.LBB2_1597:                             ;   in Loop: Header=BB2_1409 Depth=2
	v_and_b32_sdwa v4, v5, s74 dst_sel:DWORD dst_unused:UNUSED_PAD src0_sel:BYTE_3 src1_sel:DWORD
	v_and_b32_e32 v26, 0x7f800000, v5
	v_mov_b32_e32 v27, v55
	v_and_b32_e32 v2, 0x7fffff, v5
	v_mov_b32_e32 v3, v55
	v_or_b32_e32 v25, 0x7e, v4
	v_cmp_ne_u64_e32 vcc, s[44:45], v[26:27]
	s_and_saveexec_b64 s[24:25], vcc
	s_xor_b64 s[62:63], exec, s[24:25]
	s_cbranch_execz .LBB2_1607
; %bb.1598:                             ;   in Loop: Header=BB2_1409 Depth=2
	v_and_b32_e32 v26, 0x7fffffff, v5
	v_mov_b32_e32 v27, v55
	v_cmp_gt_u64_e32 vcc, s[46:47], v[26:27]
	s_and_saveexec_b64 s[64:65], vcc
	s_cbranch_execz .LBB2_1606
; %bb.1599:                             ;   in Loop: Header=BB2_1409 Depth=2
	v_cmp_ne_u32_e32 vcc, 0, v5
	v_mov_b32_e32 v25, 0
	s_and_saveexec_b64 s[66:67], vcc
	s_cbranch_execz .LBB2_1605
; %bb.1600:                             ;   in Loop: Header=BB2_1409 Depth=2
	v_bfe_u32 v0, v5, 23, 8
	v_sub_u32_e32 v25, 0x79, v0
	v_cmp_gt_u32_e32 vcc, s77, v0
	v_add_u32_e32 v5, 0xffffff81, v0
	v_cndmask_b32_e32 v25, 0, v25, vcc
	v_cmp_eq_u32_e32 vcc, 0, v0
	v_mov_b32_e32 v0, 0xffffff82
	v_cndmask_b32_e32 v0, v5, v0, vcc
	v_mov_b32_e32 v5, 0x78
	v_cndmask_b32_e32 v5, v25, v5, vcc
	v_or_b32_e32 v26, 0x800000, v2
	v_add_u32_e32 v25, 20, v5
	v_cndmask_b32_e32 v2, v26, v2, vcc
	v_lshlrev_b64 v[26:27], v25, -1
	v_not_b32_e32 v25, v27
	v_not_b32_e32 v26, v26
	v_and_b32_e32 v29, 0, v25
	v_and_b32_e32 v28, v2, v26
	v_add_u32_e32 v25, 19, v5
	v_lshrrev_b64 v[2:3], v5, v[2:3]
	v_lshlrev_b64 v[38:39], v25, 1
	v_lshrrev_b32_e32 v25, 23, v2
	v_add3_u32 v26, v5, v0, v25
	v_bfe_u32 v0, v2, 20, 1
	v_add_u32_e32 v0, -1, v0
	v_cmp_eq_u64_e32 vcc, v[28:29], v[38:39]
	v_cndmask_b32_e32 v0, 0, v0, vcc
	v_add_u32_e32 v0, v0, v2
	v_and_b32_e32 v0, 0xfffff, v0
	v_add_co_u32_e32 v2, vcc, v0, v2
	v_add_u32_e32 v25, 6, v26
	v_addc_co_u32_e32 v3, vcc, 0, v3, vcc
	v_cmp_ne_u32_e32 vcc, 0, v25
                                        ; implicit-def: $vgpr5
	s_and_saveexec_b64 s[24:25], vcc
	s_xor_b64 s[24:25], exec, s[24:25]
; %bb.1601:                             ;   in Loop: Header=BB2_1409 Depth=2
	v_add_u32_e32 v0, 7, v26
	v_cmp_lt_u64_e32 vcc, s[50:51], v[2:3]
	v_cndmask_b32_e32 v5, v25, v0, vcc
	v_cndmask_b32_e64 v0, 0, 1, vcc
	v_lshrrev_b64 v[2:3], v0, v[2:3]
; %bb.1602:                             ;   in Loop: Header=BB2_1409 Depth=2
	s_andn2_saveexec_b64 s[24:25], s[24:25]
; %bb.1603:                             ;   in Loop: Header=BB2_1409 Depth=2
	v_bfe_u32 v5, v2, 23, 1
; %bb.1604:                             ;   in Loop: Header=BB2_1409 Depth=2
	s_or_b64 exec, exec, s[24:25]
	v_lshrrev_b64 v[2:3], 20, v[2:3]
	v_cmp_gt_i32_e32 vcc, 16, v5
	v_cndmask_b32_e32 v3, 0, v3, vcc
	v_cndmask_b32_e32 v2, 7, v2, vcc
	v_min_i32_e32 v0, 15, v5
	v_cmp_eq_u32_e32 vcc, 0, v5
	v_cmp_eq_u64_e64 s[24:25], 0, v[2:3]
	v_lshlrev_b32_e32 v0, 3, v0
	v_and_or_b32 v0, v2, 7, v0
	s_and_b64 s[24:25], vcc, s[24:25]
	v_cndmask_b32_e64 v0, v0, 0, s[24:25]
	v_or_b32_e32 v25, v0, v4
.LBB2_1605:                             ;   in Loop: Header=BB2_1409 Depth=2
	s_or_b64 exec, exec, s[66:67]
.LBB2_1606:                             ;   in Loop: Header=BB2_1409 Depth=2
	s_or_b64 exec, exec, s[64:65]
                                        ; implicit-def: $vgpr5
                                        ; implicit-def: $vgpr2_vgpr3
.LBB2_1607:                             ;   in Loop: Header=BB2_1409 Depth=2
	s_andn2_saveexec_b64 s[24:25], s[62:63]
; %bb.1608:                             ;   in Loop: Header=BB2_1409 Depth=2
	v_or_b32_sdwa v0, v5, s75 dst_sel:DWORD dst_unused:UNUSED_PAD src0_sel:BYTE_3 src1_sel:DWORD
	v_cmp_eq_u64_e32 vcc, 0, v[2:3]
	v_cndmask_b32_e32 v25, v0, v25, vcc
; %bb.1609:                             ;   in Loop: Header=BB2_1409 Depth=2
	s_or_b64 exec, exec, s[24:25]
	v_lshrrev_b16_e32 v28, 8, v54
	v_lshrrev_b16_e32 v2, 8, v24
	v_cmp_ne_u16_e64 s[24:25], 0, v28
	s_and_b64 vcc, exec, s[60:61]
	s_cbranch_vccz .LBB2_1623
; %bb.1610:                             ;   in Loop: Header=BB2_1409 Depth=2
	v_mov_b32_e32 v4, 0
	v_mov_b32_e32 v3, 0
	s_and_saveexec_b64 s[62:63], s[24:25]
	s_cbranch_execz .LBB2_1616
; %bb.1611:                             ;   in Loop: Header=BB2_1409 Depth=2
	v_cmp_ne_u16_e32 vcc, s74, v28
	v_bfrev_b32_e32 v3, 1
	s_and_saveexec_b64 s[64:65], vcc
	s_cbranch_execz .LBB2_1615
; %bb.1612:                             ;   in Loop: Header=BB2_1409 Depth=2
	v_and_b32_e32 v5, 0x7f, v28
	v_cmp_ne_u32_e32 vcc, s75, v5
	v_mov_b32_e32 v3, 0x7f800001
	s_and_saveexec_b64 s[66:67], vcc
	s_cbranch_execz .LBB2_1614
; %bb.1613:                             ;   in Loop: Header=BB2_1409 Depth=2
	v_and_b32_e32 v0, 7, v28
	v_ffbh_u32_e32 v26, v0
	v_min_u32_e32 v29, 32, v26
	v_subrev_u32_e32 v26, 28, v29
	v_lshlrev_b64 v[26:27], v26, v[28:29]
	v_lshrrev_b32_e32 v3, 3, v5
	v_sub_u32_e32 v27, 29, v29
	v_and_b32_e32 v26, 7, v26
	v_cmp_gt_u32_e32 vcc, 8, v5
	v_cndmask_b32_e32 v3, v3, v27, vcc
	v_cndmask_b32_e32 v0, v0, v26, vcc
	v_lshlrev_b32_e32 v5, 16, v54
	v_bfrev_b32_e32 v26, 60
	v_lshlrev_b32_e32 v0, 20, v0
	v_and_b32_e32 v5, 0x80000000, v5
	v_lshl_add_u32 v3, v3, 23, v26
	v_or3_b32 v3, v5, v3, v0
.LBB2_1614:                             ;   in Loop: Header=BB2_1409 Depth=2
	s_or_b64 exec, exec, s[66:67]
.LBB2_1615:                             ;   in Loop: Header=BB2_1409 Depth=2
	s_or_b64 exec, exec, s[64:65]
.LBB2_1616:                             ;   in Loop: Header=BB2_1409 Depth=2
	s_or_b64 exec, exec, s[62:63]
	v_cmp_ne_u16_e32 vcc, 0, v2
	s_and_saveexec_b64 s[62:63], vcc
	s_cbranch_execz .LBB2_1622
; %bb.1617:                             ;   in Loop: Header=BB2_1409 Depth=2
	v_cmp_ne_u16_e32 vcc, s74, v2
	v_bfrev_b32_e32 v4, 1
	s_and_saveexec_b64 s[64:65], vcc
	s_cbranch_execz .LBB2_1621
; %bb.1618:                             ;   in Loop: Header=BB2_1409 Depth=2
	v_and_b32_e32 v5, 0x7f, v2
	v_cmp_ne_u32_e32 vcc, s75, v5
	v_mov_b32_e32 v4, 0x7f800001
	s_and_saveexec_b64 s[66:67], vcc
	s_cbranch_execz .LBB2_1620
; %bb.1619:                             ;   in Loop: Header=BB2_1409 Depth=2
	v_and_b32_e32 v0, 7, v2
	v_ffbh_u32_e32 v26, v0
	v_min_u32_e32 v29, 32, v26
	v_subrev_u32_e32 v26, 28, v29
	v_lshlrev_b64 v[26:27], v26, v[2:3]
	v_lshrrev_b32_e32 v4, 3, v5
	v_sub_u32_e32 v27, 29, v29
	v_and_b32_e32 v26, 7, v26
	v_cmp_gt_u32_e32 vcc, 8, v5
	v_cndmask_b32_e32 v4, v4, v27, vcc
	v_cndmask_b32_e32 v0, v0, v26, vcc
	v_lshlrev_b32_e32 v5, 16, v24
	v_bfrev_b32_e32 v26, 60
	v_lshlrev_b32_e32 v0, 20, v0
	v_and_b32_e32 v5, 0x80000000, v5
	v_lshl_add_u32 v4, v4, 23, v26
	v_or3_b32 v4, v5, v4, v0
.LBB2_1620:                             ;   in Loop: Header=BB2_1409 Depth=2
	s_or_b64 exec, exec, s[66:67]
.LBB2_1621:                             ;   in Loop: Header=BB2_1409 Depth=2
	s_or_b64 exec, exec, s[64:65]
.LBB2_1622:                             ;   in Loop: Header=BB2_1409 Depth=2
	s_or_b64 exec, exec, s[62:63]
	v_max_f32_e32 v0, v4, v4
	v_max_f32_e32 v3, v3, v3
	;; [unrolled: 1-line block ×3, first 2 shown]
	s_branch .LBB2_1637
.LBB2_1623:                             ;   in Loop: Header=BB2_1409 Depth=2
                                        ; implicit-def: $vgpr3
	s_cbranch_execz .LBB2_1637
; %bb.1624:                             ;   in Loop: Header=BB2_1409 Depth=2
	v_mov_b32_e32 v4, 0
	v_mov_b32_e32 v3, 0
	s_and_saveexec_b64 s[62:63], s[24:25]
	s_cbranch_execz .LBB2_1630
; %bb.1625:                             ;   in Loop: Header=BB2_1409 Depth=2
	v_cmp_ne_u16_e32 vcc, s74, v28
	v_bfrev_b32_e32 v3, 1
	s_and_saveexec_b64 s[24:25], vcc
	s_cbranch_execz .LBB2_1629
; %bb.1626:                             ;   in Loop: Header=BB2_1409 Depth=2
	v_and_b32_e32 v5, 0x7f, v28
	v_cmp_ne_u32_e32 vcc, s75, v5
	v_mov_b32_e32 v3, 0x7f800001
	s_and_saveexec_b64 s[64:65], vcc
	s_cbranch_execz .LBB2_1628
; %bb.1627:                             ;   in Loop: Header=BB2_1409 Depth=2
	v_and_b32_e32 v0, 7, v28
	v_ffbh_u32_e32 v26, v0
	v_min_u32_e32 v29, 32, v26
	v_subrev_u32_e32 v26, 28, v29
	v_lshlrev_b64 v[26:27], v26, v[28:29]
	v_lshrrev_b32_e32 v3, 3, v5
	v_sub_u32_e32 v27, 29, v29
	v_and_b32_e32 v26, 7, v26
	v_cmp_gt_u32_e32 vcc, 8, v5
	v_cndmask_b32_e32 v3, v3, v27, vcc
	v_cndmask_b32_e32 v0, v0, v26, vcc
	v_lshlrev_b32_e32 v5, 16, v54
	v_bfrev_b32_e32 v26, 60
	v_lshlrev_b32_e32 v0, 20, v0
	v_and_b32_e32 v5, 0x80000000, v5
	v_lshl_add_u32 v3, v3, 23, v26
	v_or3_b32 v3, v5, v3, v0
.LBB2_1628:                             ;   in Loop: Header=BB2_1409 Depth=2
	s_or_b64 exec, exec, s[64:65]
.LBB2_1629:                             ;   in Loop: Header=BB2_1409 Depth=2
	s_or_b64 exec, exec, s[24:25]
.LBB2_1630:                             ;   in Loop: Header=BB2_1409 Depth=2
	s_or_b64 exec, exec, s[62:63]
	v_cmp_ne_u16_e32 vcc, 0, v2
	s_and_saveexec_b64 s[24:25], vcc
	s_cbranch_execz .LBB2_1636
; %bb.1631:                             ;   in Loop: Header=BB2_1409 Depth=2
	v_cmp_ne_u16_e32 vcc, s74, v2
	v_bfrev_b32_e32 v4, 1
	s_and_saveexec_b64 s[62:63], vcc
	s_cbranch_execz .LBB2_1635
; %bb.1632:                             ;   in Loop: Header=BB2_1409 Depth=2
	v_and_b32_e32 v5, 0x7f, v2
	v_cmp_ne_u32_e32 vcc, s75, v5
	v_mov_b32_e32 v4, 0x7f800001
	s_and_saveexec_b64 s[64:65], vcc
	s_cbranch_execz .LBB2_1634
; %bb.1633:                             ;   in Loop: Header=BB2_1409 Depth=2
	v_and_b32_e32 v0, 7, v2
	v_ffbh_u32_e32 v26, v0
	v_min_u32_e32 v28, 32, v26
	v_subrev_u32_e32 v26, 28, v28
	v_lshlrev_b64 v[26:27], v26, v[2:3]
	v_lshrrev_b32_e32 v4, 3, v5
	v_sub_u32_e32 v2, 29, v28
	v_and_b32_e32 v26, 7, v26
	v_cmp_gt_u32_e32 vcc, 8, v5
	v_cndmask_b32_e32 v2, v4, v2, vcc
	v_cndmask_b32_e32 v0, v0, v26, vcc
	v_lshlrev_b32_e32 v4, 16, v24
	v_bfrev_b32_e32 v5, 60
	v_lshlrev_b32_e32 v0, 20, v0
	v_and_b32_e32 v4, 0x80000000, v4
	v_lshl_add_u32 v2, v2, 23, v5
	v_or3_b32 v4, v4, v2, v0
.LBB2_1634:                             ;   in Loop: Header=BB2_1409 Depth=2
	s_or_b64 exec, exec, s[64:65]
.LBB2_1635:                             ;   in Loop: Header=BB2_1409 Depth=2
	s_or_b64 exec, exec, s[62:63]
.LBB2_1636:                             ;   in Loop: Header=BB2_1409 Depth=2
	s_or_b64 exec, exec, s[24:25]
	v_max_f32_e32 v0, v4, v4
	v_max_f32_e32 v2, v3, v3
	v_min_f32_e32 v3, v2, v0
.LBB2_1637:                             ;   in Loop: Header=BB2_1409 Depth=2
	v_and_b32_sdwa v4, v3, s74 dst_sel:DWORD dst_unused:UNUSED_PAD src0_sel:BYTE_3 src1_sel:DWORD
	v_and_b32_e32 v26, 0x7f800000, v3
	v_mov_b32_e32 v27, v55
	v_and_b32_e32 v54, 0x7fffff, v3
	v_or_b32_e32 v28, 0x7e, v4
	v_cmp_ne_u64_e32 vcc, s[44:45], v[26:27]
	s_and_saveexec_b64 s[24:25], vcc
	s_xor_b64 s[62:63], exec, s[24:25]
	s_cbranch_execz .LBB2_1647
; %bb.1638:                             ;   in Loop: Header=BB2_1409 Depth=2
	v_and_b32_e32 v26, 0x7fffffff, v3
	v_mov_b32_e32 v27, v55
	v_cmp_gt_u64_e32 vcc, s[46:47], v[26:27]
	s_and_saveexec_b64 s[64:65], vcc
	s_cbranch_execz .LBB2_1646
; %bb.1639:                             ;   in Loop: Header=BB2_1409 Depth=2
	v_cmp_ne_u32_e32 vcc, 0, v3
	v_mov_b32_e32 v28, 0
	s_and_saveexec_b64 s[66:67], vcc
	s_cbranch_execz .LBB2_1645
; %bb.1640:                             ;   in Loop: Header=BB2_1409 Depth=2
	v_bfe_u32 v0, v3, 23, 8
	v_sub_u32_e32 v3, 0x79, v0
	v_cmp_gt_u32_e32 vcc, s77, v0
	v_add_u32_e32 v2, 0xffffff81, v0
	v_cndmask_b32_e32 v3, 0, v3, vcc
	v_cmp_eq_u32_e32 vcc, 0, v0
	v_mov_b32_e32 v0, 0xffffff82
	v_cndmask_b32_e32 v0, v2, v0, vcc
	v_mov_b32_e32 v2, 0x78
	v_or_b32_e32 v5, 0x800000, v54
	v_cndmask_b32_e32 v24, v3, v2, vcc
	v_cndmask_b32_e32 v54, v5, v54, vcc
	v_add_u32_e32 v2, 20, v24
	v_lshlrev_b64 v[2:3], v2, -1
	v_add_u32_e32 v5, 19, v24
	v_lshrrev_b64 v[38:39], v24, v[54:55]
	v_not_b32_e32 v3, v3
	v_not_b32_e32 v2, v2
	v_lshlrev_b64 v[28:29], v5, 1
	v_lshrrev_b32_e32 v5, 23, v38
	v_and_b32_e32 v3, 0, v3
	v_and_b32_e32 v2, v54, v2
	v_add3_u32 v26, v24, v0, v5
	v_bfe_u32 v0, v38, 20, 1
	v_add_u32_e32 v0, -1, v0
	v_cmp_eq_u64_e32 vcc, v[2:3], v[28:29]
	v_cndmask_b32_e32 v0, 0, v0, vcc
	v_add_u32_e32 v0, v0, v38
	v_and_b32_e32 v0, 0xfffff, v0
	v_add_co_u32_e32 v2, vcc, v0, v38
	v_add_u32_e32 v24, 6, v26
	v_addc_co_u32_e32 v3, vcc, 0, v39, vcc
	v_cmp_ne_u32_e32 vcc, 0, v24
                                        ; implicit-def: $vgpr5
	s_and_saveexec_b64 s[24:25], vcc
	s_xor_b64 s[24:25], exec, s[24:25]
; %bb.1641:                             ;   in Loop: Header=BB2_1409 Depth=2
	v_add_u32_e32 v0, 7, v26
	v_cmp_lt_u64_e32 vcc, s[50:51], v[2:3]
	v_cndmask_b32_e32 v5, v24, v0, vcc
	v_cndmask_b32_e64 v0, 0, 1, vcc
	v_lshrrev_b64 v[2:3], v0, v[2:3]
; %bb.1642:                             ;   in Loop: Header=BB2_1409 Depth=2
	s_andn2_saveexec_b64 s[24:25], s[24:25]
; %bb.1643:                             ;   in Loop: Header=BB2_1409 Depth=2
	v_bfe_u32 v5, v2, 23, 1
; %bb.1644:                             ;   in Loop: Header=BB2_1409 Depth=2
	s_or_b64 exec, exec, s[24:25]
	v_lshrrev_b64 v[2:3], 20, v[2:3]
	v_cmp_gt_i32_e32 vcc, 16, v5
	v_cndmask_b32_e32 v3, 0, v3, vcc
	v_cndmask_b32_e32 v2, 7, v2, vcc
	v_min_i32_e32 v0, 15, v5
	v_cmp_eq_u32_e32 vcc, 0, v5
	v_cmp_eq_u64_e64 s[24:25], 0, v[2:3]
	v_lshlrev_b32_e32 v0, 3, v0
	v_and_or_b32 v0, v2, 7, v0
	s_and_b64 s[24:25], vcc, s[24:25]
	v_cndmask_b32_e64 v0, v0, 0, s[24:25]
	v_or_b32_e32 v28, v0, v4
.LBB2_1645:                             ;   in Loop: Header=BB2_1409 Depth=2
	s_or_b64 exec, exec, s[66:67]
.LBB2_1646:                             ;   in Loop: Header=BB2_1409 Depth=2
	s_or_b64 exec, exec, s[64:65]
                                        ; implicit-def: $vgpr3
.LBB2_1647:                             ;   in Loop: Header=BB2_1409 Depth=2
	s_andn2_saveexec_b64 s[24:25], s[62:63]
; %bb.1648:                             ;   in Loop: Header=BB2_1409 Depth=2
	v_or_b32_sdwa v0, v3, s75 dst_sel:DWORD dst_unused:UNUSED_PAD src0_sel:BYTE_3 src1_sel:DWORD
	v_cmp_eq_u64_e32 vcc, 0, v[54:55]
	v_cndmask_b32_e32 v28, v0, v28, vcc
; %bb.1649:                             ;   in Loop: Header=BB2_1409 Depth=2
	s_or_b64 exec, exec, s[24:25]
	v_lshrrev_b32_e32 v24, 16, v15
	v_lshrrev_b32_e32 v2, 16, v11
	v_cmp_ne_u16_sdwa s[24:25], v24, v55 src0_sel:BYTE_0 src1_sel:DWORD
	s_and_b64 vcc, exec, s[60:61]
	s_cbranch_vccz .LBB2_1663
; %bb.1650:                             ;   in Loop: Header=BB2_1409 Depth=2
	v_mov_b32_e32 v4, 0
	v_mov_b32_e32 v3, 0
	s_and_saveexec_b64 s[62:63], s[24:25]
	s_cbranch_execz .LBB2_1656
; %bb.1651:                             ;   in Loop: Header=BB2_1409 Depth=2
	v_cmp_ne_u16_sdwa vcc, v24, s74 src0_sel:BYTE_0 src1_sel:DWORD
	v_bfrev_b32_e32 v3, 1
	s_and_saveexec_b64 s[64:65], vcc
	s_cbranch_execz .LBB2_1655
; %bb.1652:                             ;   in Loop: Header=BB2_1409 Depth=2
	v_bfe_u32 v5, v15, 16, 7
	v_cmp_ne_u32_e32 vcc, s75, v5
	v_mov_b32_e32 v3, 0x7f800001
	s_and_saveexec_b64 s[66:67], vcc
	s_cbranch_execz .LBB2_1654
; %bb.1653:                             ;   in Loop: Header=BB2_1409 Depth=2
	v_and_b32_e32 v0, 7, v24
	v_ffbh_u32_e32 v26, v0
	v_min_u32_e32 v29, 32, v26
	v_subrev_u32_e32 v26, 28, v29
	v_lshlrev_b64 v[26:27], v26, v[24:25]
	v_lshrrev_b32_e32 v3, 3, v5
	v_sub_u32_e32 v27, 29, v29
	v_and_b32_e32 v26, 7, v26
	v_cmp_gt_u32_e32 vcc, 8, v5
	v_cndmask_b32_e32 v3, v3, v27, vcc
	v_cndmask_b32_e32 v0, v0, v26, vcc
	v_lshlrev_b32_e32 v5, 24, v24
	v_bfrev_b32_e32 v26, 60
	v_lshlrev_b32_e32 v0, 20, v0
	v_and_b32_e32 v5, 0x80000000, v5
	v_lshl_add_u32 v3, v3, 23, v26
	v_or3_b32 v3, v5, v3, v0
.LBB2_1654:                             ;   in Loop: Header=BB2_1409 Depth=2
	s_or_b64 exec, exec, s[66:67]
.LBB2_1655:                             ;   in Loop: Header=BB2_1409 Depth=2
	s_or_b64 exec, exec, s[64:65]
.LBB2_1656:                             ;   in Loop: Header=BB2_1409 Depth=2
	s_or_b64 exec, exec, s[62:63]
	v_cmp_ne_u16_sdwa vcc, v2, v55 src0_sel:BYTE_0 src1_sel:DWORD
	s_and_saveexec_b64 s[62:63], vcc
	s_cbranch_execz .LBB2_1662
; %bb.1657:                             ;   in Loop: Header=BB2_1409 Depth=2
	v_cmp_ne_u16_sdwa vcc, v2, s74 src0_sel:BYTE_0 src1_sel:DWORD
	v_bfrev_b32_e32 v4, 1
	s_and_saveexec_b64 s[64:65], vcc
	s_cbranch_execz .LBB2_1661
; %bb.1658:                             ;   in Loop: Header=BB2_1409 Depth=2
	v_bfe_u32 v5, v11, 16, 7
	v_cmp_ne_u32_e32 vcc, s75, v5
	v_mov_b32_e32 v4, 0x7f800001
	s_and_saveexec_b64 s[66:67], vcc
	s_cbranch_execz .LBB2_1660
; %bb.1659:                             ;   in Loop: Header=BB2_1409 Depth=2
	v_and_b32_e32 v0, 7, v2
	v_ffbh_u32_e32 v26, v0
	v_min_u32_e32 v29, 32, v26
	v_subrev_u32_e32 v26, 28, v29
	v_lshlrev_b64 v[26:27], v26, v[2:3]
	v_lshrrev_b32_e32 v4, 3, v5
	v_sub_u32_e32 v27, 29, v29
	v_and_b32_e32 v26, 7, v26
	v_cmp_gt_u32_e32 vcc, 8, v5
	v_cndmask_b32_e32 v4, v4, v27, vcc
	v_cndmask_b32_e32 v0, v0, v26, vcc
	v_lshlrev_b32_e32 v5, 24, v2
	v_bfrev_b32_e32 v26, 60
	v_lshlrev_b32_e32 v0, 20, v0
	v_and_b32_e32 v5, 0x80000000, v5
	v_lshl_add_u32 v4, v4, 23, v26
	v_or3_b32 v4, v5, v4, v0
.LBB2_1660:                             ;   in Loop: Header=BB2_1409 Depth=2
	s_or_b64 exec, exec, s[66:67]
.LBB2_1661:                             ;   in Loop: Header=BB2_1409 Depth=2
	s_or_b64 exec, exec, s[64:65]
.LBB2_1662:                             ;   in Loop: Header=BB2_1409 Depth=2
	s_or_b64 exec, exec, s[62:63]
	v_max_f32_e32 v0, v4, v4
	v_max_f32_e32 v3, v3, v3
	;; [unrolled: 1-line block ×3, first 2 shown]
	s_branch .LBB2_1677
.LBB2_1663:                             ;   in Loop: Header=BB2_1409 Depth=2
                                        ; implicit-def: $vgpr3
	s_cbranch_execz .LBB2_1677
; %bb.1664:                             ;   in Loop: Header=BB2_1409 Depth=2
	v_mov_b32_e32 v4, 0
	v_mov_b32_e32 v3, 0
	s_and_saveexec_b64 s[62:63], s[24:25]
	s_cbranch_execz .LBB2_1670
; %bb.1665:                             ;   in Loop: Header=BB2_1409 Depth=2
	v_cmp_ne_u16_sdwa vcc, v24, s74 src0_sel:BYTE_0 src1_sel:DWORD
	v_bfrev_b32_e32 v3, 1
	s_and_saveexec_b64 s[24:25], vcc
	s_cbranch_execz .LBB2_1669
; %bb.1666:                             ;   in Loop: Header=BB2_1409 Depth=2
	v_bfe_u32 v5, v15, 16, 7
	v_cmp_ne_u32_e32 vcc, s75, v5
	v_mov_b32_e32 v3, 0x7f800001
	s_and_saveexec_b64 s[64:65], vcc
	s_cbranch_execz .LBB2_1668
; %bb.1667:                             ;   in Loop: Header=BB2_1409 Depth=2
	v_and_b32_e32 v0, 7, v24
	v_ffbh_u32_e32 v26, v0
	v_min_u32_e32 v29, 32, v26
	v_subrev_u32_e32 v26, 28, v29
	v_lshlrev_b64 v[26:27], v26, v[24:25]
	v_lshrrev_b32_e32 v3, 3, v5
	v_sub_u32_e32 v27, 29, v29
	v_and_b32_e32 v26, 7, v26
	v_cmp_gt_u32_e32 vcc, 8, v5
	v_cndmask_b32_e32 v3, v3, v27, vcc
	v_cndmask_b32_e32 v0, v0, v26, vcc
	v_lshlrev_b32_e32 v5, 24, v24
	v_bfrev_b32_e32 v24, 60
	v_lshlrev_b32_e32 v0, 20, v0
	v_and_b32_e32 v5, 0x80000000, v5
	v_lshl_add_u32 v3, v3, 23, v24
	v_or3_b32 v3, v5, v3, v0
.LBB2_1668:                             ;   in Loop: Header=BB2_1409 Depth=2
	s_or_b64 exec, exec, s[64:65]
.LBB2_1669:                             ;   in Loop: Header=BB2_1409 Depth=2
	s_or_b64 exec, exec, s[24:25]
.LBB2_1670:                             ;   in Loop: Header=BB2_1409 Depth=2
	s_or_b64 exec, exec, s[62:63]
	v_cmp_ne_u16_sdwa vcc, v2, v55 src0_sel:BYTE_0 src1_sel:DWORD
	s_and_saveexec_b64 s[24:25], vcc
	s_cbranch_execz .LBB2_1676
; %bb.1671:                             ;   in Loop: Header=BB2_1409 Depth=2
	v_cmp_ne_u16_sdwa vcc, v2, s74 src0_sel:BYTE_0 src1_sel:DWORD
	v_bfrev_b32_e32 v4, 1
	s_and_saveexec_b64 s[62:63], vcc
	s_cbranch_execz .LBB2_1675
; %bb.1672:                             ;   in Loop: Header=BB2_1409 Depth=2
	v_bfe_u32 v5, v11, 16, 7
	v_cmp_ne_u32_e32 vcc, s75, v5
	v_mov_b32_e32 v4, 0x7f800001
	s_and_saveexec_b64 s[64:65], vcc
	s_cbranch_execz .LBB2_1674
; %bb.1673:                             ;   in Loop: Header=BB2_1409 Depth=2
	v_and_b32_e32 v0, 7, v2
	v_ffbh_u32_e32 v24, v0
	v_min_u32_e32 v24, 32, v24
	v_subrev_u32_e32 v26, 28, v24
	v_lshlrev_b64 v[26:27], v26, v[2:3]
	v_lshrrev_b32_e32 v4, 3, v5
	v_sub_u32_e32 v24, 29, v24
	v_and_b32_e32 v26, 7, v26
	v_cmp_gt_u32_e32 vcc, 8, v5
	v_cndmask_b32_e32 v4, v4, v24, vcc
	v_cndmask_b32_e32 v0, v0, v26, vcc
	v_lshlrev_b32_e32 v2, 24, v2
	v_bfrev_b32_e32 v5, 60
	v_lshlrev_b32_e32 v0, 20, v0
	v_and_b32_e32 v2, 0x80000000, v2
	v_lshl_add_u32 v4, v4, 23, v5
	v_or3_b32 v4, v2, v4, v0
.LBB2_1674:                             ;   in Loop: Header=BB2_1409 Depth=2
	s_or_b64 exec, exec, s[64:65]
.LBB2_1675:                             ;   in Loop: Header=BB2_1409 Depth=2
	s_or_b64 exec, exec, s[62:63]
.LBB2_1676:                             ;   in Loop: Header=BB2_1409 Depth=2
	s_or_b64 exec, exec, s[24:25]
	v_max_f32_e32 v0, v4, v4
	v_max_f32_e32 v2, v3, v3
	v_min_f32_e32 v3, v2, v0
.LBB2_1677:                             ;   in Loop: Header=BB2_1409 Depth=2
	v_and_b32_sdwa v4, v3, s74 dst_sel:DWORD dst_unused:UNUSED_PAD src0_sel:BYTE_3 src1_sel:DWORD
	v_and_b32_e32 v26, 0x7f800000, v3
	v_mov_b32_e32 v27, v55
	v_and_b32_e32 v54, 0x7fffff, v3
	v_or_b32_e32 v29, 0x7e, v4
	v_cmp_ne_u64_e32 vcc, s[44:45], v[26:27]
	s_and_saveexec_b64 s[24:25], vcc
	s_xor_b64 s[62:63], exec, s[24:25]
	s_cbranch_execz .LBB2_1687
; %bb.1678:                             ;   in Loop: Header=BB2_1409 Depth=2
	v_and_b32_e32 v26, 0x7fffffff, v3
	v_mov_b32_e32 v27, v55
	v_cmp_gt_u64_e32 vcc, s[46:47], v[26:27]
	s_and_saveexec_b64 s[64:65], vcc
	s_cbranch_execz .LBB2_1686
; %bb.1679:                             ;   in Loop: Header=BB2_1409 Depth=2
	v_cmp_ne_u32_e32 vcc, 0, v3
	v_mov_b32_e32 v29, 0
	s_and_saveexec_b64 s[66:67], vcc
	s_cbranch_execz .LBB2_1685
; %bb.1680:                             ;   in Loop: Header=BB2_1409 Depth=2
	v_bfe_u32 v0, v3, 23, 8
	v_sub_u32_e32 v3, 0x79, v0
	v_cmp_gt_u32_e32 vcc, s77, v0
	v_add_u32_e32 v2, 0xffffff81, v0
	v_cndmask_b32_e32 v3, 0, v3, vcc
	v_cmp_eq_u32_e32 vcc, 0, v0
	v_mov_b32_e32 v0, 0xffffff82
	v_cndmask_b32_e32 v0, v2, v0, vcc
	v_mov_b32_e32 v2, 0x78
	v_or_b32_e32 v5, 0x800000, v54
	v_cndmask_b32_e32 v24, v3, v2, vcc
	v_cndmask_b32_e32 v54, v5, v54, vcc
	v_add_u32_e32 v2, 20, v24
	v_lshlrev_b64 v[2:3], v2, -1
	v_add_u32_e32 v5, 19, v24
	v_lshrrev_b64 v[48:49], v24, v[54:55]
	v_not_b32_e32 v3, v3
	v_not_b32_e32 v2, v2
	v_lshlrev_b64 v[38:39], v5, 1
	v_lshrrev_b32_e32 v5, 23, v48
	v_and_b32_e32 v3, 0, v3
	v_and_b32_e32 v2, v54, v2
	v_add3_u32 v26, v24, v0, v5
	v_bfe_u32 v0, v48, 20, 1
	v_add_u32_e32 v0, -1, v0
	v_cmp_eq_u64_e32 vcc, v[2:3], v[38:39]
	v_cndmask_b32_e32 v0, 0, v0, vcc
	v_add_u32_e32 v0, v0, v48
	v_and_b32_e32 v0, 0xfffff, v0
	v_add_co_u32_e32 v2, vcc, v0, v48
	v_add_u32_e32 v24, 6, v26
	v_addc_co_u32_e32 v3, vcc, 0, v49, vcc
	v_cmp_ne_u32_e32 vcc, 0, v24
                                        ; implicit-def: $vgpr5
	s_and_saveexec_b64 s[24:25], vcc
	s_xor_b64 s[24:25], exec, s[24:25]
; %bb.1681:                             ;   in Loop: Header=BB2_1409 Depth=2
	v_add_u32_e32 v0, 7, v26
	v_cmp_lt_u64_e32 vcc, s[50:51], v[2:3]
	v_cndmask_b32_e32 v5, v24, v0, vcc
	v_cndmask_b32_e64 v0, 0, 1, vcc
	v_lshrrev_b64 v[2:3], v0, v[2:3]
; %bb.1682:                             ;   in Loop: Header=BB2_1409 Depth=2
	s_andn2_saveexec_b64 s[24:25], s[24:25]
; %bb.1683:                             ;   in Loop: Header=BB2_1409 Depth=2
	v_bfe_u32 v5, v2, 23, 1
; %bb.1684:                             ;   in Loop: Header=BB2_1409 Depth=2
	s_or_b64 exec, exec, s[24:25]
	v_lshrrev_b64 v[2:3], 20, v[2:3]
	v_cmp_gt_i32_e32 vcc, 16, v5
	v_min_i32_e32 v0, 15, v5
	v_cndmask_b32_e32 v3, 0, v3, vcc
	v_cndmask_b32_e32 v2, 7, v2, vcc
	v_lshlrev_b32_e32 v0, 3, v0
	v_cmp_eq_u32_e32 vcc, 0, v5
	v_cmp_eq_u64_e64 s[24:25], 0, v[2:3]
	v_and_b32_e32 v0, 0xf8, v0
	v_and_or_b32 v0, v2, 7, v0
	s_and_b64 s[24:25], vcc, s[24:25]
	v_cndmask_b32_e64 v0, v0, 0, s[24:25]
	v_or_b32_e32 v29, v0, v4
.LBB2_1685:                             ;   in Loop: Header=BB2_1409 Depth=2
	s_or_b64 exec, exec, s[66:67]
.LBB2_1686:                             ;   in Loop: Header=BB2_1409 Depth=2
	s_or_b64 exec, exec, s[64:65]
                                        ; implicit-def: $vgpr3
.LBB2_1687:                             ;   in Loop: Header=BB2_1409 Depth=2
	s_andn2_saveexec_b64 s[24:25], s[62:63]
; %bb.1688:                             ;   in Loop: Header=BB2_1409 Depth=2
	v_or_b32_sdwa v0, v3, s75 dst_sel:DWORD dst_unused:UNUSED_PAD src0_sel:BYTE_3 src1_sel:DWORD
	v_cmp_eq_u64_e32 vcc, 0, v[54:55]
	v_cndmask_b32_e32 v29, v0, v29, vcc
; %bb.1689:                             ;   in Loop: Header=BB2_1409 Depth=2
	s_or_b64 exec, exec, s[24:25]
	v_lshrrev_b32_e32 v24, 24, v15
	v_lshrrev_b32_e32 v2, 24, v11
	v_cmp_lt_u64_e64 s[24:25], s[48:49], v[14:15]
	s_and_b64 vcc, exec, s[60:61]
	s_cbranch_vccz .LBB2_1703
; %bb.1690:                             ;   in Loop: Header=BB2_1409 Depth=2
	v_mov_b32_e32 v4, 0
	v_mov_b32_e32 v3, 0
	s_and_saveexec_b64 s[62:63], s[24:25]
	s_cbranch_execz .LBB2_1696
; %bb.1691:                             ;   in Loop: Header=BB2_1409 Depth=2
	v_cmp_ne_u32_e32 vcc, s74, v24
	v_bfrev_b32_e32 v3, 1
	s_and_saveexec_b64 s[64:65], vcc
	s_cbranch_execz .LBB2_1695
; %bb.1692:                             ;   in Loop: Header=BB2_1409 Depth=2
	v_bfe_u32 v5, v15, 24, 7
	v_cmp_ne_u32_e32 vcc, s75, v5
	v_mov_b32_e32 v3, 0x7f800001
	s_and_saveexec_b64 s[66:67], vcc
	s_cbranch_execz .LBB2_1694
; %bb.1693:                             ;   in Loop: Header=BB2_1409 Depth=2
	v_and_b32_e32 v0, 7, v24
	v_ffbh_u32_e32 v14, v0
	v_min_u32_e32 v14, 32, v14
	v_subrev_u32_e32 v26, 28, v14
	v_lshlrev_b64 v[26:27], v26, v[24:25]
	v_lshrrev_b32_e32 v3, 3, v5
	v_sub_u32_e32 v14, 29, v14
	v_and_b32_e32 v26, 7, v26
	v_cmp_gt_u32_e32 vcc, 8, v5
	v_cndmask_b32_e32 v3, v3, v14, vcc
	v_cndmask_b32_e32 v0, v0, v26, vcc
	v_lshlrev_b32_e32 v5, 24, v24
	v_bfrev_b32_e32 v14, 60
	v_lshlrev_b32_e32 v0, 20, v0
	v_and_b32_e32 v5, 0x80000000, v5
	v_lshl_add_u32 v3, v3, 23, v14
	v_or3_b32 v3, v5, v3, v0
.LBB2_1694:                             ;   in Loop: Header=BB2_1409 Depth=2
	s_or_b64 exec, exec, s[66:67]
.LBB2_1695:                             ;   in Loop: Header=BB2_1409 Depth=2
	s_or_b64 exec, exec, s[64:65]
.LBB2_1696:                             ;   in Loop: Header=BB2_1409 Depth=2
	s_or_b64 exec, exec, s[62:63]
	v_cmp_lt_u64_e32 vcc, s[48:49], v[10:11]
	s_and_saveexec_b64 s[62:63], vcc
	s_cbranch_execz .LBB2_1702
; %bb.1697:                             ;   in Loop: Header=BB2_1409 Depth=2
	v_cmp_ne_u32_e32 vcc, s74, v2
	v_bfrev_b32_e32 v4, 1
	s_and_saveexec_b64 s[64:65], vcc
	s_cbranch_execz .LBB2_1701
; %bb.1698:                             ;   in Loop: Header=BB2_1409 Depth=2
	v_bfe_u32 v5, v11, 24, 7
	v_cmp_ne_u32_e32 vcc, s75, v5
	v_mov_b32_e32 v4, 0x7f800001
	s_and_saveexec_b64 s[66:67], vcc
	s_cbranch_execz .LBB2_1700
; %bb.1699:                             ;   in Loop: Header=BB2_1409 Depth=2
	v_and_b32_e32 v0, 7, v2
	v_ffbh_u32_e32 v14, v0
	v_min_u32_e32 v14, 32, v14
	v_subrev_u32_e32 v26, 28, v14
	v_lshlrev_b64 v[26:27], v26, v[2:3]
	v_lshrrev_b32_e32 v4, 3, v5
	v_sub_u32_e32 v14, 29, v14
	v_and_b32_e32 v26, 7, v26
	v_cmp_gt_u32_e32 vcc, 8, v5
	v_cndmask_b32_e32 v4, v4, v14, vcc
	v_cndmask_b32_e32 v0, v0, v26, vcc
	v_lshlrev_b32_e32 v5, 24, v2
	v_bfrev_b32_e32 v14, 60
	v_lshlrev_b32_e32 v0, 20, v0
	v_and_b32_e32 v5, 0x80000000, v5
	v_lshl_add_u32 v4, v4, 23, v14
	v_or3_b32 v4, v5, v4, v0
.LBB2_1700:                             ;   in Loop: Header=BB2_1409 Depth=2
	s_or_b64 exec, exec, s[66:67]
.LBB2_1701:                             ;   in Loop: Header=BB2_1409 Depth=2
	s_or_b64 exec, exec, s[64:65]
.LBB2_1702:                             ;   in Loop: Header=BB2_1409 Depth=2
	s_or_b64 exec, exec, s[62:63]
	v_max_f32_e32 v0, v4, v4
	v_max_f32_e32 v3, v3, v3
	;; [unrolled: 1-line block ×3, first 2 shown]
	s_branch .LBB2_1717
.LBB2_1703:                             ;   in Loop: Header=BB2_1409 Depth=2
                                        ; implicit-def: $vgpr3
	s_cbranch_execz .LBB2_1717
; %bb.1704:                             ;   in Loop: Header=BB2_1409 Depth=2
	v_mov_b32_e32 v4, 0
	v_mov_b32_e32 v3, 0
	s_and_saveexec_b64 s[62:63], s[24:25]
	s_cbranch_execz .LBB2_1710
; %bb.1705:                             ;   in Loop: Header=BB2_1409 Depth=2
	v_cmp_ne_u32_e32 vcc, s74, v24
	v_bfrev_b32_e32 v3, 1
	s_and_saveexec_b64 s[24:25], vcc
	s_cbranch_execz .LBB2_1709
; %bb.1706:                             ;   in Loop: Header=BB2_1409 Depth=2
	v_bfe_u32 v5, v15, 24, 7
	v_cmp_ne_u32_e32 vcc, s75, v5
	v_mov_b32_e32 v3, 0x7f800001
	s_and_saveexec_b64 s[64:65], vcc
	s_cbranch_execz .LBB2_1708
; %bb.1707:                             ;   in Loop: Header=BB2_1409 Depth=2
	v_and_b32_e32 v0, 7, v24
	v_ffbh_u32_e32 v14, v0
	v_min_u32_e32 v26, 32, v14
	v_subrev_u32_e32 v14, 28, v26
	v_lshlrev_b64 v[14:15], v14, v[24:25]
	v_lshrrev_b32_e32 v3, 3, v5
	v_sub_u32_e32 v15, 29, v26
	v_and_b32_e32 v14, 7, v14
	v_cmp_gt_u32_e32 vcc, 8, v5
	v_cndmask_b32_e32 v3, v3, v15, vcc
	v_cndmask_b32_e32 v0, v0, v14, vcc
	v_lshlrev_b32_e32 v5, 24, v24
	v_bfrev_b32_e32 v14, 60
	v_lshlrev_b32_e32 v0, 20, v0
	v_and_b32_e32 v5, 0x80000000, v5
	v_lshl_add_u32 v3, v3, 23, v14
	v_or3_b32 v3, v5, v3, v0
.LBB2_1708:                             ;   in Loop: Header=BB2_1409 Depth=2
	s_or_b64 exec, exec, s[64:65]
.LBB2_1709:                             ;   in Loop: Header=BB2_1409 Depth=2
	s_or_b64 exec, exec, s[24:25]
.LBB2_1710:                             ;   in Loop: Header=BB2_1409 Depth=2
	s_or_b64 exec, exec, s[62:63]
	v_cmp_lt_u64_e32 vcc, s[48:49], v[10:11]
	s_and_saveexec_b64 s[24:25], vcc
	s_cbranch_execz .LBB2_1716
; %bb.1711:                             ;   in Loop: Header=BB2_1409 Depth=2
	v_cmp_ne_u32_e32 vcc, s74, v2
	v_bfrev_b32_e32 v4, 1
	s_and_saveexec_b64 s[62:63], vcc
	s_cbranch_execz .LBB2_1715
; %bb.1712:                             ;   in Loop: Header=BB2_1409 Depth=2
	v_bfe_u32 v5, v11, 24, 7
	v_cmp_ne_u32_e32 vcc, s75, v5
	v_mov_b32_e32 v4, 0x7f800001
	s_and_saveexec_b64 s[64:65], vcc
	s_cbranch_execz .LBB2_1714
; %bb.1713:                             ;   in Loop: Header=BB2_1409 Depth=2
	v_and_b32_e32 v0, 7, v2
	v_ffbh_u32_e32 v10, v0
	v_min_u32_e32 v14, 32, v10
	v_subrev_u32_e32 v10, 28, v14
	v_lshlrev_b64 v[10:11], v10, v[2:3]
	v_lshrrev_b32_e32 v4, 3, v5
	v_sub_u32_e32 v11, 29, v14
	v_and_b32_e32 v10, 7, v10
	v_cmp_gt_u32_e32 vcc, 8, v5
	v_cndmask_b32_e32 v4, v4, v11, vcc
	v_cndmask_b32_e32 v0, v0, v10, vcc
	v_lshlrev_b32_e32 v2, 24, v2
	v_bfrev_b32_e32 v5, 60
	v_lshlrev_b32_e32 v0, 20, v0
	v_and_b32_e32 v2, 0x80000000, v2
	v_lshl_add_u32 v4, v4, 23, v5
	v_or3_b32 v4, v2, v4, v0
.LBB2_1714:                             ;   in Loop: Header=BB2_1409 Depth=2
	s_or_b64 exec, exec, s[64:65]
.LBB2_1715:                             ;   in Loop: Header=BB2_1409 Depth=2
	s_or_b64 exec, exec, s[62:63]
.LBB2_1716:                             ;   in Loop: Header=BB2_1409 Depth=2
	s_or_b64 exec, exec, s[24:25]
	v_max_f32_e32 v0, v4, v4
	v_max_f32_e32 v2, v3, v3
	v_min_f32_e32 v3, v2, v0
.LBB2_1717:                             ;   in Loop: Header=BB2_1409 Depth=2
	v_and_b32_sdwa v4, v3, s74 dst_sel:DWORD dst_unused:UNUSED_PAD src0_sel:BYTE_3 src1_sel:DWORD
	v_and_b32_e32 v10, 0x7f800000, v3
	v_mov_b32_e32 v11, v55
	v_and_b32_e32 v54, 0x7fffff, v3
	v_or_b32_e32 v15, 0x7e, v4
	v_cmp_ne_u64_e32 vcc, s[44:45], v[10:11]
	s_and_saveexec_b64 s[24:25], vcc
	s_xor_b64 s[62:63], exec, s[24:25]
	s_cbranch_execnz .LBB2_1733
; %bb.1718:                             ;   in Loop: Header=BB2_1409 Depth=2
	s_andn2_saveexec_b64 s[24:25], s[62:63]
	s_cbranch_execnz .LBB2_1742
.LBB2_1719:                             ;   in Loop: Header=BB2_1409 Depth=2
	s_or_b64 exec, exec, s[24:25]
	v_cmp_ne_u16_sdwa s[24:25], v16, v55 src0_sel:BYTE_0 src1_sel:DWORD
	s_and_b64 vcc, exec, s[60:61]
	s_cbranch_vccz .LBB2_1743
.LBB2_1720:                             ;   in Loop: Header=BB2_1409 Depth=2
	v_mov_b32_e32 v3, 0
	v_mov_b32_e32 v2, 0
	s_and_saveexec_b64 s[62:63], s[24:25]
	s_cbranch_execz .LBB2_1726
; %bb.1721:                             ;   in Loop: Header=BB2_1409 Depth=2
	v_cmp_ne_u16_sdwa vcc, v16, s74 src0_sel:BYTE_0 src1_sel:DWORD
	v_bfrev_b32_e32 v2, 1
	s_and_saveexec_b64 s[64:65], vcc
	s_cbranch_execz .LBB2_1725
; %bb.1722:                             ;   in Loop: Header=BB2_1409 Depth=2
	v_and_b32_e32 v4, 0x7f, v16
	v_cmp_ne_u32_e32 vcc, s75, v4
	v_mov_b32_e32 v2, 0x7f800001
	s_and_saveexec_b64 s[66:67], vcc
	s_cbranch_execz .LBB2_1724
; %bb.1723:                             ;   in Loop: Header=BB2_1409 Depth=2
	v_and_b32_e32 v0, 7, v16
	v_ffbh_u32_e32 v0, v0
	v_min_u32_e32 v0, 32, v0
	v_lshrrev_b32_e32 v2, 3, v4
	v_subrev_u32_e32 v5, 28, v0
	v_sub_u32_e32 v0, 29, v0
	v_cmp_gt_u32_e32 vcc, 8, v4
	v_cndmask_b32_e32 v0, v2, v0, vcc
	v_cndmask_b32_e32 v2, 0, v5, vcc
	v_lshlrev_b64 v[4:5], v2, v[16:17]
	v_lshlrev_b32_e32 v2, 20, v4
	v_lshlrev_b32_e32 v4, 24, v16
	v_bfrev_b32_e32 v5, 60
	v_and_b32_e32 v2, 0x700000, v2
	v_and_b32_e32 v4, 0x80000000, v4
	v_lshl_add_u32 v0, v0, 23, v5
	v_or3_b32 v2, v4, v0, v2
.LBB2_1724:                             ;   in Loop: Header=BB2_1409 Depth=2
	s_or_b64 exec, exec, s[66:67]
.LBB2_1725:                             ;   in Loop: Header=BB2_1409 Depth=2
	s_or_b64 exec, exec, s[64:65]
.LBB2_1726:                             ;   in Loop: Header=BB2_1409 Depth=2
	s_or_b64 exec, exec, s[62:63]
	v_cmp_ne_u16_sdwa vcc, v12, v55 src0_sel:BYTE_0 src1_sel:DWORD
	s_and_saveexec_b64 s[62:63], vcc
	s_cbranch_execz .LBB2_1732
; %bb.1727:                             ;   in Loop: Header=BB2_1409 Depth=2
	v_cmp_ne_u16_sdwa vcc, v12, s74 src0_sel:BYTE_0 src1_sel:DWORD
	v_bfrev_b32_e32 v3, 1
	s_and_saveexec_b64 s[64:65], vcc
	s_cbranch_execz .LBB2_1731
; %bb.1728:                             ;   in Loop: Header=BB2_1409 Depth=2
	v_and_b32_e32 v4, 0x7f, v12
	v_cmp_ne_u32_e32 vcc, s75, v4
	v_mov_b32_e32 v3, 0x7f800001
	s_and_saveexec_b64 s[66:67], vcc
	s_cbranch_execz .LBB2_1730
; %bb.1729:                             ;   in Loop: Header=BB2_1409 Depth=2
	v_and_b32_e32 v0, 7, v12
	v_ffbh_u32_e32 v0, v0
	v_min_u32_e32 v0, 32, v0
	v_lshrrev_b32_e32 v3, 3, v4
	v_subrev_u32_e32 v5, 28, v0
	v_sub_u32_e32 v0, 29, v0
	v_cmp_gt_u32_e32 vcc, 8, v4
	v_cndmask_b32_e32 v0, v3, v0, vcc
	v_cndmask_b32_e32 v3, 0, v5, vcc
	v_lshlrev_b64 v[4:5], v3, v[12:13]
	v_lshlrev_b32_e32 v3, 20, v4
	v_lshlrev_b32_e32 v4, 24, v12
	v_bfrev_b32_e32 v5, 60
	v_and_b32_e32 v3, 0x700000, v3
	v_and_b32_e32 v4, 0x80000000, v4
	v_lshl_add_u32 v0, v0, 23, v5
	v_or3_b32 v3, v4, v0, v3
.LBB2_1730:                             ;   in Loop: Header=BB2_1409 Depth=2
	s_or_b64 exec, exec, s[66:67]
.LBB2_1731:                             ;   in Loop: Header=BB2_1409 Depth=2
	s_or_b64 exec, exec, s[64:65]
.LBB2_1732:                             ;   in Loop: Header=BB2_1409 Depth=2
	s_or_b64 exec, exec, s[62:63]
	v_max_f32_e32 v0, v3, v3
	v_max_f32_e32 v2, v2, v2
	;; [unrolled: 1-line block ×3, first 2 shown]
	s_branch .LBB2_1757
.LBB2_1733:                             ;   in Loop: Header=BB2_1409 Depth=2
	v_and_b32_e32 v10, 0x7fffffff, v3
	v_mov_b32_e32 v11, v55
	v_cmp_gt_u64_e32 vcc, s[46:47], v[10:11]
	s_and_saveexec_b64 s[64:65], vcc
	s_cbranch_execz .LBB2_1741
; %bb.1734:                             ;   in Loop: Header=BB2_1409 Depth=2
	v_cmp_ne_u32_e32 vcc, 0, v3
	v_mov_b32_e32 v15, 0
	s_and_saveexec_b64 s[66:67], vcc
	s_cbranch_execz .LBB2_1740
; %bb.1735:                             ;   in Loop: Header=BB2_1409 Depth=2
	v_bfe_u32 v0, v3, 23, 8
	v_sub_u32_e32 v3, 0x79, v0
	v_cmp_gt_u32_e32 vcc, s77, v0
	v_add_u32_e32 v2, 0xffffff81, v0
	v_cndmask_b32_e32 v3, 0, v3, vcc
	v_cmp_eq_u32_e32 vcc, 0, v0
	v_mov_b32_e32 v0, 0xffffff82
	v_cndmask_b32_e32 v0, v2, v0, vcc
	v_mov_b32_e32 v2, 0x78
	v_or_b32_e32 v5, 0x800000, v54
	v_cndmask_b32_e32 v10, v3, v2, vcc
	v_cndmask_b32_e32 v54, v5, v54, vcc
	v_add_u32_e32 v2, 20, v10
	v_lshlrev_b64 v[2:3], v2, -1
	v_add_u32_e32 v5, 19, v10
	v_lshrrev_b64 v[26:27], v10, v[54:55]
	v_not_b32_e32 v3, v3
	v_not_b32_e32 v2, v2
	v_lshlrev_b64 v[14:15], v5, 1
	v_lshrrev_b32_e32 v5, 23, v26
	v_and_b32_e32 v3, 0, v3
	v_and_b32_e32 v2, v54, v2
	v_add3_u32 v11, v10, v0, v5
	v_bfe_u32 v0, v26, 20, 1
	v_add_u32_e32 v0, -1, v0
	v_cmp_eq_u64_e32 vcc, v[2:3], v[14:15]
	v_cndmask_b32_e32 v0, 0, v0, vcc
	v_add_u32_e32 v0, v0, v26
	v_and_b32_e32 v0, 0xfffff, v0
	v_add_co_u32_e32 v2, vcc, v0, v26
	v_add_u32_e32 v10, 6, v11
	v_addc_co_u32_e32 v3, vcc, 0, v27, vcc
	v_cmp_ne_u32_e32 vcc, 0, v10
                                        ; implicit-def: $vgpr5
	s_and_saveexec_b64 s[24:25], vcc
	s_xor_b64 s[24:25], exec, s[24:25]
; %bb.1736:                             ;   in Loop: Header=BB2_1409 Depth=2
	v_add_u32_e32 v0, 7, v11
	v_cmp_lt_u64_e32 vcc, s[50:51], v[2:3]
	v_cndmask_b32_e32 v5, v10, v0, vcc
	v_cndmask_b32_e64 v0, 0, 1, vcc
	v_lshrrev_b64 v[2:3], v0, v[2:3]
; %bb.1737:                             ;   in Loop: Header=BB2_1409 Depth=2
	s_andn2_saveexec_b64 s[24:25], s[24:25]
; %bb.1738:                             ;   in Loop: Header=BB2_1409 Depth=2
	v_bfe_u32 v5, v2, 23, 1
; %bb.1739:                             ;   in Loop: Header=BB2_1409 Depth=2
	s_or_b64 exec, exec, s[24:25]
	v_lshrrev_b64 v[2:3], 20, v[2:3]
	v_cmp_gt_i32_e32 vcc, 16, v5
	v_min_i32_e32 v0, 15, v5
	v_cndmask_b32_e32 v3, 0, v3, vcc
	v_cndmask_b32_e32 v2, 7, v2, vcc
	v_lshlrev_b32_e32 v0, 3, v0
	v_cmp_eq_u32_e32 vcc, 0, v5
	v_cmp_eq_u64_e64 s[24:25], 0, v[2:3]
	v_and_b32_e32 v0, 0xf8, v0
	v_and_or_b32 v0, v2, 7, v0
	s_and_b64 s[24:25], vcc, s[24:25]
	v_cndmask_b32_e64 v0, v0, 0, s[24:25]
	v_or_b32_e32 v15, v0, v4
.LBB2_1740:                             ;   in Loop: Header=BB2_1409 Depth=2
	s_or_b64 exec, exec, s[66:67]
.LBB2_1741:                             ;   in Loop: Header=BB2_1409 Depth=2
	s_or_b64 exec, exec, s[64:65]
                                        ; implicit-def: $vgpr3
	s_andn2_saveexec_b64 s[24:25], s[62:63]
	s_cbranch_execz .LBB2_1719
.LBB2_1742:                             ;   in Loop: Header=BB2_1409 Depth=2
	v_or_b32_sdwa v0, v3, s75 dst_sel:DWORD dst_unused:UNUSED_PAD src0_sel:BYTE_3 src1_sel:DWORD
	v_cmp_eq_u64_e32 vcc, 0, v[54:55]
	v_cndmask_b32_e32 v15, v0, v15, vcc
	s_or_b64 exec, exec, s[24:25]
	v_cmp_ne_u16_sdwa s[24:25], v16, v55 src0_sel:BYTE_0 src1_sel:DWORD
	s_and_b64 vcc, exec, s[60:61]
	s_cbranch_vccnz .LBB2_1720
.LBB2_1743:                             ;   in Loop: Header=BB2_1409 Depth=2
                                        ; implicit-def: $vgpr2
	s_cbranch_execz .LBB2_1757
; %bb.1744:                             ;   in Loop: Header=BB2_1409 Depth=2
	v_mov_b32_e32 v3, 0
	v_mov_b32_e32 v2, 0
	s_and_saveexec_b64 s[62:63], s[24:25]
	s_cbranch_execz .LBB2_1750
; %bb.1745:                             ;   in Loop: Header=BB2_1409 Depth=2
	v_cmp_ne_u16_sdwa vcc, v16, s74 src0_sel:BYTE_0 src1_sel:DWORD
	v_bfrev_b32_e32 v2, 1
	s_and_saveexec_b64 s[24:25], vcc
	s_cbranch_execz .LBB2_1749
; %bb.1746:                             ;   in Loop: Header=BB2_1409 Depth=2
	v_and_b32_e32 v4, 0x7f, v16
	v_cmp_ne_u32_e32 vcc, s75, v4
	v_mov_b32_e32 v2, 0x7f800001
	s_and_saveexec_b64 s[64:65], vcc
	s_cbranch_execz .LBB2_1748
; %bb.1747:                             ;   in Loop: Header=BB2_1409 Depth=2
	v_and_b32_e32 v0, 7, v16
	v_ffbh_u32_e32 v0, v0
	v_min_u32_e32 v0, 32, v0
	v_lshrrev_b32_e32 v2, 3, v4
	v_subrev_u32_e32 v5, 28, v0
	v_sub_u32_e32 v0, 29, v0
	v_cmp_gt_u32_e32 vcc, 8, v4
	v_cndmask_b32_e32 v0, v2, v0, vcc
	v_cndmask_b32_e32 v2, 0, v5, vcc
	v_lshlrev_b64 v[4:5], v2, v[16:17]
	v_lshlrev_b32_e32 v2, 20, v4
	v_lshlrev_b32_e32 v4, 24, v16
	v_bfrev_b32_e32 v5, 60
	v_and_b32_e32 v2, 0x700000, v2
	v_and_b32_e32 v4, 0x80000000, v4
	v_lshl_add_u32 v0, v0, 23, v5
	v_or3_b32 v2, v4, v0, v2
.LBB2_1748:                             ;   in Loop: Header=BB2_1409 Depth=2
	s_or_b64 exec, exec, s[64:65]
.LBB2_1749:                             ;   in Loop: Header=BB2_1409 Depth=2
	s_or_b64 exec, exec, s[24:25]
.LBB2_1750:                             ;   in Loop: Header=BB2_1409 Depth=2
	s_or_b64 exec, exec, s[62:63]
	v_cmp_ne_u16_sdwa vcc, v12, v55 src0_sel:BYTE_0 src1_sel:DWORD
	s_and_saveexec_b64 s[24:25], vcc
	s_cbranch_execz .LBB2_1756
; %bb.1751:                             ;   in Loop: Header=BB2_1409 Depth=2
	v_cmp_ne_u16_sdwa vcc, v12, s74 src0_sel:BYTE_0 src1_sel:DWORD
	v_bfrev_b32_e32 v3, 1
	s_and_saveexec_b64 s[62:63], vcc
	s_cbranch_execz .LBB2_1755
; %bb.1752:                             ;   in Loop: Header=BB2_1409 Depth=2
	v_and_b32_e32 v4, 0x7f, v12
	v_cmp_ne_u32_e32 vcc, s75, v4
	v_mov_b32_e32 v3, 0x7f800001
	s_and_saveexec_b64 s[64:65], vcc
	s_cbranch_execz .LBB2_1754
; %bb.1753:                             ;   in Loop: Header=BB2_1409 Depth=2
	v_and_b32_e32 v0, 7, v12
	v_ffbh_u32_e32 v0, v0
	v_min_u32_e32 v0, 32, v0
	v_lshrrev_b32_e32 v3, 3, v4
	v_subrev_u32_e32 v5, 28, v0
	v_sub_u32_e32 v0, 29, v0
	v_cmp_gt_u32_e32 vcc, 8, v4
	v_cndmask_b32_e32 v0, v3, v0, vcc
	v_cndmask_b32_e32 v3, 0, v5, vcc
	v_lshlrev_b64 v[4:5], v3, v[12:13]
	v_lshlrev_b32_e32 v3, 20, v4
	v_lshlrev_b32_e32 v4, 24, v12
	v_bfrev_b32_e32 v5, 60
	v_and_b32_e32 v3, 0x700000, v3
	v_and_b32_e32 v4, 0x80000000, v4
	v_lshl_add_u32 v0, v0, 23, v5
	v_or3_b32 v3, v4, v0, v3
.LBB2_1754:                             ;   in Loop: Header=BB2_1409 Depth=2
	s_or_b64 exec, exec, s[64:65]
.LBB2_1755:                             ;   in Loop: Header=BB2_1409 Depth=2
	s_or_b64 exec, exec, s[62:63]
.LBB2_1756:                             ;   in Loop: Header=BB2_1409 Depth=2
	s_or_b64 exec, exec, s[24:25]
	v_max_f32_e32 v0, v3, v3
	v_max_f32_e32 v2, v2, v2
	v_min_f32_e32 v2, v2, v0
.LBB2_1757:                             ;   in Loop: Header=BB2_1409 Depth=2
	v_and_b32_sdwa v4, v2, s74 dst_sel:DWORD dst_unused:UNUSED_PAD src0_sel:BYTE_3 src1_sel:DWORD
	v_and_b32_e32 v10, 0x7f800000, v2
	v_mov_b32_e32 v11, v55
	v_and_b32_e32 v54, 0x7fffff, v2
	v_or_b32_e32 v24, 0x7e, v4
	v_cmp_ne_u64_e32 vcc, s[44:45], v[10:11]
	s_and_saveexec_b64 s[24:25], vcc
	s_xor_b64 s[62:63], exec, s[24:25]
	s_cbranch_execz .LBB2_1767
; %bb.1758:                             ;   in Loop: Header=BB2_1409 Depth=2
	v_and_b32_e32 v10, 0x7fffffff, v2
	v_mov_b32_e32 v11, v55
	v_cmp_gt_u64_e32 vcc, s[46:47], v[10:11]
	s_and_saveexec_b64 s[64:65], vcc
	s_cbranch_execz .LBB2_1766
; %bb.1759:                             ;   in Loop: Header=BB2_1409 Depth=2
	v_cmp_ne_u32_e32 vcc, 0, v2
	v_mov_b32_e32 v24, 0
	s_and_saveexec_b64 s[66:67], vcc
	s_cbranch_execz .LBB2_1765
; %bb.1760:                             ;   in Loop: Header=BB2_1409 Depth=2
	v_bfe_u32 v0, v2, 23, 8
	v_sub_u32_e32 v3, 0x79, v0
	v_cmp_gt_u32_e32 vcc, s77, v0
	v_add_u32_e32 v2, 0xffffff81, v0
	v_cndmask_b32_e32 v3, 0, v3, vcc
	v_cmp_eq_u32_e32 vcc, 0, v0
	v_mov_b32_e32 v0, 0xffffff82
	v_cndmask_b32_e32 v0, v2, v0, vcc
	v_mov_b32_e32 v2, 0x78
	v_or_b32_e32 v5, 0x800000, v54
	v_cndmask_b32_e32 v10, v3, v2, vcc
	v_cndmask_b32_e32 v54, v5, v54, vcc
	v_add_u32_e32 v2, 20, v10
	v_lshlrev_b64 v[2:3], v2, -1
	v_add_u32_e32 v5, 19, v10
	v_lshrrev_b64 v[38:39], v10, v[54:55]
	v_not_b32_e32 v3, v3
	v_not_b32_e32 v2, v2
	v_lshlrev_b64 v[26:27], v5, 1
	v_lshrrev_b32_e32 v5, 23, v38
	v_and_b32_e32 v3, 0, v3
	v_and_b32_e32 v2, v54, v2
	v_add3_u32 v11, v10, v0, v5
	v_bfe_u32 v0, v38, 20, 1
	v_add_u32_e32 v0, -1, v0
	v_cmp_eq_u64_e32 vcc, v[2:3], v[26:27]
	v_cndmask_b32_e32 v0, 0, v0, vcc
	v_add_u32_e32 v0, v0, v38
	v_and_b32_e32 v0, 0xfffff, v0
	v_add_co_u32_e32 v2, vcc, v0, v38
	v_add_u32_e32 v10, 6, v11
	v_addc_co_u32_e32 v3, vcc, 0, v39, vcc
	v_cmp_ne_u32_e32 vcc, 0, v10
                                        ; implicit-def: $vgpr5
	s_and_saveexec_b64 s[24:25], vcc
	s_xor_b64 s[24:25], exec, s[24:25]
; %bb.1761:                             ;   in Loop: Header=BB2_1409 Depth=2
	v_add_u32_e32 v0, 7, v11
	v_cmp_lt_u64_e32 vcc, s[50:51], v[2:3]
	v_cndmask_b32_e32 v5, v10, v0, vcc
	v_cndmask_b32_e64 v0, 0, 1, vcc
	v_lshrrev_b64 v[2:3], v0, v[2:3]
; %bb.1762:                             ;   in Loop: Header=BB2_1409 Depth=2
	s_andn2_saveexec_b64 s[24:25], s[24:25]
; %bb.1763:                             ;   in Loop: Header=BB2_1409 Depth=2
	v_bfe_u32 v5, v2, 23, 1
; %bb.1764:                             ;   in Loop: Header=BB2_1409 Depth=2
	s_or_b64 exec, exec, s[24:25]
	v_lshrrev_b64 v[2:3], 20, v[2:3]
	v_cmp_gt_i32_e32 vcc, 16, v5
	v_cndmask_b32_e32 v3, 0, v3, vcc
	v_cndmask_b32_e32 v2, 7, v2, vcc
	v_min_i32_e32 v0, 15, v5
	v_cmp_eq_u32_e32 vcc, 0, v5
	v_cmp_eq_u64_e64 s[24:25], 0, v[2:3]
	v_lshlrev_b32_e32 v0, 3, v0
	v_and_or_b32 v0, v2, 7, v0
	s_and_b64 s[24:25], vcc, s[24:25]
	v_cndmask_b32_e64 v0, v0, 0, s[24:25]
	v_or_b32_e32 v24, v0, v4
.LBB2_1765:                             ;   in Loop: Header=BB2_1409 Depth=2
	s_or_b64 exec, exec, s[66:67]
.LBB2_1766:                             ;   in Loop: Header=BB2_1409 Depth=2
	s_or_b64 exec, exec, s[64:65]
                                        ; implicit-def: $vgpr2
.LBB2_1767:                             ;   in Loop: Header=BB2_1409 Depth=2
	s_andn2_saveexec_b64 s[24:25], s[62:63]
; %bb.1768:                             ;   in Loop: Header=BB2_1409 Depth=2
	v_or_b32_sdwa v0, v2, s75 dst_sel:DWORD dst_unused:UNUSED_PAD src0_sel:BYTE_3 src1_sel:DWORD
	v_cmp_eq_u64_e32 vcc, 0, v[54:55]
	v_cndmask_b32_e32 v24, v0, v24, vcc
; %bb.1769:                             ;   in Loop: Header=BB2_1409 Depth=2
	s_or_b64 exec, exec, s[24:25]
	v_lshrrev_b16_e32 v10, 8, v16
	v_lshrrev_b16_e32 v2, 8, v12
	v_cmp_ne_u16_e64 s[24:25], 0, v10
	s_and_b64 vcc, exec, s[60:61]
	s_cbranch_vccz .LBB2_1783
; %bb.1770:                             ;   in Loop: Header=BB2_1409 Depth=2
	v_mov_b32_e32 v4, 0
	v_mov_b32_e32 v3, 0
	s_and_saveexec_b64 s[62:63], s[24:25]
	s_cbranch_execz .LBB2_1776
; %bb.1771:                             ;   in Loop: Header=BB2_1409 Depth=2
	v_cmp_ne_u16_e32 vcc, s74, v10
	v_bfrev_b32_e32 v3, 1
	s_and_saveexec_b64 s[64:65], vcc
	s_cbranch_execz .LBB2_1775
; %bb.1772:                             ;   in Loop: Header=BB2_1409 Depth=2
	v_and_b32_e32 v5, 0x7f, v10
	v_cmp_ne_u32_e32 vcc, s75, v5
	v_mov_b32_e32 v3, 0x7f800001
	s_and_saveexec_b64 s[66:67], vcc
	s_cbranch_execz .LBB2_1774
; %bb.1773:                             ;   in Loop: Header=BB2_1409 Depth=2
	v_and_b32_e32 v0, 7, v10
	v_ffbh_u32_e32 v11, v0
	v_min_u32_e32 v11, 32, v11
	v_subrev_u32_e32 v14, 28, v11
	v_lshlrev_b64 v[26:27], v14, v[10:11]
	v_lshrrev_b32_e32 v3, 3, v5
	v_sub_u32_e32 v11, 29, v11
	v_and_b32_e32 v14, 7, v26
	v_cmp_gt_u32_e32 vcc, 8, v5
	v_cndmask_b32_e32 v3, v3, v11, vcc
	v_cndmask_b32_e32 v0, v0, v14, vcc
	v_lshlrev_b32_e32 v5, 16, v16
	v_bfrev_b32_e32 v11, 60
	v_lshlrev_b32_e32 v0, 20, v0
	v_and_b32_e32 v5, 0x80000000, v5
	v_lshl_add_u32 v3, v3, 23, v11
	v_or3_b32 v3, v5, v3, v0
.LBB2_1774:                             ;   in Loop: Header=BB2_1409 Depth=2
	s_or_b64 exec, exec, s[66:67]
.LBB2_1775:                             ;   in Loop: Header=BB2_1409 Depth=2
	s_or_b64 exec, exec, s[64:65]
.LBB2_1776:                             ;   in Loop: Header=BB2_1409 Depth=2
	s_or_b64 exec, exec, s[62:63]
	v_cmp_ne_u16_e32 vcc, 0, v2
	s_and_saveexec_b64 s[62:63], vcc
	s_cbranch_execz .LBB2_1782
; %bb.1777:                             ;   in Loop: Header=BB2_1409 Depth=2
	v_cmp_ne_u16_e32 vcc, s74, v2
	v_bfrev_b32_e32 v4, 1
	s_and_saveexec_b64 s[64:65], vcc
	s_cbranch_execz .LBB2_1781
; %bb.1778:                             ;   in Loop: Header=BB2_1409 Depth=2
	v_and_b32_e32 v5, 0x7f, v2
	v_cmp_ne_u32_e32 vcc, s75, v5
	v_mov_b32_e32 v4, 0x7f800001
	s_and_saveexec_b64 s[66:67], vcc
	s_cbranch_execz .LBB2_1780
; %bb.1779:                             ;   in Loop: Header=BB2_1409 Depth=2
	v_and_b32_e32 v0, 7, v2
	v_ffbh_u32_e32 v11, v0
	v_min_u32_e32 v11, 32, v11
	v_subrev_u32_e32 v14, 28, v11
	v_lshlrev_b64 v[26:27], v14, v[2:3]
	v_lshrrev_b32_e32 v4, 3, v5
	v_sub_u32_e32 v11, 29, v11
	v_and_b32_e32 v14, 7, v26
	v_cmp_gt_u32_e32 vcc, 8, v5
	v_cndmask_b32_e32 v4, v4, v11, vcc
	v_cndmask_b32_e32 v0, v0, v14, vcc
	v_lshlrev_b32_e32 v5, 16, v12
	v_bfrev_b32_e32 v11, 60
	v_lshlrev_b32_e32 v0, 20, v0
	v_and_b32_e32 v5, 0x80000000, v5
	v_lshl_add_u32 v4, v4, 23, v11
	v_or3_b32 v4, v5, v4, v0
.LBB2_1780:                             ;   in Loop: Header=BB2_1409 Depth=2
	s_or_b64 exec, exec, s[66:67]
.LBB2_1781:                             ;   in Loop: Header=BB2_1409 Depth=2
	s_or_b64 exec, exec, s[64:65]
.LBB2_1782:                             ;   in Loop: Header=BB2_1409 Depth=2
	s_or_b64 exec, exec, s[62:63]
	v_max_f32_e32 v0, v4, v4
	v_max_f32_e32 v3, v3, v3
	;; [unrolled: 1-line block ×3, first 2 shown]
	s_branch .LBB2_1797
.LBB2_1783:                             ;   in Loop: Header=BB2_1409 Depth=2
                                        ; implicit-def: $vgpr3
	s_cbranch_execz .LBB2_1797
; %bb.1784:                             ;   in Loop: Header=BB2_1409 Depth=2
	v_mov_b32_e32 v4, 0
	v_mov_b32_e32 v3, 0
	s_and_saveexec_b64 s[62:63], s[24:25]
	s_cbranch_execz .LBB2_1790
; %bb.1785:                             ;   in Loop: Header=BB2_1409 Depth=2
	v_cmp_ne_u16_e32 vcc, s74, v10
	v_bfrev_b32_e32 v3, 1
	s_and_saveexec_b64 s[24:25], vcc
	s_cbranch_execz .LBB2_1789
; %bb.1786:                             ;   in Loop: Header=BB2_1409 Depth=2
	v_and_b32_e32 v5, 0x7f, v10
	v_cmp_ne_u32_e32 vcc, s75, v5
	v_mov_b32_e32 v3, 0x7f800001
	s_and_saveexec_b64 s[64:65], vcc
	s_cbranch_execz .LBB2_1788
; %bb.1787:                             ;   in Loop: Header=BB2_1409 Depth=2
	v_and_b32_e32 v0, 7, v10
	v_ffbh_u32_e32 v11, v0
	v_min_u32_e32 v14, 32, v11
	v_subrev_u32_e32 v11, 28, v14
	v_lshlrev_b64 v[10:11], v11, v[10:11]
	v_lshrrev_b32_e32 v3, 3, v5
	v_sub_u32_e32 v11, 29, v14
	v_and_b32_e32 v10, 7, v10
	v_cmp_gt_u32_e32 vcc, 8, v5
	v_cndmask_b32_e32 v3, v3, v11, vcc
	v_cndmask_b32_e32 v0, v0, v10, vcc
	v_lshlrev_b32_e32 v5, 16, v16
	v_bfrev_b32_e32 v10, 60
	v_lshlrev_b32_e32 v0, 20, v0
	v_and_b32_e32 v5, 0x80000000, v5
	v_lshl_add_u32 v3, v3, 23, v10
	v_or3_b32 v3, v5, v3, v0
.LBB2_1788:                             ;   in Loop: Header=BB2_1409 Depth=2
	s_or_b64 exec, exec, s[64:65]
.LBB2_1789:                             ;   in Loop: Header=BB2_1409 Depth=2
	s_or_b64 exec, exec, s[24:25]
.LBB2_1790:                             ;   in Loop: Header=BB2_1409 Depth=2
	s_or_b64 exec, exec, s[62:63]
	v_cmp_ne_u16_e32 vcc, 0, v2
	s_and_saveexec_b64 s[24:25], vcc
	s_cbranch_execz .LBB2_1796
; %bb.1791:                             ;   in Loop: Header=BB2_1409 Depth=2
	v_cmp_ne_u16_e32 vcc, s74, v2
	v_bfrev_b32_e32 v4, 1
	s_and_saveexec_b64 s[62:63], vcc
	s_cbranch_execz .LBB2_1795
; %bb.1792:                             ;   in Loop: Header=BB2_1409 Depth=2
	v_and_b32_e32 v5, 0x7f, v2
	v_cmp_ne_u32_e32 vcc, s75, v5
	v_mov_b32_e32 v4, 0x7f800001
	s_and_saveexec_b64 s[64:65], vcc
	s_cbranch_execz .LBB2_1794
; %bb.1793:                             ;   in Loop: Header=BB2_1409 Depth=2
	v_and_b32_e32 v0, 7, v2
	v_ffbh_u32_e32 v10, v0
	v_min_u32_e32 v14, 32, v10
	v_subrev_u32_e32 v10, 28, v14
	v_lshlrev_b64 v[10:11], v10, v[2:3]
	v_lshrrev_b32_e32 v4, 3, v5
	v_sub_u32_e32 v2, 29, v14
	v_and_b32_e32 v10, 7, v10
	v_cmp_gt_u32_e32 vcc, 8, v5
	v_cndmask_b32_e32 v2, v4, v2, vcc
	v_cndmask_b32_e32 v0, v0, v10, vcc
	v_lshlrev_b32_e32 v4, 16, v12
	v_bfrev_b32_e32 v5, 60
	v_lshlrev_b32_e32 v0, 20, v0
	v_and_b32_e32 v4, 0x80000000, v4
	v_lshl_add_u32 v2, v2, 23, v5
	v_or3_b32 v4, v4, v2, v0
.LBB2_1794:                             ;   in Loop: Header=BB2_1409 Depth=2
	s_or_b64 exec, exec, s[64:65]
.LBB2_1795:                             ;   in Loop: Header=BB2_1409 Depth=2
	s_or_b64 exec, exec, s[62:63]
.LBB2_1796:                             ;   in Loop: Header=BB2_1409 Depth=2
	s_or_b64 exec, exec, s[24:25]
	v_max_f32_e32 v0, v4, v4
	v_max_f32_e32 v2, v3, v3
	v_min_f32_e32 v3, v2, v0
.LBB2_1797:                             ;   in Loop: Header=BB2_1409 Depth=2
	v_and_b32_sdwa v4, v3, s74 dst_sel:DWORD dst_unused:UNUSED_PAD src0_sel:BYTE_3 src1_sel:DWORD
	v_and_b32_e32 v10, 0x7f800000, v3
	v_mov_b32_e32 v11, v55
	v_and_b32_e32 v54, 0x7fffff, v3
	v_or_b32_e32 v26, 0x7e, v4
	v_cmp_ne_u64_e32 vcc, s[44:45], v[10:11]
	s_and_saveexec_b64 s[24:25], vcc
	s_xor_b64 s[62:63], exec, s[24:25]
	s_cbranch_execz .LBB2_1807
; %bb.1798:                             ;   in Loop: Header=BB2_1409 Depth=2
	v_and_b32_e32 v10, 0x7fffffff, v3
	v_mov_b32_e32 v11, v55
	v_cmp_gt_u64_e32 vcc, s[46:47], v[10:11]
	s_and_saveexec_b64 s[64:65], vcc
	s_cbranch_execz .LBB2_1806
; %bb.1799:                             ;   in Loop: Header=BB2_1409 Depth=2
	v_cmp_ne_u32_e32 vcc, 0, v3
	v_mov_b32_e32 v26, 0
	s_and_saveexec_b64 s[66:67], vcc
	s_cbranch_execz .LBB2_1805
; %bb.1800:                             ;   in Loop: Header=BB2_1409 Depth=2
	v_bfe_u32 v0, v3, 23, 8
	v_sub_u32_e32 v3, 0x79, v0
	v_cmp_gt_u32_e32 vcc, s77, v0
	v_add_u32_e32 v2, 0xffffff81, v0
	v_cndmask_b32_e32 v3, 0, v3, vcc
	v_cmp_eq_u32_e32 vcc, 0, v0
	v_mov_b32_e32 v0, 0xffffff82
	v_cndmask_b32_e32 v0, v2, v0, vcc
	v_mov_b32_e32 v2, 0x78
	v_or_b32_e32 v5, 0x800000, v54
	v_cndmask_b32_e32 v10, v3, v2, vcc
	v_cndmask_b32_e32 v54, v5, v54, vcc
	v_add_u32_e32 v2, 20, v10
	v_lshlrev_b64 v[2:3], v2, -1
	v_add_u32_e32 v5, 19, v10
	v_lshrrev_b64 v[38:39], v10, v[54:55]
	v_not_b32_e32 v3, v3
	v_not_b32_e32 v2, v2
	v_lshlrev_b64 v[26:27], v5, 1
	v_lshrrev_b32_e32 v5, 23, v38
	v_and_b32_e32 v3, 0, v3
	v_and_b32_e32 v2, v54, v2
	v_add3_u32 v11, v10, v0, v5
	v_bfe_u32 v0, v38, 20, 1
	v_add_u32_e32 v0, -1, v0
	v_cmp_eq_u64_e32 vcc, v[2:3], v[26:27]
	v_cndmask_b32_e32 v0, 0, v0, vcc
	v_add_u32_e32 v0, v0, v38
	v_and_b32_e32 v0, 0xfffff, v0
	v_add_co_u32_e32 v2, vcc, v0, v38
	v_add_u32_e32 v10, 6, v11
	v_addc_co_u32_e32 v3, vcc, 0, v39, vcc
	v_cmp_ne_u32_e32 vcc, 0, v10
                                        ; implicit-def: $vgpr5
	s_and_saveexec_b64 s[24:25], vcc
	s_xor_b64 s[24:25], exec, s[24:25]
; %bb.1801:                             ;   in Loop: Header=BB2_1409 Depth=2
	v_add_u32_e32 v0, 7, v11
	v_cmp_lt_u64_e32 vcc, s[50:51], v[2:3]
	v_cndmask_b32_e32 v5, v10, v0, vcc
	v_cndmask_b32_e64 v0, 0, 1, vcc
	v_lshrrev_b64 v[2:3], v0, v[2:3]
; %bb.1802:                             ;   in Loop: Header=BB2_1409 Depth=2
	s_andn2_saveexec_b64 s[24:25], s[24:25]
; %bb.1803:                             ;   in Loop: Header=BB2_1409 Depth=2
	v_bfe_u32 v5, v2, 23, 1
; %bb.1804:                             ;   in Loop: Header=BB2_1409 Depth=2
	s_or_b64 exec, exec, s[24:25]
	v_lshrrev_b64 v[2:3], 20, v[2:3]
	v_cmp_gt_i32_e32 vcc, 16, v5
	v_cndmask_b32_e32 v3, 0, v3, vcc
	v_cndmask_b32_e32 v2, 7, v2, vcc
	v_min_i32_e32 v0, 15, v5
	v_cmp_eq_u32_e32 vcc, 0, v5
	v_cmp_eq_u64_e64 s[24:25], 0, v[2:3]
	v_lshlrev_b32_e32 v0, 3, v0
	v_and_or_b32 v0, v2, 7, v0
	s_and_b64 s[24:25], vcc, s[24:25]
	v_cndmask_b32_e64 v0, v0, 0, s[24:25]
	v_or_b32_e32 v26, v0, v4
.LBB2_1805:                             ;   in Loop: Header=BB2_1409 Depth=2
	s_or_b64 exec, exec, s[66:67]
.LBB2_1806:                             ;   in Loop: Header=BB2_1409 Depth=2
	s_or_b64 exec, exec, s[64:65]
                                        ; implicit-def: $vgpr3
.LBB2_1807:                             ;   in Loop: Header=BB2_1409 Depth=2
	s_andn2_saveexec_b64 s[24:25], s[62:63]
; %bb.1808:                             ;   in Loop: Header=BB2_1409 Depth=2
	v_or_b32_sdwa v0, v3, s75 dst_sel:DWORD dst_unused:UNUSED_PAD src0_sel:BYTE_3 src1_sel:DWORD
	v_cmp_eq_u64_e32 vcc, 0, v[54:55]
	v_cndmask_b32_e32 v26, v0, v26, vcc
; %bb.1809:                             ;   in Loop: Header=BB2_1409 Depth=2
	s_or_b64 exec, exec, s[24:25]
	v_lshrrev_b32_e32 v10, 16, v16
	v_lshrrev_b32_e32 v2, 16, v12
	v_cmp_ne_u16_sdwa s[24:25], v10, v55 src0_sel:BYTE_0 src1_sel:DWORD
	s_and_b64 vcc, exec, s[60:61]
	s_cbranch_vccz .LBB2_1823
; %bb.1810:                             ;   in Loop: Header=BB2_1409 Depth=2
	v_mov_b32_e32 v4, 0
	v_mov_b32_e32 v3, 0
	s_and_saveexec_b64 s[62:63], s[24:25]
	s_cbranch_execz .LBB2_1816
; %bb.1811:                             ;   in Loop: Header=BB2_1409 Depth=2
	v_cmp_ne_u16_sdwa vcc, v10, s74 src0_sel:BYTE_0 src1_sel:DWORD
	v_bfrev_b32_e32 v3, 1
	s_and_saveexec_b64 s[64:65], vcc
	s_cbranch_execz .LBB2_1815
; %bb.1812:                             ;   in Loop: Header=BB2_1409 Depth=2
	v_bfe_u32 v5, v16, 16, 7
	v_cmp_ne_u32_e32 vcc, s75, v5
	v_mov_b32_e32 v3, 0x7f800001
	s_and_saveexec_b64 s[66:67], vcc
	s_cbranch_execz .LBB2_1814
; %bb.1813:                             ;   in Loop: Header=BB2_1409 Depth=2
	v_and_b32_e32 v0, 7, v10
	v_ffbh_u32_e32 v11, v0
	v_min_u32_e32 v11, 32, v11
	v_subrev_u32_e32 v14, 28, v11
	v_lshlrev_b64 v[38:39], v14, v[10:11]
	v_lshrrev_b32_e32 v3, 3, v5
	v_sub_u32_e32 v11, 29, v11
	v_and_b32_e32 v14, 7, v38
	v_cmp_gt_u32_e32 vcc, 8, v5
	v_cndmask_b32_e32 v3, v3, v11, vcc
	v_cndmask_b32_e32 v0, v0, v14, vcc
	v_lshlrev_b32_e32 v5, 24, v10
	v_bfrev_b32_e32 v11, 60
	v_lshlrev_b32_e32 v0, 20, v0
	v_and_b32_e32 v5, 0x80000000, v5
	v_lshl_add_u32 v3, v3, 23, v11
	v_or3_b32 v3, v5, v3, v0
.LBB2_1814:                             ;   in Loop: Header=BB2_1409 Depth=2
	s_or_b64 exec, exec, s[66:67]
.LBB2_1815:                             ;   in Loop: Header=BB2_1409 Depth=2
	s_or_b64 exec, exec, s[64:65]
.LBB2_1816:                             ;   in Loop: Header=BB2_1409 Depth=2
	s_or_b64 exec, exec, s[62:63]
	v_cmp_ne_u16_sdwa vcc, v2, v55 src0_sel:BYTE_0 src1_sel:DWORD
	s_and_saveexec_b64 s[62:63], vcc
	s_cbranch_execz .LBB2_1822
; %bb.1817:                             ;   in Loop: Header=BB2_1409 Depth=2
	v_cmp_ne_u16_sdwa vcc, v2, s74 src0_sel:BYTE_0 src1_sel:DWORD
	v_bfrev_b32_e32 v4, 1
	s_and_saveexec_b64 s[64:65], vcc
	s_cbranch_execz .LBB2_1821
; %bb.1818:                             ;   in Loop: Header=BB2_1409 Depth=2
	v_bfe_u32 v5, v12, 16, 7
	v_cmp_ne_u32_e32 vcc, s75, v5
	v_mov_b32_e32 v4, 0x7f800001
	s_and_saveexec_b64 s[66:67], vcc
	s_cbranch_execz .LBB2_1820
; %bb.1819:                             ;   in Loop: Header=BB2_1409 Depth=2
	v_and_b32_e32 v0, 7, v2
	v_ffbh_u32_e32 v11, v0
	v_min_u32_e32 v11, 32, v11
	v_subrev_u32_e32 v14, 28, v11
	v_lshlrev_b64 v[38:39], v14, v[2:3]
	v_lshrrev_b32_e32 v4, 3, v5
	v_sub_u32_e32 v11, 29, v11
	v_and_b32_e32 v14, 7, v38
	v_cmp_gt_u32_e32 vcc, 8, v5
	v_cndmask_b32_e32 v4, v4, v11, vcc
	v_cndmask_b32_e32 v0, v0, v14, vcc
	v_lshlrev_b32_e32 v5, 24, v2
	v_bfrev_b32_e32 v11, 60
	v_lshlrev_b32_e32 v0, 20, v0
	v_and_b32_e32 v5, 0x80000000, v5
	v_lshl_add_u32 v4, v4, 23, v11
	v_or3_b32 v4, v5, v4, v0
.LBB2_1820:                             ;   in Loop: Header=BB2_1409 Depth=2
	s_or_b64 exec, exec, s[66:67]
.LBB2_1821:                             ;   in Loop: Header=BB2_1409 Depth=2
	s_or_b64 exec, exec, s[64:65]
.LBB2_1822:                             ;   in Loop: Header=BB2_1409 Depth=2
	s_or_b64 exec, exec, s[62:63]
	v_max_f32_e32 v0, v4, v4
	v_max_f32_e32 v3, v3, v3
	;; [unrolled: 1-line block ×3, first 2 shown]
	s_branch .LBB2_1837
.LBB2_1823:                             ;   in Loop: Header=BB2_1409 Depth=2
                                        ; implicit-def: $vgpr3
	s_cbranch_execz .LBB2_1837
; %bb.1824:                             ;   in Loop: Header=BB2_1409 Depth=2
	v_mov_b32_e32 v4, 0
	v_mov_b32_e32 v3, 0
	s_and_saveexec_b64 s[62:63], s[24:25]
	s_cbranch_execz .LBB2_1830
; %bb.1825:                             ;   in Loop: Header=BB2_1409 Depth=2
	v_cmp_ne_u16_sdwa vcc, v10, s74 src0_sel:BYTE_0 src1_sel:DWORD
	v_bfrev_b32_e32 v3, 1
	s_and_saveexec_b64 s[24:25], vcc
	s_cbranch_execz .LBB2_1829
; %bb.1826:                             ;   in Loop: Header=BB2_1409 Depth=2
	v_bfe_u32 v5, v16, 16, 7
	v_cmp_ne_u32_e32 vcc, s75, v5
	v_mov_b32_e32 v3, 0x7f800001
	s_and_saveexec_b64 s[64:65], vcc
	s_cbranch_execz .LBB2_1828
; %bb.1827:                             ;   in Loop: Header=BB2_1409 Depth=2
	v_and_b32_e32 v0, 7, v10
	v_ffbh_u32_e32 v11, v0
	v_min_u32_e32 v11, 32, v11
	v_subrev_u32_e32 v14, 28, v11
	v_lshlrev_b64 v[38:39], v14, v[10:11]
	v_lshrrev_b32_e32 v3, 3, v5
	v_sub_u32_e32 v11, 29, v11
	v_and_b32_e32 v14, 7, v38
	v_cmp_gt_u32_e32 vcc, 8, v5
	v_cndmask_b32_e32 v3, v3, v11, vcc
	v_cndmask_b32_e32 v0, v0, v14, vcc
	v_lshlrev_b32_e32 v5, 24, v10
	v_bfrev_b32_e32 v10, 60
	v_lshlrev_b32_e32 v0, 20, v0
	v_and_b32_e32 v5, 0x80000000, v5
	v_lshl_add_u32 v3, v3, 23, v10
	v_or3_b32 v3, v5, v3, v0
.LBB2_1828:                             ;   in Loop: Header=BB2_1409 Depth=2
	s_or_b64 exec, exec, s[64:65]
.LBB2_1829:                             ;   in Loop: Header=BB2_1409 Depth=2
	s_or_b64 exec, exec, s[24:25]
.LBB2_1830:                             ;   in Loop: Header=BB2_1409 Depth=2
	s_or_b64 exec, exec, s[62:63]
	v_cmp_ne_u16_sdwa vcc, v2, v55 src0_sel:BYTE_0 src1_sel:DWORD
	s_and_saveexec_b64 s[24:25], vcc
	s_cbranch_execz .LBB2_1836
; %bb.1831:                             ;   in Loop: Header=BB2_1409 Depth=2
	v_cmp_ne_u16_sdwa vcc, v2, s74 src0_sel:BYTE_0 src1_sel:DWORD
	v_bfrev_b32_e32 v4, 1
	s_and_saveexec_b64 s[62:63], vcc
	s_cbranch_execz .LBB2_1835
; %bb.1832:                             ;   in Loop: Header=BB2_1409 Depth=2
	v_bfe_u32 v5, v12, 16, 7
	v_cmp_ne_u32_e32 vcc, s75, v5
	v_mov_b32_e32 v4, 0x7f800001
	s_and_saveexec_b64 s[64:65], vcc
	s_cbranch_execz .LBB2_1834
; %bb.1833:                             ;   in Loop: Header=BB2_1409 Depth=2
	v_and_b32_e32 v0, 7, v2
	v_ffbh_u32_e32 v10, v0
	v_min_u32_e32 v14, 32, v10
	v_subrev_u32_e32 v10, 28, v14
	v_lshlrev_b64 v[10:11], v10, v[2:3]
	v_lshrrev_b32_e32 v4, 3, v5
	v_sub_u32_e32 v11, 29, v14
	v_and_b32_e32 v10, 7, v10
	v_cmp_gt_u32_e32 vcc, 8, v5
	v_cndmask_b32_e32 v4, v4, v11, vcc
	v_cndmask_b32_e32 v0, v0, v10, vcc
	v_lshlrev_b32_e32 v2, 24, v2
	v_bfrev_b32_e32 v5, 60
	v_lshlrev_b32_e32 v0, 20, v0
	v_and_b32_e32 v2, 0x80000000, v2
	v_lshl_add_u32 v4, v4, 23, v5
	v_or3_b32 v4, v2, v4, v0
.LBB2_1834:                             ;   in Loop: Header=BB2_1409 Depth=2
	s_or_b64 exec, exec, s[64:65]
.LBB2_1835:                             ;   in Loop: Header=BB2_1409 Depth=2
	s_or_b64 exec, exec, s[62:63]
.LBB2_1836:                             ;   in Loop: Header=BB2_1409 Depth=2
	s_or_b64 exec, exec, s[24:25]
	v_max_f32_e32 v0, v4, v4
	v_max_f32_e32 v2, v3, v3
	v_min_f32_e32 v3, v2, v0
.LBB2_1837:                             ;   in Loop: Header=BB2_1409 Depth=2
	v_and_b32_sdwa v4, v3, s74 dst_sel:DWORD dst_unused:UNUSED_PAD src0_sel:BYTE_3 src1_sel:DWORD
	v_and_b32_e32 v10, 0x7f800000, v3
	v_mov_b32_e32 v11, v55
	v_and_b32_e32 v54, 0x7fffff, v3
	v_or_b32_e32 v27, 0x7e, v4
	v_cmp_ne_u64_e32 vcc, s[44:45], v[10:11]
	s_and_saveexec_b64 s[24:25], vcc
	s_xor_b64 s[62:63], exec, s[24:25]
	s_cbranch_execz .LBB2_1847
; %bb.1838:                             ;   in Loop: Header=BB2_1409 Depth=2
	v_and_b32_e32 v10, 0x7fffffff, v3
	v_mov_b32_e32 v11, v55
	v_cmp_gt_u64_e32 vcc, s[46:47], v[10:11]
	s_and_saveexec_b64 s[64:65], vcc
	s_cbranch_execz .LBB2_1846
; %bb.1839:                             ;   in Loop: Header=BB2_1409 Depth=2
	v_cmp_ne_u32_e32 vcc, 0, v3
	v_mov_b32_e32 v27, 0
	s_and_saveexec_b64 s[66:67], vcc
	s_cbranch_execz .LBB2_1845
; %bb.1840:                             ;   in Loop: Header=BB2_1409 Depth=2
	v_bfe_u32 v0, v3, 23, 8
	v_sub_u32_e32 v3, 0x79, v0
	v_cmp_gt_u32_e32 vcc, s77, v0
	v_add_u32_e32 v2, 0xffffff81, v0
	v_cndmask_b32_e32 v3, 0, v3, vcc
	v_cmp_eq_u32_e32 vcc, 0, v0
	v_mov_b32_e32 v0, 0xffffff82
	v_cndmask_b32_e32 v0, v2, v0, vcc
	v_mov_b32_e32 v2, 0x78
	v_or_b32_e32 v5, 0x800000, v54
	v_cndmask_b32_e32 v10, v3, v2, vcc
	v_cndmask_b32_e32 v54, v5, v54, vcc
	v_add_u32_e32 v2, 20, v10
	v_lshlrev_b64 v[2:3], v2, -1
	v_add_u32_e32 v5, 19, v10
	v_lshrrev_b64 v[48:49], v10, v[54:55]
	v_not_b32_e32 v3, v3
	v_not_b32_e32 v2, v2
	v_lshlrev_b64 v[38:39], v5, 1
	v_lshrrev_b32_e32 v5, 23, v48
	v_and_b32_e32 v3, 0, v3
	v_and_b32_e32 v2, v54, v2
	v_add3_u32 v11, v10, v0, v5
	v_bfe_u32 v0, v48, 20, 1
	v_add_u32_e32 v0, -1, v0
	v_cmp_eq_u64_e32 vcc, v[2:3], v[38:39]
	v_cndmask_b32_e32 v0, 0, v0, vcc
	v_add_u32_e32 v0, v0, v48
	v_and_b32_e32 v0, 0xfffff, v0
	v_add_co_u32_e32 v2, vcc, v0, v48
	v_add_u32_e32 v10, 6, v11
	v_addc_co_u32_e32 v3, vcc, 0, v49, vcc
	v_cmp_ne_u32_e32 vcc, 0, v10
                                        ; implicit-def: $vgpr5
	s_and_saveexec_b64 s[24:25], vcc
	s_xor_b64 s[24:25], exec, s[24:25]
; %bb.1841:                             ;   in Loop: Header=BB2_1409 Depth=2
	v_add_u32_e32 v0, 7, v11
	v_cmp_lt_u64_e32 vcc, s[50:51], v[2:3]
	v_cndmask_b32_e32 v5, v10, v0, vcc
	v_cndmask_b32_e64 v0, 0, 1, vcc
	v_lshrrev_b64 v[2:3], v0, v[2:3]
; %bb.1842:                             ;   in Loop: Header=BB2_1409 Depth=2
	s_andn2_saveexec_b64 s[24:25], s[24:25]
; %bb.1843:                             ;   in Loop: Header=BB2_1409 Depth=2
	v_bfe_u32 v5, v2, 23, 1
; %bb.1844:                             ;   in Loop: Header=BB2_1409 Depth=2
	s_or_b64 exec, exec, s[24:25]
	v_lshrrev_b64 v[2:3], 20, v[2:3]
	v_cmp_gt_i32_e32 vcc, 16, v5
	v_cndmask_b32_e32 v3, 0, v3, vcc
	v_cndmask_b32_e32 v2, 7, v2, vcc
	v_min_i32_e32 v0, 15, v5
	v_cmp_eq_u32_e32 vcc, 0, v5
	v_cmp_eq_u64_e64 s[24:25], 0, v[2:3]
	v_lshlrev_b32_e32 v0, 3, v0
	v_and_or_b32 v0, v2, 7, v0
	s_and_b64 s[24:25], vcc, s[24:25]
	v_cndmask_b32_e64 v0, v0, 0, s[24:25]
	v_or_b32_e32 v27, v0, v4
.LBB2_1845:                             ;   in Loop: Header=BB2_1409 Depth=2
	s_or_b64 exec, exec, s[66:67]
.LBB2_1846:                             ;   in Loop: Header=BB2_1409 Depth=2
	s_or_b64 exec, exec, s[64:65]
                                        ; implicit-def: $vgpr3
.LBB2_1847:                             ;   in Loop: Header=BB2_1409 Depth=2
	s_andn2_saveexec_b64 s[24:25], s[62:63]
; %bb.1848:                             ;   in Loop: Header=BB2_1409 Depth=2
	v_or_b32_sdwa v0, v3, s75 dst_sel:DWORD dst_unused:UNUSED_PAD src0_sel:BYTE_3 src1_sel:DWORD
	v_cmp_eq_u64_e32 vcc, 0, v[54:55]
	v_cndmask_b32_e32 v27, v0, v27, vcc
; %bb.1849:                             ;   in Loop: Header=BB2_1409 Depth=2
	s_or_b64 exec, exec, s[24:25]
	v_lshrrev_b32_e32 v10, 24, v16
	v_lshrrev_b32_e32 v2, 24, v12
	v_cmp_lt_u32_e64 s[24:25], s49, v16
	s_and_b64 vcc, exec, s[60:61]
	s_cbranch_vccz .LBB2_1863
; %bb.1850:                             ;   in Loop: Header=BB2_1409 Depth=2
	v_mov_b32_e32 v4, 0
	v_mov_b32_e32 v3, 0
	s_and_saveexec_b64 s[62:63], s[24:25]
	s_cbranch_execz .LBB2_1856
; %bb.1851:                             ;   in Loop: Header=BB2_1409 Depth=2
	v_cmp_ne_u32_e32 vcc, s74, v10
	v_bfrev_b32_e32 v3, 1
	s_and_saveexec_b64 s[64:65], vcc
	s_cbranch_execz .LBB2_1855
; %bb.1852:                             ;   in Loop: Header=BB2_1409 Depth=2
	v_bfe_u32 v5, v16, 24, 7
	v_cmp_ne_u32_e32 vcc, s75, v5
	v_mov_b32_e32 v3, 0x7f800001
	s_and_saveexec_b64 s[66:67], vcc
	s_cbranch_execz .LBB2_1854
; %bb.1853:                             ;   in Loop: Header=BB2_1409 Depth=2
	v_and_b32_e32 v0, 7, v10
	v_ffbh_u32_e32 v11, v0
	v_min_u32_e32 v11, 32, v11
	v_subrev_u32_e32 v14, 28, v11
	v_lshlrev_b64 v[38:39], v14, v[10:11]
	v_lshrrev_b32_e32 v3, 3, v5
	v_sub_u32_e32 v11, 29, v11
	v_and_b32_e32 v14, 7, v38
	v_cmp_gt_u32_e32 vcc, 8, v5
	v_cndmask_b32_e32 v3, v3, v11, vcc
	v_cndmask_b32_e32 v0, v0, v14, vcc
	v_lshlrev_b32_e32 v5, 24, v10
	v_bfrev_b32_e32 v11, 60
	v_lshlrev_b32_e32 v0, 20, v0
	v_and_b32_e32 v5, 0x80000000, v5
	v_lshl_add_u32 v3, v3, 23, v11
	v_or3_b32 v3, v5, v3, v0
.LBB2_1854:                             ;   in Loop: Header=BB2_1409 Depth=2
	s_or_b64 exec, exec, s[66:67]
.LBB2_1855:                             ;   in Loop: Header=BB2_1409 Depth=2
	s_or_b64 exec, exec, s[64:65]
.LBB2_1856:                             ;   in Loop: Header=BB2_1409 Depth=2
	s_or_b64 exec, exec, s[62:63]
	v_cmp_lt_u32_e32 vcc, s49, v12
	s_and_saveexec_b64 s[62:63], vcc
	s_cbranch_execz .LBB2_1862
; %bb.1857:                             ;   in Loop: Header=BB2_1409 Depth=2
	v_cmp_ne_u32_e32 vcc, s74, v2
	v_bfrev_b32_e32 v4, 1
	s_and_saveexec_b64 s[64:65], vcc
	s_cbranch_execz .LBB2_1861
; %bb.1858:                             ;   in Loop: Header=BB2_1409 Depth=2
	v_bfe_u32 v5, v12, 24, 7
	v_cmp_ne_u32_e32 vcc, s75, v5
	v_mov_b32_e32 v4, 0x7f800001
	s_and_saveexec_b64 s[66:67], vcc
	s_cbranch_execz .LBB2_1860
; %bb.1859:                             ;   in Loop: Header=BB2_1409 Depth=2
	v_and_b32_e32 v0, 7, v2
	v_ffbh_u32_e32 v11, v0
	v_min_u32_e32 v11, 32, v11
	v_subrev_u32_e32 v14, 28, v11
	v_lshlrev_b64 v[38:39], v14, v[2:3]
	v_lshrrev_b32_e32 v4, 3, v5
	v_sub_u32_e32 v11, 29, v11
	v_and_b32_e32 v14, 7, v38
	v_cmp_gt_u32_e32 vcc, 8, v5
	v_cndmask_b32_e32 v4, v4, v11, vcc
	v_cndmask_b32_e32 v0, v0, v14, vcc
	v_lshlrev_b32_e32 v5, 24, v2
	v_bfrev_b32_e32 v11, 60
	v_lshlrev_b32_e32 v0, 20, v0
	v_and_b32_e32 v5, 0x80000000, v5
	v_lshl_add_u32 v4, v4, 23, v11
	v_or3_b32 v4, v5, v4, v0
.LBB2_1860:                             ;   in Loop: Header=BB2_1409 Depth=2
	s_or_b64 exec, exec, s[66:67]
.LBB2_1861:                             ;   in Loop: Header=BB2_1409 Depth=2
	s_or_b64 exec, exec, s[64:65]
.LBB2_1862:                             ;   in Loop: Header=BB2_1409 Depth=2
	s_or_b64 exec, exec, s[62:63]
	v_max_f32_e32 v0, v4, v4
	v_max_f32_e32 v3, v3, v3
	v_max_f32_e32 v3, v3, v0
	s_branch .LBB2_1877
.LBB2_1863:                             ;   in Loop: Header=BB2_1409 Depth=2
                                        ; implicit-def: $vgpr3
	s_cbranch_execz .LBB2_1877
; %bb.1864:                             ;   in Loop: Header=BB2_1409 Depth=2
	v_mov_b32_e32 v4, 0
	v_mov_b32_e32 v3, 0
	s_and_saveexec_b64 s[62:63], s[24:25]
	s_cbranch_execz .LBB2_1870
; %bb.1865:                             ;   in Loop: Header=BB2_1409 Depth=2
	v_cmp_ne_u32_e32 vcc, s74, v10
	v_bfrev_b32_e32 v3, 1
	s_and_saveexec_b64 s[24:25], vcc
	s_cbranch_execz .LBB2_1869
; %bb.1866:                             ;   in Loop: Header=BB2_1409 Depth=2
	v_bfe_u32 v5, v16, 24, 7
	v_cmp_ne_u32_e32 vcc, s75, v5
	v_mov_b32_e32 v3, 0x7f800001
	s_and_saveexec_b64 s[64:65], vcc
	s_cbranch_execz .LBB2_1868
; %bb.1867:                             ;   in Loop: Header=BB2_1409 Depth=2
	v_and_b32_e32 v0, 7, v10
	v_ffbh_u32_e32 v11, v0
	v_min_u32_e32 v11, 32, v11
	v_subrev_u32_e32 v14, 28, v11
	v_lshlrev_b64 v[38:39], v14, v[10:11]
	v_lshrrev_b32_e32 v3, 3, v5
	v_sub_u32_e32 v11, 29, v11
	v_and_b32_e32 v14, 7, v38
	v_cmp_gt_u32_e32 vcc, 8, v5
	v_cndmask_b32_e32 v3, v3, v11, vcc
	v_cndmask_b32_e32 v0, v0, v14, vcc
	v_lshlrev_b32_e32 v5, 24, v10
	v_bfrev_b32_e32 v10, 60
	v_lshlrev_b32_e32 v0, 20, v0
	v_and_b32_e32 v5, 0x80000000, v5
	v_lshl_add_u32 v3, v3, 23, v10
	v_or3_b32 v3, v5, v3, v0
.LBB2_1868:                             ;   in Loop: Header=BB2_1409 Depth=2
	s_or_b64 exec, exec, s[64:65]
.LBB2_1869:                             ;   in Loop: Header=BB2_1409 Depth=2
	s_or_b64 exec, exec, s[24:25]
.LBB2_1870:                             ;   in Loop: Header=BB2_1409 Depth=2
	s_or_b64 exec, exec, s[62:63]
	v_cmp_lt_u32_e32 vcc, s49, v12
	s_and_saveexec_b64 s[24:25], vcc
	s_cbranch_execz .LBB2_1876
; %bb.1871:                             ;   in Loop: Header=BB2_1409 Depth=2
	v_cmp_ne_u32_e32 vcc, s74, v2
	v_bfrev_b32_e32 v4, 1
	s_and_saveexec_b64 s[62:63], vcc
	s_cbranch_execz .LBB2_1875
; %bb.1872:                             ;   in Loop: Header=BB2_1409 Depth=2
	v_bfe_u32 v5, v12, 24, 7
	v_cmp_ne_u32_e32 vcc, s75, v5
	v_mov_b32_e32 v4, 0x7f800001
	s_and_saveexec_b64 s[64:65], vcc
	s_cbranch_execz .LBB2_1874
; %bb.1873:                             ;   in Loop: Header=BB2_1409 Depth=2
	v_and_b32_e32 v0, 7, v2
	v_ffbh_u32_e32 v10, v0
	v_min_u32_e32 v14, 32, v10
	v_subrev_u32_e32 v10, 28, v14
	v_lshlrev_b64 v[10:11], v10, v[2:3]
	v_lshrrev_b32_e32 v4, 3, v5
	v_sub_u32_e32 v11, 29, v14
	v_and_b32_e32 v10, 7, v10
	v_cmp_gt_u32_e32 vcc, 8, v5
	v_cndmask_b32_e32 v4, v4, v11, vcc
	v_cndmask_b32_e32 v0, v0, v10, vcc
	v_lshlrev_b32_e32 v2, 24, v2
	v_bfrev_b32_e32 v5, 60
	v_lshlrev_b32_e32 v0, 20, v0
	v_and_b32_e32 v2, 0x80000000, v2
	v_lshl_add_u32 v4, v4, 23, v5
	v_or3_b32 v4, v2, v4, v0
.LBB2_1874:                             ;   in Loop: Header=BB2_1409 Depth=2
	s_or_b64 exec, exec, s[64:65]
.LBB2_1875:                             ;   in Loop: Header=BB2_1409 Depth=2
	s_or_b64 exec, exec, s[62:63]
.LBB2_1876:                             ;   in Loop: Header=BB2_1409 Depth=2
	s_or_b64 exec, exec, s[24:25]
	v_max_f32_e32 v0, v4, v4
	v_max_f32_e32 v2, v3, v3
	v_min_f32_e32 v3, v2, v0
.LBB2_1877:                             ;   in Loop: Header=BB2_1409 Depth=2
	v_and_b32_sdwa v5, v3, s74 dst_sel:DWORD dst_unused:UNUSED_PAD src0_sel:BYTE_3 src1_sel:DWORD
	v_and_b32_e32 v10, 0x7f800000, v3
	v_mov_b32_e32 v11, v55
	v_and_b32_e32 v54, 0x7fffff, v3
	v_or_b32_e32 v4, 0x7e, v5
	v_cmp_ne_u64_e32 vcc, s[44:45], v[10:11]
	s_and_saveexec_b64 s[24:25], vcc
	s_xor_b64 s[62:63], exec, s[24:25]
	s_cbranch_execz .LBB2_1887
; %bb.1878:                             ;   in Loop: Header=BB2_1409 Depth=2
	v_and_b32_e32 v10, 0x7fffffff, v3
	v_mov_b32_e32 v11, v55
	v_cmp_gt_u64_e32 vcc, s[46:47], v[10:11]
	s_and_saveexec_b64 s[64:65], vcc
	s_cbranch_execz .LBB2_1886
; %bb.1879:                             ;   in Loop: Header=BB2_1409 Depth=2
	v_cmp_ne_u32_e32 vcc, 0, v3
	v_mov_b32_e32 v4, 0
	s_and_saveexec_b64 s[66:67], vcc
	s_cbranch_execz .LBB2_1885
; %bb.1880:                             ;   in Loop: Header=BB2_1409 Depth=2
	v_bfe_u32 v0, v3, 23, 8
	v_sub_u32_e32 v3, 0x79, v0
	v_cmp_gt_u32_e32 vcc, s77, v0
	v_add_u32_e32 v2, 0xffffff81, v0
	v_cndmask_b32_e32 v3, 0, v3, vcc
	v_cmp_eq_u32_e32 vcc, 0, v0
	v_mov_b32_e32 v0, 0xffffff82
	v_cndmask_b32_e32 v0, v2, v0, vcc
	v_mov_b32_e32 v2, 0x78
	v_or_b32_e32 v4, 0x800000, v54
	v_cndmask_b32_e32 v10, v3, v2, vcc
	v_cndmask_b32_e32 v54, v4, v54, vcc
	v_add_u32_e32 v2, 20, v10
	v_lshlrev_b64 v[2:3], v2, -1
	v_add_u32_e32 v4, 19, v10
	v_lshrrev_b64 v[48:49], v10, v[54:55]
	v_not_b32_e32 v3, v3
	v_not_b32_e32 v2, v2
	v_lshlrev_b64 v[38:39], v4, 1
	v_lshrrev_b32_e32 v4, 23, v48
	v_and_b32_e32 v3, 0, v3
	v_and_b32_e32 v2, v54, v2
	v_add3_u32 v11, v10, v0, v4
	v_bfe_u32 v0, v48, 20, 1
	v_add_u32_e32 v0, -1, v0
	v_cmp_eq_u64_e32 vcc, v[2:3], v[38:39]
	v_cndmask_b32_e32 v0, 0, v0, vcc
	v_add_u32_e32 v0, v0, v48
	v_and_b32_e32 v0, 0xfffff, v0
	v_add_co_u32_e32 v2, vcc, v0, v48
	v_add_u32_e32 v10, 6, v11
	v_addc_co_u32_e32 v3, vcc, 0, v49, vcc
	v_cmp_ne_u32_e32 vcc, 0, v10
                                        ; implicit-def: $vgpr4
	s_and_saveexec_b64 s[24:25], vcc
	s_xor_b64 s[24:25], exec, s[24:25]
; %bb.1881:                             ;   in Loop: Header=BB2_1409 Depth=2
	v_add_u32_e32 v0, 7, v11
	v_cmp_lt_u64_e32 vcc, s[50:51], v[2:3]
	v_cndmask_b32_e32 v4, v10, v0, vcc
	v_cndmask_b32_e64 v0, 0, 1, vcc
	v_lshrrev_b64 v[2:3], v0, v[2:3]
; %bb.1882:                             ;   in Loop: Header=BB2_1409 Depth=2
	s_andn2_saveexec_b64 s[24:25], s[24:25]
; %bb.1883:                             ;   in Loop: Header=BB2_1409 Depth=2
	v_bfe_u32 v4, v2, 23, 1
; %bb.1884:                             ;   in Loop: Header=BB2_1409 Depth=2
	s_or_b64 exec, exec, s[24:25]
	v_lshrrev_b64 v[2:3], 20, v[2:3]
	v_cmp_gt_i32_e32 vcc, 16, v4
	v_cndmask_b32_e32 v3, 0, v3, vcc
	v_cndmask_b32_e32 v2, 7, v2, vcc
	v_min_i32_e32 v0, 15, v4
	v_cmp_eq_u32_e32 vcc, 0, v4
	v_cmp_eq_u64_e64 s[24:25], 0, v[2:3]
	v_lshlrev_b32_e32 v0, 3, v0
	v_and_or_b32 v0, v2, 7, v0
	s_and_b64 s[24:25], vcc, s[24:25]
	v_cndmask_b32_e64 v0, v0, 0, s[24:25]
	v_or_b32_e32 v4, v0, v5
.LBB2_1885:                             ;   in Loop: Header=BB2_1409 Depth=2
	s_or_b64 exec, exec, s[66:67]
.LBB2_1886:                             ;   in Loop: Header=BB2_1409 Depth=2
	s_or_b64 exec, exec, s[64:65]
                                        ; implicit-def: $vgpr3
.LBB2_1887:                             ;   in Loop: Header=BB2_1409 Depth=2
	s_andn2_saveexec_b64 s[24:25], s[62:63]
; %bb.1888:                             ;   in Loop: Header=BB2_1409 Depth=2
	v_or_b32_sdwa v0, v3, s75 dst_sel:DWORD dst_unused:UNUSED_PAD src0_sel:BYTE_3 src1_sel:DWORD
	v_cmp_eq_u64_e32 vcc, 0, v[54:55]
	v_cndmask_b32_e32 v4, v0, v4, vcc
; %bb.1889:                             ;   in Loop: Header=BB2_1409 Depth=2
	s_or_b64 exec, exec, s[24:25]
	v_mov_b32_e32 v54, v17
	v_mov_b32_e32 v10, v13
	;; [unrolled: 1-line block ×3, first 2 shown]
	v_cmp_ne_u16_sdwa s[24:25], v17, v55 src0_sel:BYTE_0 src1_sel:DWORD
	s_and_b64 vcc, exec, s[60:61]
	s_cbranch_vccz .LBB2_1903
; %bb.1890:                             ;   in Loop: Header=BB2_1409 Depth=2
	v_mov_b32_e32 v3, 0
	v_mov_b32_e32 v2, 0
	s_and_saveexec_b64 s[62:63], s[24:25]
	s_cbranch_execz .LBB2_1896
; %bb.1891:                             ;   in Loop: Header=BB2_1409 Depth=2
	v_cmp_ne_u16_sdwa vcc, v17, s74 src0_sel:BYTE_0 src1_sel:DWORD
	v_bfrev_b32_e32 v2, 1
	s_and_saveexec_b64 s[64:65], vcc
	s_cbranch_execz .LBB2_1895
; %bb.1892:                             ;   in Loop: Header=BB2_1409 Depth=2
	v_and_b32_e32 v5, 0x7f, v17
	v_cmp_ne_u32_e32 vcc, s75, v5
	v_mov_b32_e32 v2, 0x7f800001
	s_and_saveexec_b64 s[66:67], vcc
	s_cbranch_execz .LBB2_1894
; %bb.1893:                             ;   in Loop: Header=BB2_1409 Depth=2
	v_and_b32_e32 v0, 7, v17
	v_ffbh_u32_e32 v0, v0
	v_min_u32_e32 v0, 32, v0
	v_lshrrev_b32_e32 v2, 3, v5
	v_subrev_u32_e32 v14, 28, v0
	v_sub_u32_e32 v0, 29, v0
	v_cmp_gt_u32_e32 vcc, 8, v5
	v_cndmask_b32_e32 v0, v2, v0, vcc
	v_cndmask_b32_e32 v2, 0, v14, vcc
	v_lshlrev_b64 v[38:39], v2, v[54:55]
	v_lshlrev_b32_e32 v2, 20, v38
	v_lshlrev_b32_e32 v5, 24, v54
	v_bfrev_b32_e32 v14, 60
	v_and_b32_e32 v2, 0x700000, v2
	v_and_b32_e32 v5, 0x80000000, v5
	v_lshl_add_u32 v0, v0, 23, v14
	v_or3_b32 v2, v5, v0, v2
.LBB2_1894:                             ;   in Loop: Header=BB2_1409 Depth=2
	s_or_b64 exec, exec, s[66:67]
.LBB2_1895:                             ;   in Loop: Header=BB2_1409 Depth=2
	s_or_b64 exec, exec, s[64:65]
.LBB2_1896:                             ;   in Loop: Header=BB2_1409 Depth=2
	s_or_b64 exec, exec, s[62:63]
	v_cmp_ne_u16_sdwa vcc, v13, v55 src0_sel:BYTE_0 src1_sel:DWORD
	s_and_saveexec_b64 s[62:63], vcc
	s_cbranch_execz .LBB2_1902
; %bb.1897:                             ;   in Loop: Header=BB2_1409 Depth=2
	v_cmp_ne_u16_sdwa vcc, v13, s74 src0_sel:BYTE_0 src1_sel:DWORD
	v_bfrev_b32_e32 v3, 1
	s_and_saveexec_b64 s[64:65], vcc
	s_cbranch_execz .LBB2_1901
; %bb.1898:                             ;   in Loop: Header=BB2_1409 Depth=2
	v_and_b32_e32 v5, 0x7f, v13
	v_cmp_ne_u32_e32 vcc, s75, v5
	v_mov_b32_e32 v3, 0x7f800001
	s_and_saveexec_b64 s[66:67], vcc
	s_cbranch_execz .LBB2_1900
; %bb.1899:                             ;   in Loop: Header=BB2_1409 Depth=2
	v_and_b32_e32 v0, 7, v13
	v_ffbh_u32_e32 v0, v0
	v_min_u32_e32 v0, 32, v0
	v_lshrrev_b32_e32 v3, 3, v5
	v_subrev_u32_e32 v14, 28, v0
	v_sub_u32_e32 v0, 29, v0
	v_cmp_gt_u32_e32 vcc, 8, v5
	v_cndmask_b32_e32 v0, v3, v0, vcc
	v_cndmask_b32_e32 v3, 0, v14, vcc
	v_lshlrev_b64 v[38:39], v3, v[10:11]
	v_lshlrev_b32_e32 v3, 20, v38
	v_lshlrev_b32_e32 v5, 24, v10
	v_bfrev_b32_e32 v14, 60
	v_and_b32_e32 v3, 0x700000, v3
	v_and_b32_e32 v5, 0x80000000, v5
	v_lshl_add_u32 v0, v0, 23, v14
	v_or3_b32 v3, v5, v0, v3
.LBB2_1900:                             ;   in Loop: Header=BB2_1409 Depth=2
	s_or_b64 exec, exec, s[66:67]
.LBB2_1901:                             ;   in Loop: Header=BB2_1409 Depth=2
	s_or_b64 exec, exec, s[64:65]
.LBB2_1902:                             ;   in Loop: Header=BB2_1409 Depth=2
	s_or_b64 exec, exec, s[62:63]
	v_max_f32_e32 v0, v3, v3
	v_max_f32_e32 v2, v2, v2
	;; [unrolled: 1-line block ×3, first 2 shown]
	s_branch .LBB2_1917
.LBB2_1903:                             ;   in Loop: Header=BB2_1409 Depth=2
                                        ; implicit-def: $vgpr14
	s_cbranch_execz .LBB2_1917
; %bb.1904:                             ;   in Loop: Header=BB2_1409 Depth=2
	v_mov_b32_e32 v3, 0
	v_mov_b32_e32 v2, 0
	s_and_saveexec_b64 s[62:63], s[24:25]
	s_cbranch_execz .LBB2_1910
; %bb.1905:                             ;   in Loop: Header=BB2_1409 Depth=2
	v_cmp_ne_u16_sdwa vcc, v17, s74 src0_sel:BYTE_0 src1_sel:DWORD
	v_bfrev_b32_e32 v2, 1
	s_and_saveexec_b64 s[24:25], vcc
	s_cbranch_execz .LBB2_1909
; %bb.1906:                             ;   in Loop: Header=BB2_1409 Depth=2
	v_and_b32_e32 v5, 0x7f, v17
	v_cmp_ne_u32_e32 vcc, s75, v5
	v_mov_b32_e32 v2, 0x7f800001
	s_and_saveexec_b64 s[64:65], vcc
	s_cbranch_execz .LBB2_1908
; %bb.1907:                             ;   in Loop: Header=BB2_1409 Depth=2
	v_and_b32_e32 v0, 7, v17
	v_ffbh_u32_e32 v0, v0
	v_min_u32_e32 v0, 32, v0
	v_lshrrev_b32_e32 v2, 3, v5
	v_subrev_u32_e32 v14, 28, v0
	v_sub_u32_e32 v0, 29, v0
	v_cmp_gt_u32_e32 vcc, 8, v5
	v_cndmask_b32_e32 v0, v2, v0, vcc
	v_cndmask_b32_e32 v2, 0, v14, vcc
	v_lshlrev_b64 v[38:39], v2, v[54:55]
	v_lshlrev_b32_e32 v2, 20, v38
	v_lshlrev_b32_e32 v5, 24, v54
	v_bfrev_b32_e32 v14, 60
	v_and_b32_e32 v2, 0x700000, v2
	v_and_b32_e32 v5, 0x80000000, v5
	v_lshl_add_u32 v0, v0, 23, v14
	v_or3_b32 v2, v5, v0, v2
.LBB2_1908:                             ;   in Loop: Header=BB2_1409 Depth=2
	s_or_b64 exec, exec, s[64:65]
.LBB2_1909:                             ;   in Loop: Header=BB2_1409 Depth=2
	s_or_b64 exec, exec, s[24:25]
.LBB2_1910:                             ;   in Loop: Header=BB2_1409 Depth=2
	s_or_b64 exec, exec, s[62:63]
	v_cmp_ne_u16_sdwa vcc, v13, v55 src0_sel:BYTE_0 src1_sel:DWORD
	s_and_saveexec_b64 s[24:25], vcc
	s_cbranch_execz .LBB2_1916
; %bb.1911:                             ;   in Loop: Header=BB2_1409 Depth=2
	v_cmp_ne_u16_sdwa vcc, v13, s74 src0_sel:BYTE_0 src1_sel:DWORD
	v_bfrev_b32_e32 v3, 1
	s_and_saveexec_b64 s[62:63], vcc
	s_cbranch_execz .LBB2_1915
; %bb.1912:                             ;   in Loop: Header=BB2_1409 Depth=2
	v_and_b32_e32 v5, 0x7f, v13
	v_cmp_ne_u32_e32 vcc, s75, v5
	v_mov_b32_e32 v3, 0x7f800001
	s_and_saveexec_b64 s[64:65], vcc
	s_cbranch_execz .LBB2_1914
; %bb.1913:                             ;   in Loop: Header=BB2_1409 Depth=2
	v_and_b32_e32 v0, 7, v13
	v_ffbh_u32_e32 v0, v0
	v_min_u32_e32 v0, 32, v0
	v_lshrrev_b32_e32 v3, 3, v5
	v_subrev_u32_e32 v14, 28, v0
	v_sub_u32_e32 v0, 29, v0
	v_cmp_gt_u32_e32 vcc, 8, v5
	v_cndmask_b32_e32 v0, v3, v0, vcc
	v_cndmask_b32_e32 v3, 0, v14, vcc
	v_lshlrev_b64 v[38:39], v3, v[10:11]
	v_lshlrev_b32_e32 v3, 20, v38
	v_lshlrev_b32_e32 v5, 24, v10
	v_bfrev_b32_e32 v11, 60
	v_and_b32_e32 v3, 0x700000, v3
	v_and_b32_e32 v5, 0x80000000, v5
	v_lshl_add_u32 v0, v0, 23, v11
	v_or3_b32 v3, v5, v0, v3
.LBB2_1914:                             ;   in Loop: Header=BB2_1409 Depth=2
	s_or_b64 exec, exec, s[64:65]
.LBB2_1915:                             ;   in Loop: Header=BB2_1409 Depth=2
	s_or_b64 exec, exec, s[62:63]
.LBB2_1916:                             ;   in Loop: Header=BB2_1409 Depth=2
	s_or_b64 exec, exec, s[24:25]
	v_max_f32_e32 v0, v3, v3
	v_max_f32_e32 v2, v2, v2
	v_min_f32_e32 v14, v2, v0
.LBB2_1917:                             ;   in Loop: Header=BB2_1409 Depth=2
	v_and_b32_sdwa v11, v14, s74 dst_sel:DWORD dst_unused:UNUSED_PAD src0_sel:BYTE_3 src1_sel:DWORD
	v_and_b32_e32 v38, 0x7f800000, v14
	v_mov_b32_e32 v39, v55
	v_and_b32_e32 v2, 0x7fffff, v14
	v_mov_b32_e32 v3, v55
	v_or_b32_e32 v5, 0x7e, v11
	v_cmp_ne_u64_e32 vcc, s[44:45], v[38:39]
	s_and_saveexec_b64 s[24:25], vcc
	s_xor_b64 s[62:63], exec, s[24:25]
	s_cbranch_execz .LBB2_1927
; %bb.1918:                             ;   in Loop: Header=BB2_1409 Depth=2
	v_and_b32_e32 v38, 0x7fffffff, v14
	v_mov_b32_e32 v39, v55
	v_cmp_gt_u64_e32 vcc, s[46:47], v[38:39]
	s_and_saveexec_b64 s[64:65], vcc
	s_cbranch_execz .LBB2_1926
; %bb.1919:                             ;   in Loop: Header=BB2_1409 Depth=2
	v_cmp_ne_u32_e32 vcc, 0, v14
	v_mov_b32_e32 v5, 0
	s_and_saveexec_b64 s[66:67], vcc
	s_cbranch_execz .LBB2_1925
; %bb.1920:                             ;   in Loop: Header=BB2_1409 Depth=2
	v_bfe_u32 v0, v14, 23, 8
	v_sub_u32_e32 v14, 0x79, v0
	v_cmp_gt_u32_e32 vcc, s77, v0
	v_add_u32_e32 v5, 0xffffff81, v0
	v_cndmask_b32_e32 v14, 0, v14, vcc
	v_cmp_eq_u32_e32 vcc, 0, v0
	v_mov_b32_e32 v0, 0xffffff82
	v_cndmask_b32_e32 v0, v5, v0, vcc
	v_mov_b32_e32 v5, 0x78
	v_cndmask_b32_e32 v5, v14, v5, vcc
	v_or_b32_e32 v38, 0x800000, v2
	v_add_u32_e32 v14, 20, v5
	v_cndmask_b32_e32 v2, v38, v2, vcc
	v_lshlrev_b64 v[38:39], v14, -1
	v_not_b32_e32 v14, v39
	v_not_b32_e32 v38, v38
	v_and_b32_e32 v39, 0, v14
	v_and_b32_e32 v38, v2, v38
	v_add_u32_e32 v14, 19, v5
	v_lshrrev_b64 v[2:3], v5, v[2:3]
	v_lshlrev_b64 v[40:41], v14, 1
	v_lshrrev_b32_e32 v14, 23, v2
	v_add3_u32 v48, v5, v0, v14
	v_bfe_u32 v0, v2, 20, 1
	v_add_u32_e32 v0, -1, v0
	v_cmp_eq_u64_e32 vcc, v[38:39], v[40:41]
	v_cndmask_b32_e32 v0, 0, v0, vcc
	v_add_u32_e32 v0, v0, v2
	v_and_b32_e32 v0, 0xfffff, v0
	v_add_co_u32_e32 v2, vcc, v0, v2
	v_add_u32_e32 v14, 6, v48
	v_addc_co_u32_e32 v3, vcc, 0, v3, vcc
	v_cmp_ne_u32_e32 vcc, 0, v14
                                        ; implicit-def: $vgpr5
	s_and_saveexec_b64 s[24:25], vcc
	s_xor_b64 s[24:25], exec, s[24:25]
; %bb.1921:                             ;   in Loop: Header=BB2_1409 Depth=2
	v_add_u32_e32 v0, 7, v48
	v_cmp_lt_u64_e32 vcc, s[50:51], v[2:3]
	v_cndmask_b32_e32 v5, v14, v0, vcc
	v_cndmask_b32_e64 v0, 0, 1, vcc
	v_lshrrev_b64 v[2:3], v0, v[2:3]
; %bb.1922:                             ;   in Loop: Header=BB2_1409 Depth=2
	s_andn2_saveexec_b64 s[24:25], s[24:25]
; %bb.1923:                             ;   in Loop: Header=BB2_1409 Depth=2
	v_bfe_u32 v5, v2, 23, 1
; %bb.1924:                             ;   in Loop: Header=BB2_1409 Depth=2
	s_or_b64 exec, exec, s[24:25]
	v_lshrrev_b64 v[2:3], 20, v[2:3]
	v_cmp_gt_i32_e32 vcc, 16, v5
	v_cndmask_b32_e32 v3, 0, v3, vcc
	v_cndmask_b32_e32 v2, 7, v2, vcc
	v_min_i32_e32 v0, 15, v5
	v_cmp_eq_u32_e32 vcc, 0, v5
	v_cmp_eq_u64_e64 s[24:25], 0, v[2:3]
	v_lshlrev_b32_e32 v0, 3, v0
	v_and_or_b32 v0, v2, 7, v0
	s_and_b64 s[24:25], vcc, s[24:25]
	v_cndmask_b32_e64 v0, v0, 0, s[24:25]
	v_accvgpr_read_b32 v41, a5
	v_or_b32_e32 v5, v0, v11
	v_accvgpr_read_b32 v40, a4
.LBB2_1925:                             ;   in Loop: Header=BB2_1409 Depth=2
	s_or_b64 exec, exec, s[66:67]
.LBB2_1926:                             ;   in Loop: Header=BB2_1409 Depth=2
	s_or_b64 exec, exec, s[64:65]
                                        ; implicit-def: $vgpr14
                                        ; implicit-def: $vgpr2_vgpr3
.LBB2_1927:                             ;   in Loop: Header=BB2_1409 Depth=2
	s_andn2_saveexec_b64 s[24:25], s[62:63]
; %bb.1928:                             ;   in Loop: Header=BB2_1409 Depth=2
	v_or_b32_sdwa v0, v14, s75 dst_sel:DWORD dst_unused:UNUSED_PAD src0_sel:BYTE_3 src1_sel:DWORD
	v_cmp_eq_u64_e32 vcc, 0, v[2:3]
	v_cndmask_b32_e32 v5, v0, v5, vcc
; %bb.1929:                             ;   in Loop: Header=BB2_1409 Depth=2
	s_or_b64 exec, exec, s[24:25]
	v_lshrrev_b16_e32 v14, 8, v54
	v_lshrrev_b16_e32 v2, 8, v10
	v_cmp_ne_u16_e64 s[24:25], 0, v14
	s_and_b64 vcc, exec, s[60:61]
	s_cbranch_vccz .LBB2_1943
; %bb.1930:                             ;   in Loop: Header=BB2_1409 Depth=2
	v_mov_b32_e32 v11, 0
	v_mov_b32_e32 v3, 0
	s_and_saveexec_b64 s[62:63], s[24:25]
	s_cbranch_execz .LBB2_1936
; %bb.1931:                             ;   in Loop: Header=BB2_1409 Depth=2
	v_cmp_ne_u16_e32 vcc, s74, v14
	v_bfrev_b32_e32 v3, 1
	s_and_saveexec_b64 s[64:65], vcc
	s_cbranch_execz .LBB2_1935
; %bb.1932:                             ;   in Loop: Header=BB2_1409 Depth=2
	v_and_b32_e32 v48, 0x7f, v14
	v_cmp_ne_u32_e32 vcc, s75, v48
	v_mov_b32_e32 v3, 0x7f800001
	s_and_saveexec_b64 s[66:67], vcc
	s_cbranch_execz .LBB2_1934
; %bb.1933:                             ;   in Loop: Header=BB2_1409 Depth=2
	v_and_b32_e32 v0, 7, v14
	v_ffbh_u32_e32 v38, v0
	v_min_u32_e32 v49, 32, v38
	v_subrev_u32_e32 v38, 28, v49
	v_lshlrev_b64 v[38:39], v38, v[14:15]
	v_lshrrev_b32_e32 v3, 3, v48
	v_sub_u32_e32 v39, 29, v49
	v_and_b32_e32 v38, 7, v38
	v_cmp_gt_u32_e32 vcc, 8, v48
	v_cndmask_b32_e32 v3, v3, v39, vcc
	v_cndmask_b32_e32 v0, v0, v38, vcc
	v_lshlrev_b32_e32 v38, 16, v54
	v_bfrev_b32_e32 v39, 60
	v_lshlrev_b32_e32 v0, 20, v0
	v_and_b32_e32 v38, 0x80000000, v38
	v_lshl_add_u32 v3, v3, 23, v39
	v_or3_b32 v3, v38, v3, v0
.LBB2_1934:                             ;   in Loop: Header=BB2_1409 Depth=2
	s_or_b64 exec, exec, s[66:67]
.LBB2_1935:                             ;   in Loop: Header=BB2_1409 Depth=2
	s_or_b64 exec, exec, s[64:65]
.LBB2_1936:                             ;   in Loop: Header=BB2_1409 Depth=2
	s_or_b64 exec, exec, s[62:63]
	v_cmp_ne_u16_e32 vcc, 0, v2
	s_and_saveexec_b64 s[62:63], vcc
	s_cbranch_execz .LBB2_1942
; %bb.1937:                             ;   in Loop: Header=BB2_1409 Depth=2
	v_cmp_ne_u16_e32 vcc, s74, v2
	v_bfrev_b32_e32 v11, 1
	s_and_saveexec_b64 s[64:65], vcc
	s_cbranch_execz .LBB2_1941
; %bb.1938:                             ;   in Loop: Header=BB2_1409 Depth=2
	v_and_b32_e32 v48, 0x7f, v2
	v_cmp_ne_u32_e32 vcc, s75, v48
	v_mov_b32_e32 v11, 0x7f800001
	s_and_saveexec_b64 s[66:67], vcc
	s_cbranch_execz .LBB2_1940
; %bb.1939:                             ;   in Loop: Header=BB2_1409 Depth=2
	v_and_b32_e32 v0, 7, v2
	v_ffbh_u32_e32 v38, v0
	v_min_u32_e32 v49, 32, v38
	v_subrev_u32_e32 v38, 28, v49
	v_lshlrev_b64 v[38:39], v38, v[2:3]
	v_lshrrev_b32_e32 v11, 3, v48
	v_sub_u32_e32 v39, 29, v49
	v_and_b32_e32 v38, 7, v38
	v_cmp_gt_u32_e32 vcc, 8, v48
	v_cndmask_b32_e32 v11, v11, v39, vcc
	v_cndmask_b32_e32 v0, v0, v38, vcc
	v_lshlrev_b32_e32 v38, 16, v10
	v_bfrev_b32_e32 v39, 60
	v_lshlrev_b32_e32 v0, 20, v0
	v_and_b32_e32 v38, 0x80000000, v38
	v_lshl_add_u32 v11, v11, 23, v39
	v_or3_b32 v11, v38, v11, v0
.LBB2_1940:                             ;   in Loop: Header=BB2_1409 Depth=2
	s_or_b64 exec, exec, s[66:67]
.LBB2_1941:                             ;   in Loop: Header=BB2_1409 Depth=2
	s_or_b64 exec, exec, s[64:65]
.LBB2_1942:                             ;   in Loop: Header=BB2_1409 Depth=2
	s_or_b64 exec, exec, s[62:63]
	v_max_f32_e32 v0, v11, v11
	v_max_f32_e32 v3, v3, v3
	;; [unrolled: 1-line block ×3, first 2 shown]
	s_branch .LBB2_1957
.LBB2_1943:                             ;   in Loop: Header=BB2_1409 Depth=2
                                        ; implicit-def: $vgpr3
	s_cbranch_execz .LBB2_1957
; %bb.1944:                             ;   in Loop: Header=BB2_1409 Depth=2
	v_mov_b32_e32 v11, 0
	v_mov_b32_e32 v3, 0
	s_and_saveexec_b64 s[62:63], s[24:25]
	s_cbranch_execz .LBB2_1950
; %bb.1945:                             ;   in Loop: Header=BB2_1409 Depth=2
	v_cmp_ne_u16_e32 vcc, s74, v14
	v_bfrev_b32_e32 v3, 1
	s_and_saveexec_b64 s[24:25], vcc
	s_cbranch_execz .LBB2_1949
; %bb.1946:                             ;   in Loop: Header=BB2_1409 Depth=2
	v_and_b32_e32 v48, 0x7f, v14
	v_cmp_ne_u32_e32 vcc, s75, v48
	v_mov_b32_e32 v3, 0x7f800001
	s_and_saveexec_b64 s[64:65], vcc
	s_cbranch_execz .LBB2_1948
; %bb.1947:                             ;   in Loop: Header=BB2_1409 Depth=2
	v_and_b32_e32 v0, 7, v14
	v_ffbh_u32_e32 v38, v0
	v_min_u32_e32 v49, 32, v38
	v_subrev_u32_e32 v38, 28, v49
	v_lshlrev_b64 v[38:39], v38, v[14:15]
	v_lshrrev_b32_e32 v3, 3, v48
	v_sub_u32_e32 v14, 29, v49
	v_and_b32_e32 v38, 7, v38
	v_cmp_gt_u32_e32 vcc, 8, v48
	v_cndmask_b32_e32 v3, v3, v14, vcc
	v_cndmask_b32_e32 v0, v0, v38, vcc
	v_lshlrev_b32_e32 v14, 16, v54
	v_bfrev_b32_e32 v38, 60
	v_lshlrev_b32_e32 v0, 20, v0
	v_and_b32_e32 v14, 0x80000000, v14
	v_lshl_add_u32 v3, v3, 23, v38
	v_or3_b32 v3, v14, v3, v0
.LBB2_1948:                             ;   in Loop: Header=BB2_1409 Depth=2
	s_or_b64 exec, exec, s[64:65]
.LBB2_1949:                             ;   in Loop: Header=BB2_1409 Depth=2
	s_or_b64 exec, exec, s[24:25]
.LBB2_1950:                             ;   in Loop: Header=BB2_1409 Depth=2
	s_or_b64 exec, exec, s[62:63]
	v_cmp_ne_u16_e32 vcc, 0, v2
	s_and_saveexec_b64 s[24:25], vcc
	s_cbranch_execz .LBB2_1956
; %bb.1951:                             ;   in Loop: Header=BB2_1409 Depth=2
	v_cmp_ne_u16_e32 vcc, s74, v2
	v_bfrev_b32_e32 v11, 1
	s_and_saveexec_b64 s[62:63], vcc
	s_cbranch_execz .LBB2_1955
; %bb.1952:                             ;   in Loop: Header=BB2_1409 Depth=2
	v_and_b32_e32 v14, 0x7f, v2
	v_cmp_ne_u32_e32 vcc, s75, v14
	v_mov_b32_e32 v11, 0x7f800001
	s_and_saveexec_b64 s[64:65], vcc
	s_cbranch_execz .LBB2_1954
; %bb.1953:                             ;   in Loop: Header=BB2_1409 Depth=2
	v_and_b32_e32 v0, 7, v2
	v_ffbh_u32_e32 v38, v0
	v_min_u32_e32 v48, 32, v38
	v_subrev_u32_e32 v38, 28, v48
	v_lshlrev_b64 v[38:39], v38, v[2:3]
	v_lshrrev_b32_e32 v11, 3, v14
	v_sub_u32_e32 v2, 29, v48
	v_and_b32_e32 v38, 7, v38
	v_cmp_gt_u32_e32 vcc, 8, v14
	v_cndmask_b32_e32 v2, v11, v2, vcc
	v_cndmask_b32_e32 v0, v0, v38, vcc
	v_lshlrev_b32_e32 v10, 16, v10
	v_bfrev_b32_e32 v11, 60
	v_lshlrev_b32_e32 v0, 20, v0
	v_and_b32_e32 v10, 0x80000000, v10
	v_lshl_add_u32 v2, v2, 23, v11
	v_or3_b32 v11, v10, v2, v0
.LBB2_1954:                             ;   in Loop: Header=BB2_1409 Depth=2
	s_or_b64 exec, exec, s[64:65]
.LBB2_1955:                             ;   in Loop: Header=BB2_1409 Depth=2
	s_or_b64 exec, exec, s[62:63]
.LBB2_1956:                             ;   in Loop: Header=BB2_1409 Depth=2
	s_or_b64 exec, exec, s[24:25]
	v_max_f32_e32 v0, v11, v11
	v_max_f32_e32 v2, v3, v3
	v_min_f32_e32 v3, v2, v0
.LBB2_1957:                             ;   in Loop: Header=BB2_1409 Depth=2
	v_and_b32_sdwa v10, v3, s74 dst_sel:DWORD dst_unused:UNUSED_PAD src0_sel:BYTE_3 src1_sel:DWORD
	v_and_b32_e32 v38, 0x7f800000, v3
	v_mov_b32_e32 v39, v55
	v_and_b32_e32 v54, 0x7fffff, v3
	v_or_b32_e32 v11, 0x7e, v10
	v_cmp_ne_u64_e32 vcc, s[44:45], v[38:39]
	s_and_saveexec_b64 s[24:25], vcc
	s_xor_b64 s[62:63], exec, s[24:25]
	s_cbranch_execz .LBB2_1967
; %bb.1958:                             ;   in Loop: Header=BB2_1409 Depth=2
	v_and_b32_e32 v38, 0x7fffffff, v3
	v_mov_b32_e32 v39, v55
	v_cmp_gt_u64_e32 vcc, s[46:47], v[38:39]
	s_and_saveexec_b64 s[64:65], vcc
	s_cbranch_execz .LBB2_1966
; %bb.1959:                             ;   in Loop: Header=BB2_1409 Depth=2
	v_cmp_ne_u32_e32 vcc, 0, v3
	v_mov_b32_e32 v11, 0
	s_and_saveexec_b64 s[66:67], vcc
	s_cbranch_execz .LBB2_1965
; %bb.1960:                             ;   in Loop: Header=BB2_1409 Depth=2
	v_bfe_u32 v0, v3, 23, 8
	v_sub_u32_e32 v3, 0x79, v0
	v_cmp_gt_u32_e32 vcc, s77, v0
	v_add_u32_e32 v2, 0xffffff81, v0
	v_cndmask_b32_e32 v3, 0, v3, vcc
	v_cmp_eq_u32_e32 vcc, 0, v0
	v_mov_b32_e32 v0, 0xffffff82
	v_cndmask_b32_e32 v0, v2, v0, vcc
	v_mov_b32_e32 v2, 0x78
	v_or_b32_e32 v11, 0x800000, v54
	v_cndmask_b32_e32 v14, v3, v2, vcc
	v_cndmask_b32_e32 v54, v11, v54, vcc
	v_add_u32_e32 v2, 20, v14
	v_lshlrev_b64 v[2:3], v2, -1
	v_add_u32_e32 v11, 19, v14
	v_lshrrev_b64 v[40:41], v14, v[54:55]
	v_not_b32_e32 v3, v3
	v_not_b32_e32 v2, v2
	v_lshlrev_b64 v[38:39], v11, 1
	v_lshrrev_b32_e32 v11, 23, v40
	v_and_b32_e32 v3, 0, v3
	v_and_b32_e32 v2, v54, v2
	v_add3_u32 v48, v14, v0, v11
	v_bfe_u32 v0, v40, 20, 1
	v_add_u32_e32 v0, -1, v0
	v_cmp_eq_u64_e32 vcc, v[2:3], v[38:39]
	v_cndmask_b32_e32 v0, 0, v0, vcc
	v_add_u32_e32 v0, v0, v40
	v_and_b32_e32 v0, 0xfffff, v0
	v_add_co_u32_e32 v2, vcc, v0, v40
	v_add_u32_e32 v14, 6, v48
	v_addc_co_u32_e32 v3, vcc, 0, v41, vcc
	v_cmp_ne_u32_e32 vcc, 0, v14
                                        ; implicit-def: $vgpr11
	s_and_saveexec_b64 s[24:25], vcc
	s_xor_b64 s[24:25], exec, s[24:25]
; %bb.1961:                             ;   in Loop: Header=BB2_1409 Depth=2
	v_add_u32_e32 v0, 7, v48
	v_cmp_lt_u64_e32 vcc, s[50:51], v[2:3]
	v_cndmask_b32_e32 v11, v14, v0, vcc
	v_cndmask_b32_e64 v0, 0, 1, vcc
	v_lshrrev_b64 v[2:3], v0, v[2:3]
; %bb.1962:                             ;   in Loop: Header=BB2_1409 Depth=2
	s_andn2_saveexec_b64 s[24:25], s[24:25]
; %bb.1963:                             ;   in Loop: Header=BB2_1409 Depth=2
	v_bfe_u32 v11, v2, 23, 1
; %bb.1964:                             ;   in Loop: Header=BB2_1409 Depth=2
	s_or_b64 exec, exec, s[24:25]
	v_lshrrev_b64 v[2:3], 20, v[2:3]
	v_cmp_gt_i32_e32 vcc, 16, v11
	v_cndmask_b32_e32 v3, 0, v3, vcc
	v_cndmask_b32_e32 v2, 7, v2, vcc
	v_min_i32_e32 v0, 15, v11
	v_cmp_eq_u32_e32 vcc, 0, v11
	v_cmp_eq_u64_e64 s[24:25], 0, v[2:3]
	v_lshlrev_b32_e32 v0, 3, v0
	v_and_or_b32 v0, v2, 7, v0
	s_and_b64 s[24:25], vcc, s[24:25]
	v_cndmask_b32_e64 v0, v0, 0, s[24:25]
	v_accvgpr_read_b32 v41, a5
	v_or_b32_e32 v11, v0, v10
	v_accvgpr_read_b32 v40, a4
.LBB2_1965:                             ;   in Loop: Header=BB2_1409 Depth=2
	s_or_b64 exec, exec, s[66:67]
.LBB2_1966:                             ;   in Loop: Header=BB2_1409 Depth=2
	s_or_b64 exec, exec, s[64:65]
                                        ; implicit-def: $vgpr3
.LBB2_1967:                             ;   in Loop: Header=BB2_1409 Depth=2
	s_andn2_saveexec_b64 s[24:25], s[62:63]
; %bb.1968:                             ;   in Loop: Header=BB2_1409 Depth=2
	v_or_b32_sdwa v0, v3, s75 dst_sel:DWORD dst_unused:UNUSED_PAD src0_sel:BYTE_3 src1_sel:DWORD
	v_cmp_eq_u64_e32 vcc, 0, v[54:55]
	v_cndmask_b32_e32 v11, v0, v11, vcc
; %bb.1969:                             ;   in Loop: Header=BB2_1409 Depth=2
	s_or_b64 exec, exec, s[24:25]
	v_lshrrev_b32_e32 v10, 16, v17
	v_lshrrev_b32_e32 v2, 16, v13
	v_cmp_ne_u16_sdwa s[24:25], v10, v55 src0_sel:BYTE_0 src1_sel:DWORD
	s_and_b64 vcc, exec, s[60:61]
	s_cbranch_vccz .LBB2_1983
; %bb.1970:                             ;   in Loop: Header=BB2_1409 Depth=2
	v_mov_b32_e32 v14, 0
	v_mov_b32_e32 v3, 0
	s_and_saveexec_b64 s[62:63], s[24:25]
	s_cbranch_execz .LBB2_1976
; %bb.1971:                             ;   in Loop: Header=BB2_1409 Depth=2
	v_cmp_ne_u16_sdwa vcc, v10, s74 src0_sel:BYTE_0 src1_sel:DWORD
	v_bfrev_b32_e32 v3, 1
	s_and_saveexec_b64 s[64:65], vcc
	s_cbranch_execz .LBB2_1975
; %bb.1972:                             ;   in Loop: Header=BB2_1409 Depth=2
	v_bfe_u32 v48, v17, 16, 7
	v_cmp_ne_u32_e32 vcc, s75, v48
	v_mov_b32_e32 v3, 0x7f800001
	s_and_saveexec_b64 s[66:67], vcc
	s_cbranch_execz .LBB2_1974
; %bb.1973:                             ;   in Loop: Header=BB2_1409 Depth=2
	v_and_b32_e32 v0, 7, v10
	v_ffbh_u32_e32 v38, v0
	v_min_u32_e32 v49, 32, v38
	v_subrev_u32_e32 v38, 28, v49
	v_lshlrev_b64 v[38:39], v38, v[10:11]
	v_lshrrev_b32_e32 v3, 3, v48
	v_sub_u32_e32 v39, 29, v49
	v_and_b32_e32 v38, 7, v38
	v_cmp_gt_u32_e32 vcc, 8, v48
	v_cndmask_b32_e32 v3, v3, v39, vcc
	v_cndmask_b32_e32 v0, v0, v38, vcc
	v_lshlrev_b32_e32 v38, 24, v10
	v_bfrev_b32_e32 v39, 60
	v_lshlrev_b32_e32 v0, 20, v0
	v_and_b32_e32 v38, 0x80000000, v38
	v_lshl_add_u32 v3, v3, 23, v39
	v_or3_b32 v3, v38, v3, v0
.LBB2_1974:                             ;   in Loop: Header=BB2_1409 Depth=2
	s_or_b64 exec, exec, s[66:67]
.LBB2_1975:                             ;   in Loop: Header=BB2_1409 Depth=2
	s_or_b64 exec, exec, s[64:65]
.LBB2_1976:                             ;   in Loop: Header=BB2_1409 Depth=2
	s_or_b64 exec, exec, s[62:63]
	v_cmp_ne_u16_sdwa vcc, v2, v55 src0_sel:BYTE_0 src1_sel:DWORD
	s_and_saveexec_b64 s[62:63], vcc
	s_cbranch_execz .LBB2_1982
; %bb.1977:                             ;   in Loop: Header=BB2_1409 Depth=2
	v_cmp_ne_u16_sdwa vcc, v2, s74 src0_sel:BYTE_0 src1_sel:DWORD
	v_bfrev_b32_e32 v14, 1
	s_and_saveexec_b64 s[64:65], vcc
	s_cbranch_execz .LBB2_1981
; %bb.1978:                             ;   in Loop: Header=BB2_1409 Depth=2
	v_bfe_u32 v48, v13, 16, 7
	v_cmp_ne_u32_e32 vcc, s75, v48
	v_mov_b32_e32 v14, 0x7f800001
	s_and_saveexec_b64 s[66:67], vcc
	s_cbranch_execz .LBB2_1980
; %bb.1979:                             ;   in Loop: Header=BB2_1409 Depth=2
	v_and_b32_e32 v0, 7, v2
	v_ffbh_u32_e32 v38, v0
	v_min_u32_e32 v49, 32, v38
	v_subrev_u32_e32 v38, 28, v49
	v_lshlrev_b64 v[38:39], v38, v[2:3]
	v_lshrrev_b32_e32 v14, 3, v48
	v_sub_u32_e32 v39, 29, v49
	v_and_b32_e32 v38, 7, v38
	v_cmp_gt_u32_e32 vcc, 8, v48
	v_cndmask_b32_e32 v14, v14, v39, vcc
	v_cndmask_b32_e32 v0, v0, v38, vcc
	v_lshlrev_b32_e32 v38, 24, v2
	v_bfrev_b32_e32 v39, 60
	v_lshlrev_b32_e32 v0, 20, v0
	v_and_b32_e32 v38, 0x80000000, v38
	v_lshl_add_u32 v14, v14, 23, v39
	v_or3_b32 v14, v38, v14, v0
.LBB2_1980:                             ;   in Loop: Header=BB2_1409 Depth=2
	s_or_b64 exec, exec, s[66:67]
.LBB2_1981:                             ;   in Loop: Header=BB2_1409 Depth=2
	s_or_b64 exec, exec, s[64:65]
.LBB2_1982:                             ;   in Loop: Header=BB2_1409 Depth=2
	s_or_b64 exec, exec, s[62:63]
	v_max_f32_e32 v0, v14, v14
	v_max_f32_e32 v3, v3, v3
	;; [unrolled: 1-line block ×3, first 2 shown]
	s_branch .LBB2_1997
.LBB2_1983:                             ;   in Loop: Header=BB2_1409 Depth=2
                                        ; implicit-def: $vgpr3
	s_cbranch_execz .LBB2_1997
; %bb.1984:                             ;   in Loop: Header=BB2_1409 Depth=2
	v_mov_b32_e32 v14, 0
	v_mov_b32_e32 v3, 0
	s_and_saveexec_b64 s[62:63], s[24:25]
	s_cbranch_execz .LBB2_1990
; %bb.1985:                             ;   in Loop: Header=BB2_1409 Depth=2
	v_cmp_ne_u16_sdwa vcc, v10, s74 src0_sel:BYTE_0 src1_sel:DWORD
	v_bfrev_b32_e32 v3, 1
	s_and_saveexec_b64 s[24:25], vcc
	s_cbranch_execz .LBB2_1989
; %bb.1986:                             ;   in Loop: Header=BB2_1409 Depth=2
	v_bfe_u32 v48, v17, 16, 7
	v_cmp_ne_u32_e32 vcc, s75, v48
	v_mov_b32_e32 v3, 0x7f800001
	s_and_saveexec_b64 s[64:65], vcc
	s_cbranch_execz .LBB2_1988
; %bb.1987:                             ;   in Loop: Header=BB2_1409 Depth=2
	v_and_b32_e32 v0, 7, v10
	v_ffbh_u32_e32 v38, v0
	v_min_u32_e32 v49, 32, v38
	v_subrev_u32_e32 v38, 28, v49
	v_lshlrev_b64 v[38:39], v38, v[10:11]
	v_lshrrev_b32_e32 v3, 3, v48
	v_sub_u32_e32 v39, 29, v49
	v_and_b32_e32 v38, 7, v38
	v_cmp_gt_u32_e32 vcc, 8, v48
	v_cndmask_b32_e32 v3, v3, v39, vcc
	v_cndmask_b32_e32 v0, v0, v38, vcc
	v_lshlrev_b32_e32 v10, 24, v10
	v_bfrev_b32_e32 v38, 60
	v_lshlrev_b32_e32 v0, 20, v0
	v_and_b32_e32 v10, 0x80000000, v10
	v_lshl_add_u32 v3, v3, 23, v38
	v_or3_b32 v3, v10, v3, v0
.LBB2_1988:                             ;   in Loop: Header=BB2_1409 Depth=2
	s_or_b64 exec, exec, s[64:65]
.LBB2_1989:                             ;   in Loop: Header=BB2_1409 Depth=2
	s_or_b64 exec, exec, s[24:25]
.LBB2_1990:                             ;   in Loop: Header=BB2_1409 Depth=2
	s_or_b64 exec, exec, s[62:63]
	v_cmp_ne_u16_sdwa vcc, v2, v55 src0_sel:BYTE_0 src1_sel:DWORD
	s_and_saveexec_b64 s[24:25], vcc
	s_cbranch_execz .LBB2_1996
; %bb.1991:                             ;   in Loop: Header=BB2_1409 Depth=2
	v_cmp_ne_u16_sdwa vcc, v2, s74 src0_sel:BYTE_0 src1_sel:DWORD
	v_bfrev_b32_e32 v14, 1
	s_and_saveexec_b64 s[62:63], vcc
	s_cbranch_execz .LBB2_1995
; %bb.1992:                             ;   in Loop: Header=BB2_1409 Depth=2
	v_bfe_u32 v10, v13, 16, 7
	v_cmp_ne_u32_e32 vcc, s75, v10
	v_mov_b32_e32 v14, 0x7f800001
	s_and_saveexec_b64 s[64:65], vcc
	s_cbranch_execz .LBB2_1994
; %bb.1993:                             ;   in Loop: Header=BB2_1409 Depth=2
	v_and_b32_e32 v0, 7, v2
	v_ffbh_u32_e32 v38, v0
	v_min_u32_e32 v48, 32, v38
	v_subrev_u32_e32 v38, 28, v48
	v_lshlrev_b64 v[38:39], v38, v[2:3]
	v_lshrrev_b32_e32 v14, 3, v10
	v_sub_u32_e32 v39, 29, v48
	v_and_b32_e32 v38, 7, v38
	v_cmp_gt_u32_e32 vcc, 8, v10
	v_cndmask_b32_e32 v10, v14, v39, vcc
	v_cndmask_b32_e32 v0, v0, v38, vcc
	v_lshlrev_b32_e32 v2, 24, v2
	v_bfrev_b32_e32 v14, 60
	v_lshlrev_b32_e32 v0, 20, v0
	v_and_b32_e32 v2, 0x80000000, v2
	v_lshl_add_u32 v10, v10, 23, v14
	v_or3_b32 v14, v2, v10, v0
.LBB2_1994:                             ;   in Loop: Header=BB2_1409 Depth=2
	s_or_b64 exec, exec, s[64:65]
.LBB2_1995:                             ;   in Loop: Header=BB2_1409 Depth=2
	s_or_b64 exec, exec, s[62:63]
.LBB2_1996:                             ;   in Loop: Header=BB2_1409 Depth=2
	s_or_b64 exec, exec, s[24:25]
	v_max_f32_e32 v0, v14, v14
	v_max_f32_e32 v2, v3, v3
	v_min_f32_e32 v3, v2, v0
.LBB2_1997:                             ;   in Loop: Header=BB2_1409 Depth=2
	v_and_b32_sdwa v10, v3, s74 dst_sel:DWORD dst_unused:UNUSED_PAD src0_sel:BYTE_3 src1_sel:DWORD
	v_and_b32_e32 v38, 0x7f800000, v3
	v_mov_b32_e32 v39, v55
	v_and_b32_e32 v54, 0x7fffff, v3
	v_or_b32_e32 v14, 0x7e, v10
	v_cmp_ne_u64_e32 vcc, s[44:45], v[38:39]
	s_and_saveexec_b64 s[24:25], vcc
	s_xor_b64 s[62:63], exec, s[24:25]
	s_cbranch_execz .LBB2_2007
; %bb.1998:                             ;   in Loop: Header=BB2_1409 Depth=2
	v_and_b32_e32 v38, 0x7fffffff, v3
	v_mov_b32_e32 v39, v55
	v_cmp_gt_u64_e32 vcc, s[46:47], v[38:39]
	s_and_saveexec_b64 s[64:65], vcc
	s_cbranch_execz .LBB2_2006
; %bb.1999:                             ;   in Loop: Header=BB2_1409 Depth=2
	v_cmp_ne_u32_e32 vcc, 0, v3
	v_mov_b32_e32 v14, 0
	s_and_saveexec_b64 s[66:67], vcc
	s_cbranch_execz .LBB2_2005
; %bb.2000:                             ;   in Loop: Header=BB2_1409 Depth=2
	v_bfe_u32 v0, v3, 23, 8
	v_sub_u32_e32 v3, 0x79, v0
	v_cmp_gt_u32_e32 vcc, s77, v0
	v_add_u32_e32 v2, 0xffffff81, v0
	v_cndmask_b32_e32 v3, 0, v3, vcc
	v_cmp_eq_u32_e32 vcc, 0, v0
	v_mov_b32_e32 v0, 0xffffff82
	v_cndmask_b32_e32 v0, v2, v0, vcc
	v_mov_b32_e32 v2, 0x78
	v_or_b32_e32 v14, 0x800000, v54
	v_cndmask_b32_e32 v48, v3, v2, vcc
	v_cndmask_b32_e32 v54, v14, v54, vcc
	v_add_u32_e32 v2, 20, v48
	v_lshlrev_b64 v[2:3], v2, -1
	v_add_u32_e32 v14, 19, v48
	v_lshrrev_b64 v[40:41], v48, v[54:55]
	v_not_b32_e32 v3, v3
	v_not_b32_e32 v2, v2
	v_lshlrev_b64 v[38:39], v14, 1
	v_lshrrev_b32_e32 v14, 23, v40
	v_and_b32_e32 v3, 0, v3
	v_and_b32_e32 v2, v54, v2
	v_add3_u32 v48, v48, v0, v14
	v_bfe_u32 v0, v40, 20, 1
	v_add_u32_e32 v0, -1, v0
	v_cmp_eq_u64_e32 vcc, v[2:3], v[38:39]
	v_cndmask_b32_e32 v0, 0, v0, vcc
	v_add_u32_e32 v0, v0, v40
	v_and_b32_e32 v0, 0xfffff, v0
	v_add_co_u32_e32 v2, vcc, v0, v40
	v_add_u32_e32 v53, 6, v48
	v_addc_co_u32_e32 v3, vcc, 0, v41, vcc
	v_cmp_ne_u32_e32 vcc, 0, v53
                                        ; implicit-def: $vgpr14
	s_and_saveexec_b64 s[24:25], vcc
	s_xor_b64 s[24:25], exec, s[24:25]
; %bb.2001:                             ;   in Loop: Header=BB2_1409 Depth=2
	v_add_u32_e32 v0, 7, v48
	v_cmp_lt_u64_e32 vcc, s[50:51], v[2:3]
	v_cndmask_b32_e32 v14, v53, v0, vcc
	v_cndmask_b32_e64 v0, 0, 1, vcc
	v_lshrrev_b64 v[2:3], v0, v[2:3]
; %bb.2002:                             ;   in Loop: Header=BB2_1409 Depth=2
	s_andn2_saveexec_b64 s[24:25], s[24:25]
; %bb.2003:                             ;   in Loop: Header=BB2_1409 Depth=2
	v_bfe_u32 v14, v2, 23, 1
; %bb.2004:                             ;   in Loop: Header=BB2_1409 Depth=2
	s_or_b64 exec, exec, s[24:25]
	v_lshrrev_b64 v[2:3], 20, v[2:3]
	v_cmp_gt_i32_e32 vcc, 16, v14
	v_min_i32_e32 v0, 15, v14
	v_cndmask_b32_e32 v3, 0, v3, vcc
	v_cndmask_b32_e32 v2, 7, v2, vcc
	v_lshlrev_b32_e32 v0, 3, v0
	v_cmp_eq_u32_e32 vcc, 0, v14
	v_cmp_eq_u64_e64 s[24:25], 0, v[2:3]
	v_and_b32_e32 v0, 0xf8, v0
	v_and_or_b32 v0, v2, 7, v0
	s_and_b64 s[24:25], vcc, s[24:25]
	v_cndmask_b32_e64 v0, v0, 0, s[24:25]
	v_accvgpr_read_b32 v41, a5
	v_or_b32_e32 v14, v0, v10
	v_accvgpr_read_b32 v40, a4
.LBB2_2005:                             ;   in Loop: Header=BB2_1409 Depth=2
	s_or_b64 exec, exec, s[66:67]
.LBB2_2006:                             ;   in Loop: Header=BB2_1409 Depth=2
	s_or_b64 exec, exec, s[64:65]
                                        ; implicit-def: $vgpr3
.LBB2_2007:                             ;   in Loop: Header=BB2_1409 Depth=2
	s_andn2_saveexec_b64 s[24:25], s[62:63]
; %bb.2008:                             ;   in Loop: Header=BB2_1409 Depth=2
	v_or_b32_sdwa v0, v3, s75 dst_sel:DWORD dst_unused:UNUSED_PAD src0_sel:BYTE_3 src1_sel:DWORD
	v_cmp_eq_u64_e32 vcc, 0, v[54:55]
	v_cndmask_b32_e32 v14, v0, v14, vcc
; %bb.2009:                             ;   in Loop: Header=BB2_1409 Depth=2
	s_or_b64 exec, exec, s[24:25]
	v_lshrrev_b32_e32 v10, 24, v17
	v_lshrrev_b32_e32 v2, 24, v13
	v_cmp_lt_u64_e64 s[24:25], s[48:49], v[16:17]
	s_and_b64 vcc, exec, s[60:61]
	s_cbranch_vccz .LBB2_2023
; %bb.2010:                             ;   in Loop: Header=BB2_1409 Depth=2
	v_mov_b32_e32 v16, 0
	v_mov_b32_e32 v3, 0
	s_and_saveexec_b64 s[62:63], s[24:25]
	s_cbranch_execz .LBB2_2016
; %bb.2011:                             ;   in Loop: Header=BB2_1409 Depth=2
	v_cmp_ne_u32_e32 vcc, s74, v10
	v_bfrev_b32_e32 v3, 1
	s_and_saveexec_b64 s[64:65], vcc
	s_cbranch_execz .LBB2_2015
; %bb.2012:                             ;   in Loop: Header=BB2_1409 Depth=2
	v_bfe_u32 v48, v17, 24, 7
	v_cmp_ne_u32_e32 vcc, s75, v48
	v_mov_b32_e32 v3, 0x7f800001
	s_and_saveexec_b64 s[66:67], vcc
	s_cbranch_execz .LBB2_2014
; %bb.2013:                             ;   in Loop: Header=BB2_1409 Depth=2
	v_and_b32_e32 v0, 7, v10
	v_ffbh_u32_e32 v38, v0
	v_min_u32_e32 v49, 32, v38
	v_subrev_u32_e32 v38, 28, v49
	v_lshlrev_b64 v[38:39], v38, v[10:11]
	v_lshrrev_b32_e32 v3, 3, v48
	v_sub_u32_e32 v39, 29, v49
	v_and_b32_e32 v38, 7, v38
	v_cmp_gt_u32_e32 vcc, 8, v48
	v_cndmask_b32_e32 v3, v3, v39, vcc
	v_cndmask_b32_e32 v0, v0, v38, vcc
	v_lshlrev_b32_e32 v38, 24, v10
	v_bfrev_b32_e32 v39, 60
	v_lshlrev_b32_e32 v0, 20, v0
	v_and_b32_e32 v38, 0x80000000, v38
	v_lshl_add_u32 v3, v3, 23, v39
	v_or3_b32 v3, v38, v3, v0
.LBB2_2014:                             ;   in Loop: Header=BB2_1409 Depth=2
	s_or_b64 exec, exec, s[66:67]
.LBB2_2015:                             ;   in Loop: Header=BB2_1409 Depth=2
	s_or_b64 exec, exec, s[64:65]
.LBB2_2016:                             ;   in Loop: Header=BB2_1409 Depth=2
	s_or_b64 exec, exec, s[62:63]
	v_cmp_lt_u64_e32 vcc, s[48:49], v[12:13]
	s_and_saveexec_b64 s[62:63], vcc
	s_cbranch_execz .LBB2_2022
; %bb.2017:                             ;   in Loop: Header=BB2_1409 Depth=2
	v_cmp_ne_u32_e32 vcc, s74, v2
	v_bfrev_b32_e32 v16, 1
	s_and_saveexec_b64 s[64:65], vcc
	s_cbranch_execz .LBB2_2021
; %bb.2018:                             ;   in Loop: Header=BB2_1409 Depth=2
	v_bfe_u32 v48, v13, 24, 7
	v_cmp_ne_u32_e32 vcc, s75, v48
	v_mov_b32_e32 v16, 0x7f800001
	s_and_saveexec_b64 s[66:67], vcc
	s_cbranch_execz .LBB2_2020
; %bb.2019:                             ;   in Loop: Header=BB2_1409 Depth=2
	v_and_b32_e32 v0, 7, v2
	v_ffbh_u32_e32 v38, v0
	v_min_u32_e32 v49, 32, v38
	v_subrev_u32_e32 v38, 28, v49
	v_lshlrev_b64 v[38:39], v38, v[2:3]
	v_lshrrev_b32_e32 v16, 3, v48
	v_sub_u32_e32 v39, 29, v49
	v_and_b32_e32 v38, 7, v38
	v_cmp_gt_u32_e32 vcc, 8, v48
	v_cndmask_b32_e32 v16, v16, v39, vcc
	v_cndmask_b32_e32 v0, v0, v38, vcc
	v_lshlrev_b32_e32 v38, 24, v2
	v_bfrev_b32_e32 v39, 60
	v_lshlrev_b32_e32 v0, 20, v0
	v_and_b32_e32 v38, 0x80000000, v38
	v_lshl_add_u32 v16, v16, 23, v39
	v_or3_b32 v16, v38, v16, v0
.LBB2_2020:                             ;   in Loop: Header=BB2_1409 Depth=2
	s_or_b64 exec, exec, s[66:67]
.LBB2_2021:                             ;   in Loop: Header=BB2_1409 Depth=2
	s_or_b64 exec, exec, s[64:65]
.LBB2_2022:                             ;   in Loop: Header=BB2_1409 Depth=2
	s_or_b64 exec, exec, s[62:63]
	v_max_f32_e32 v0, v16, v16
	v_max_f32_e32 v3, v3, v3
	;; [unrolled: 1-line block ×3, first 2 shown]
	s_branch .LBB2_2037
.LBB2_2023:                             ;   in Loop: Header=BB2_1409 Depth=2
                                        ; implicit-def: $vgpr3
	s_cbranch_execz .LBB2_2037
; %bb.2024:                             ;   in Loop: Header=BB2_1409 Depth=2
	v_mov_b32_e32 v16, 0
	v_mov_b32_e32 v3, 0
	s_and_saveexec_b64 s[62:63], s[24:25]
	s_cbranch_execz .LBB2_2030
; %bb.2025:                             ;   in Loop: Header=BB2_1409 Depth=2
	v_cmp_ne_u32_e32 vcc, s74, v10
	v_bfrev_b32_e32 v3, 1
	s_and_saveexec_b64 s[24:25], vcc
	s_cbranch_execz .LBB2_2029
; %bb.2026:                             ;   in Loop: Header=BB2_1409 Depth=2
	v_bfe_u32 v17, v17, 24, 7
	v_cmp_ne_u32_e32 vcc, s75, v17
	v_mov_b32_e32 v3, 0x7f800001
	s_and_saveexec_b64 s[64:65], vcc
	s_cbranch_execz .LBB2_2028
; %bb.2027:                             ;   in Loop: Header=BB2_1409 Depth=2
	v_and_b32_e32 v0, 7, v10
	v_ffbh_u32_e32 v38, v0
	v_min_u32_e32 v48, 32, v38
	v_subrev_u32_e32 v38, 28, v48
	v_lshlrev_b64 v[38:39], v38, v[10:11]
	v_lshrrev_b32_e32 v3, 3, v17
	v_sub_u32_e32 v39, 29, v48
	v_and_b32_e32 v38, 7, v38
	v_cmp_gt_u32_e32 vcc, 8, v17
	v_cndmask_b32_e32 v3, v3, v39, vcc
	v_cndmask_b32_e32 v0, v0, v38, vcc
	v_lshlrev_b32_e32 v10, 24, v10
	v_bfrev_b32_e32 v17, 60
	v_lshlrev_b32_e32 v0, 20, v0
	v_and_b32_e32 v10, 0x80000000, v10
	v_lshl_add_u32 v3, v3, 23, v17
	v_or3_b32 v3, v10, v3, v0
.LBB2_2028:                             ;   in Loop: Header=BB2_1409 Depth=2
	s_or_b64 exec, exec, s[64:65]
.LBB2_2029:                             ;   in Loop: Header=BB2_1409 Depth=2
	s_or_b64 exec, exec, s[24:25]
.LBB2_2030:                             ;   in Loop: Header=BB2_1409 Depth=2
	s_or_b64 exec, exec, s[62:63]
	v_cmp_lt_u64_e32 vcc, s[48:49], v[12:13]
	s_and_saveexec_b64 s[24:25], vcc
	s_cbranch_execz .LBB2_2036
; %bb.2031:                             ;   in Loop: Header=BB2_1409 Depth=2
	v_cmp_ne_u32_e32 vcc, s74, v2
	v_bfrev_b32_e32 v16, 1
	s_and_saveexec_b64 s[62:63], vcc
	s_cbranch_execz .LBB2_2035
; %bb.2032:                             ;   in Loop: Header=BB2_1409 Depth=2
	v_bfe_u32 v10, v13, 24, 7
	v_cmp_ne_u32_e32 vcc, s75, v10
	v_mov_b32_e32 v16, 0x7f800001
	s_and_saveexec_b64 s[64:65], vcc
	s_cbranch_execz .LBB2_2034
; %bb.2033:                             ;   in Loop: Header=BB2_1409 Depth=2
	v_and_b32_e32 v0, 7, v2
	v_ffbh_u32_e32 v12, v0
	v_min_u32_e32 v17, 32, v12
	v_subrev_u32_e32 v12, 28, v17
	v_lshlrev_b64 v[12:13], v12, v[2:3]
	v_lshrrev_b32_e32 v16, 3, v10
	v_sub_u32_e32 v13, 29, v17
	v_and_b32_e32 v12, 7, v12
	v_cmp_gt_u32_e32 vcc, 8, v10
	v_cndmask_b32_e32 v10, v16, v13, vcc
	v_cndmask_b32_e32 v0, v0, v12, vcc
	v_lshlrev_b32_e32 v2, 24, v2
	v_bfrev_b32_e32 v12, 60
	v_lshlrev_b32_e32 v0, 20, v0
	v_and_b32_e32 v2, 0x80000000, v2
	v_lshl_add_u32 v10, v10, 23, v12
	v_or3_b32 v16, v2, v10, v0
.LBB2_2034:                             ;   in Loop: Header=BB2_1409 Depth=2
	s_or_b64 exec, exec, s[64:65]
.LBB2_2035:                             ;   in Loop: Header=BB2_1409 Depth=2
	s_or_b64 exec, exec, s[62:63]
.LBB2_2036:                             ;   in Loop: Header=BB2_1409 Depth=2
	s_or_b64 exec, exec, s[24:25]
	v_max_f32_e32 v0, v16, v16
	v_max_f32_e32 v2, v3, v3
	v_min_f32_e32 v3, v2, v0
.LBB2_2037:                             ;   in Loop: Header=BB2_1409 Depth=2
	v_and_b32_sdwa v10, v3, s74 dst_sel:DWORD dst_unused:UNUSED_PAD src0_sel:BYTE_3 src1_sel:DWORD
	v_and_b32_e32 v12, 0x7f800000, v3
	v_mov_b32_e32 v13, v55
	v_and_b32_e32 v54, 0x7fffff, v3
	v_or_b32_e32 v2, 0x7e, v10
	v_cmp_ne_u64_e32 vcc, s[44:45], v[12:13]
	s_and_saveexec_b64 s[24:25], vcc
	s_xor_b64 s[62:63], exec, s[24:25]
	s_cbranch_execz .LBB2_2047
; %bb.2038:                             ;   in Loop: Header=BB2_1409 Depth=2
	v_and_b32_e32 v12, 0x7fffffff, v3
	v_mov_b32_e32 v13, v55
	v_cmp_gt_u64_e32 vcc, s[46:47], v[12:13]
	s_and_saveexec_b64 s[64:65], vcc
	s_cbranch_execz .LBB2_2046
; %bb.2039:                             ;   in Loop: Header=BB2_1409 Depth=2
	v_cmp_ne_u32_e32 vcc, 0, v3
	v_mov_b32_e32 v2, 0
	s_and_saveexec_b64 s[66:67], vcc
	s_cbranch_execz .LBB2_2045
; %bb.2040:                             ;   in Loop: Header=BB2_1409 Depth=2
	v_bfe_u32 v0, v3, 23, 8
	v_sub_u32_e32 v3, 0x79, v0
	v_cmp_gt_u32_e32 vcc, s77, v0
	v_add_u32_e32 v2, 0xffffff81, v0
	v_cndmask_b32_e32 v3, 0, v3, vcc
	v_cmp_eq_u32_e32 vcc, 0, v0
	v_mov_b32_e32 v0, 0xffffff82
	v_cndmask_b32_e32 v0, v2, v0, vcc
	v_mov_b32_e32 v2, 0x78
	v_or_b32_e32 v12, 0x800000, v54
	v_cndmask_b32_e32 v13, v3, v2, vcc
	v_cndmask_b32_e32 v54, v12, v54, vcc
	v_add_u32_e32 v2, 20, v13
	v_lshlrev_b64 v[2:3], v2, -1
	v_add_u32_e32 v12, 19, v13
	v_lshrrev_b64 v[48:49], v13, v[54:55]
	v_not_b32_e32 v3, v3
	v_not_b32_e32 v2, v2
	v_lshlrev_b64 v[38:39], v12, 1
	v_lshrrev_b32_e32 v12, 23, v48
	v_and_b32_e32 v3, 0, v3
	v_and_b32_e32 v2, v54, v2
	v_add3_u32 v16, v13, v0, v12
	v_bfe_u32 v0, v48, 20, 1
	v_add_u32_e32 v0, -1, v0
	v_cmp_eq_u64_e32 vcc, v[2:3], v[38:39]
	v_cndmask_b32_e32 v0, 0, v0, vcc
	v_add_u32_e32 v0, v0, v48
	v_and_b32_e32 v0, 0xfffff, v0
	v_add_co_u32_e32 v2, vcc, v0, v48
	v_add_u32_e32 v13, 6, v16
	v_addc_co_u32_e32 v3, vcc, 0, v49, vcc
	v_cmp_ne_u32_e32 vcc, 0, v13
                                        ; implicit-def: $vgpr12
	s_and_saveexec_b64 s[24:25], vcc
	s_xor_b64 s[24:25], exec, s[24:25]
; %bb.2041:                             ;   in Loop: Header=BB2_1409 Depth=2
	v_add_u32_e32 v0, 7, v16
	v_cmp_lt_u64_e32 vcc, s[50:51], v[2:3]
	v_cndmask_b32_e32 v12, v13, v0, vcc
	v_cndmask_b32_e64 v0, 0, 1, vcc
	v_lshrrev_b64 v[2:3], v0, v[2:3]
; %bb.2042:                             ;   in Loop: Header=BB2_1409 Depth=2
	s_andn2_saveexec_b64 s[24:25], s[24:25]
; %bb.2043:                             ;   in Loop: Header=BB2_1409 Depth=2
	v_bfe_u32 v12, v2, 23, 1
; %bb.2044:                             ;   in Loop: Header=BB2_1409 Depth=2
	s_or_b64 exec, exec, s[24:25]
	v_lshrrev_b64 v[2:3], 20, v[2:3]
	v_cmp_gt_i32_e32 vcc, 16, v12
	v_min_i32_e32 v0, 15, v12
	v_cndmask_b32_e32 v3, 0, v3, vcc
	v_cndmask_b32_e32 v2, 7, v2, vcc
	v_lshlrev_b32_e32 v0, 3, v0
	v_cmp_eq_u32_e32 vcc, 0, v12
	v_cmp_eq_u64_e64 s[24:25], 0, v[2:3]
	v_and_b32_e32 v0, 0xf8, v0
	v_and_or_b32 v0, v2, 7, v0
	s_and_b64 s[24:25], vcc, s[24:25]
	v_cndmask_b32_e64 v0, v0, 0, s[24:25]
	v_or_b32_e32 v2, v0, v10
.LBB2_2045:                             ;   in Loop: Header=BB2_1409 Depth=2
	s_or_b64 exec, exec, s[66:67]
.LBB2_2046:                             ;   in Loop: Header=BB2_1409 Depth=2
	s_or_b64 exec, exec, s[64:65]
                                        ; implicit-def: $vgpr3
.LBB2_2047:                             ;   in Loop: Header=BB2_1409 Depth=2
	s_andn2_saveexec_b64 s[24:25], s[62:63]
	s_cbranch_execz .LBB2_1408
; %bb.2048:                             ;   in Loop: Header=BB2_1409 Depth=2
	v_or_b32_sdwa v0, v3, s75 dst_sel:DWORD dst_unused:UNUSED_PAD src0_sel:BYTE_3 src1_sel:DWORD
	v_cmp_eq_u64_e32 vcc, 0, v[54:55]
	v_cndmask_b32_e32 v2, v0, v2, vcc
	s_branch .LBB2_1408
.LBB2_2049:                             ;   in Loop: Header=BB2_49 Depth=1
	s_or_b64 exec, exec, s[58:59]
.LBB2_2050:                             ;   in Loop: Header=BB2_49 Depth=1
	s_or_b64 exec, exec, s[56:57]
	v_accvgpr_read_b32 v0, a37
	v_and_b32_e32 v3, 15, v0
	v_cndmask_b32_e64 v18, v31, v3, s[22:23]
	s_mov_b64 s[24:25], 0
	v_mov_b32_e32 v17, 0
	v_cmp_ne_u32_e32 vcc, 0, v18
                                        ; implicit-def: $vgpr19
                                        ; implicit-def: $vgpr2
	s_mov_b64 s[56:57], exec
	v_accvgpr_read_b32 v35, a11
	s_and_b64 vcc, s[56:57], vcc
	v_accvgpr_read_b32 v34, a10
	s_mov_b64 exec, vcc
	s_cbranch_execz .LBB2_2052
; %bb.2051:                             ;   in Loop: Header=BB2_49 Depth=1
	v_sub_u32_e32 v2, v31, v3
	v_and_b32_e32 v0, 0x3ffffc00, v0
	v_cndmask_b32_e64 v2, 0, v2, s[22:23]
	v_cmp_lt_i32_e32 vcc, 0, v30
	v_add_u32_e32 v17, v2, v0
	v_cndmask_b32_e32 v0, 0, v60, vcc
	v_sub_u32_e32 v0, v0, v30
	v_lshl_add_u32 v19, v0, 6, v1
	v_ashrrev_i32_e32 v0, 31, v19
	v_lshrrev_b32_e32 v0, 26, v0
	v_add_u32_e32 v0, v19, v0
	s_mov_b64 s[24:25], exec
	v_ashrrev_i32_e32 v2, 6, v0
.LBB2_2052:                             ;   in Loop: Header=BB2_49 Depth=1
	s_or_b64 exec, exec, s[56:57]
	s_and_b64 s[22:23], s[24:25], exec
.LBB2_2053:                             ;   in Loop: Header=BB2_49 Depth=1
	s_or_b64 exec, exec, s[26:27]
	v_accvgpr_read_b32 v38, a29
	v_accvgpr_read_b32 v39, a32
	;; [unrolled: 1-line block ×3, first 2 shown]
	v_mov_b32_e32 v49, 1
	v_accvgpr_read_b32 v50, a37
	s_and_saveexec_b64 s[56:57], s[22:23]
	s_cbranch_execz .LBB2_2282
.LBB2_2054:                             ;   in Loop: Header=BB2_49 Depth=1
	v_ashrrev_i32_e32 v0, 31, v18
	v_add_u32_sdwa v0, v18, v0 dst_sel:DWORD dst_unused:UNUSED_PAD src0_sel:DWORD src1_sel:BYTE_3
	v_ashrrev_i32_e32 v21, 8, v0
	v_sub_u32_e32 v1, v21, v2
	v_ashrrev_i32_e32 v0, 31, v19
	v_cmp_lt_i32_e32 vcc, 0, v1
	v_lshrrev_b32_e32 v20, 26, v0
	s_and_saveexec_b64 s[26:27], vcc
	s_cbranch_execz .LBB2_2234
; %bb.2055:                             ;   in Loop: Header=BB2_49 Depth=1
	v_add_u32_e32 v0, v19, v20
	v_and_b32_e32 v0, 0xffffffc0, v0
	v_sub_u32_e32 v0, v19, v0
	s_trap 2
	v_lshlrev_b32_e32 v10, 8, v2
	ds_read_b128 v[2:5], v0
	v_add3_u32 v0, v17, v0, v10
	ds_read_b64 v[14:15], v0
	v_ashrrev_i32_e32 v16, 31, v0
	s_bitcmp1_b32 s68, 0
	s_waitcnt lgkmcnt(0)
	v_add_co_u32_e32 v10, vcc, v2, v0
	v_addc_co_u32_e32 v11, vcc, v3, v16, vcc
	v_add_co_u32_e32 v12, vcc, v4, v0
	v_addc_co_u32_e32 v13, vcc, v5, v16, vcc
	;; [unrolled: 2-line block ×3, first 2 shown]
	s_mov_b64 s[58:59], 0
	s_cselect_b64 s[60:61], -1, 0
	s_branch .LBB2_2057
.LBB2_2056:                             ;   in Loop: Header=BB2_2057 Depth=2
	s_or_b64 exec, exec, s[22:23]
	v_add_co_u32_e32 v10, vcc, v10, v39
	v_addc_co_u32_e32 v11, vcc, v11, v48, vcc
	v_add_co_u32_e32 v12, vcc, v12, v39
	v_addc_co_u32_e32 v13, vcc, v13, v48, vcc
	v_sub_u32_e32 v1, v1, v60
	v_cmp_gt_i32_e32 vcc, 1, v1
	flat_store_byte v[14:15], v22 glc slc
	flat_store_byte v[14:15], v25 offset:64 glc slc
	flat_store_byte v[14:15], v23 offset:128 glc slc
	;; [unrolled: 1-line block ×3, first 2 shown]
	s_or_b64 s[58:59], vcc, s[58:59]
	v_add_co_u32_e32 v14, vcc, v14, v39
	v_addc_co_u32_e32 v15, vcc, v15, v48, vcc
	s_andn2_b64 exec, exec, s[58:59]
	s_cbranch_execz .LBB2_2233
.LBB2_2057:                             ;   Parent Loop BB2_49 Depth=1
                                        ; =>  This Inner Loop Header: Depth=2
	flat_load_ubyte v16, v[10:11] glc slc
	flat_load_ubyte v26, v[10:11] offset:64 glc slc
	flat_load_ubyte v24, v[10:11] offset:128 glc slc
	;; [unrolled: 1-line block ×3, first 2 shown]
	flat_load_ubyte v3, v[12:13] glc slc
	flat_load_ubyte v25, v[12:13] offset:64 glc slc
	flat_load_ubyte v23, v[12:13] offset:128 glc slc
	;; [unrolled: 1-line block ×3, first 2 shown]
	s_and_b64 vcc, exec, s[60:61]
	s_waitcnt vmcnt(0) lgkmcnt(0)
	v_cmp_ne_u16_e64 s[22:23], 0, v16
	s_cbranch_vccz .LBB2_2071
; %bb.2058:                             ;   in Loop: Header=BB2_2057 Depth=2
	v_mov_b32_e32 v22, 0
	v_mov_b32_e32 v27, 0
	s_and_saveexec_b64 s[24:25], s[22:23]
	s_cbranch_execz .LBB2_2064
; %bb.2059:                             ;   in Loop: Header=BB2_2057 Depth=2
	v_cmp_ne_u16_e32 vcc, s74, v16
	v_bfrev_b32_e32 v27, 1
	s_and_saveexec_b64 s[62:63], vcc
	s_cbranch_execz .LBB2_2063
; %bb.2060:                             ;   in Loop: Header=BB2_2057 Depth=2
	v_and_b32_e32 v2, 0xffff, v16
	v_and_b32_e32 v28, 0x7f, v2
	v_cmp_ne_u32_e32 vcc, s75, v28
	v_mov_b32_e32 v27, 0x7f800001
	s_and_saveexec_b64 s[64:65], vcc
	s_cbranch_execz .LBB2_2062
; %bb.2061:                             ;   in Loop: Header=BB2_2057 Depth=2
	v_and_b32_e32 v0, 7, v2
	v_ffbh_u32_e32 v29, v0
	v_min_u32_e32 v29, 32, v29
	v_subrev_u32_e32 v30, 28, v29
	v_lshlrev_b64 v[30:31], v30, v[2:3]
	v_lshrrev_b32_e32 v27, 3, v28
	v_sub_u32_e32 v2, 29, v29
	v_and_b32_e32 v29, 7, v30
	v_cmp_gt_u32_e32 vcc, 8, v28
	v_cndmask_b32_e32 v2, v27, v2, vcc
	v_cndmask_b32_e32 v0, v0, v29, vcc
	v_lshlrev_b32_e32 v27, 24, v16
	v_bfrev_b32_e32 v28, 60
	v_lshlrev_b32_e32 v0, 20, v0
	v_and_b32_e32 v27, 0x80000000, v27
	v_lshl_add_u32 v2, v2, 23, v28
	v_or3_b32 v27, v27, v2, v0
.LBB2_2062:                             ;   in Loop: Header=BB2_2057 Depth=2
	s_or_b64 exec, exec, s[64:65]
.LBB2_2063:                             ;   in Loop: Header=BB2_2057 Depth=2
	s_or_b64 exec, exec, s[62:63]
.LBB2_2064:                             ;   in Loop: Header=BB2_2057 Depth=2
	s_or_b64 exec, exec, s[24:25]
	v_and_b32_e32 v2, 0xff, v3
	v_cmp_ne_u16_e32 vcc, 0, v2
	s_and_saveexec_b64 s[24:25], vcc
	s_cbranch_execz .LBB2_2070
; %bb.2065:                             ;   in Loop: Header=BB2_2057 Depth=2
	v_cmp_ne_u16_e32 vcc, s74, v2
	v_bfrev_b32_e32 v22, 1
	s_and_saveexec_b64 s[62:63], vcc
	s_cbranch_execz .LBB2_2069
; %bb.2066:                             ;   in Loop: Header=BB2_2057 Depth=2
	v_and_b32_e32 v28, 0x7f, v3
	v_cmp_ne_u32_e32 vcc, s75, v28
	v_mov_b32_e32 v22, 0x7f800001
	s_and_saveexec_b64 s[64:65], vcc
	s_cbranch_execz .LBB2_2068
; %bb.2067:                             ;   in Loop: Header=BB2_2057 Depth=2
	v_and_b32_e32 v0, 7, v2
	v_ffbh_u32_e32 v29, v0
	v_min_u32_e32 v29, 32, v29
	v_subrev_u32_e32 v30, 28, v29
	v_lshlrev_b64 v[30:31], v30, v[2:3]
	v_lshrrev_b32_e32 v22, 3, v28
	v_sub_u32_e32 v2, 29, v29
	v_and_b32_e32 v29, 7, v30
	v_cmp_gt_u32_e32 vcc, 8, v28
	v_cndmask_b32_e32 v2, v22, v2, vcc
	v_cndmask_b32_e32 v0, v0, v29, vcc
	v_lshlrev_b32_e32 v22, 24, v3
	v_bfrev_b32_e32 v28, 60
	v_lshlrev_b32_e32 v0, 20, v0
	v_and_b32_e32 v22, 0x80000000, v22
	v_lshl_add_u32 v2, v2, 23, v28
	v_or3_b32 v22, v22, v2, v0
.LBB2_2068:                             ;   in Loop: Header=BB2_2057 Depth=2
	s_or_b64 exec, exec, s[64:65]
.LBB2_2069:                             ;   in Loop: Header=BB2_2057 Depth=2
	s_or_b64 exec, exec, s[62:63]
.LBB2_2070:                             ;   in Loop: Header=BB2_2057 Depth=2
	s_or_b64 exec, exec, s[24:25]
	v_max_f32_e32 v0, v22, v22
	v_max_f32_e32 v2, v27, v27
	;; [unrolled: 1-line block ×3, first 2 shown]
	s_branch .LBB2_2085
.LBB2_2071:                             ;   in Loop: Header=BB2_2057 Depth=2
                                        ; implicit-def: $vgpr2
	s_cbranch_execz .LBB2_2085
; %bb.2072:                             ;   in Loop: Header=BB2_2057 Depth=2
	v_mov_b32_e32 v22, 0
	v_mov_b32_e32 v27, 0
	s_and_saveexec_b64 s[24:25], s[22:23]
	s_cbranch_execz .LBB2_2078
; %bb.2073:                             ;   in Loop: Header=BB2_2057 Depth=2
	v_cmp_ne_u16_e32 vcc, s74, v16
	v_bfrev_b32_e32 v27, 1
	s_and_saveexec_b64 s[22:23], vcc
	s_cbranch_execz .LBB2_2077
; %bb.2074:                             ;   in Loop: Header=BB2_2057 Depth=2
	v_and_b32_e32 v2, 0xffff, v16
	v_and_b32_e32 v28, 0x7f, v2
	v_cmp_ne_u32_e32 vcc, s75, v28
	v_mov_b32_e32 v27, 0x7f800001
	s_and_saveexec_b64 s[62:63], vcc
	s_cbranch_execz .LBB2_2076
; %bb.2075:                             ;   in Loop: Header=BB2_2057 Depth=2
	v_and_b32_e32 v0, 7, v2
	v_ffbh_u32_e32 v29, v0
	v_min_u32_e32 v29, 32, v29
	v_subrev_u32_e32 v30, 28, v29
	v_lshlrev_b64 v[30:31], v30, v[2:3]
	v_lshrrev_b32_e32 v27, 3, v28
	v_sub_u32_e32 v2, 29, v29
	v_and_b32_e32 v29, 7, v30
	v_cmp_gt_u32_e32 vcc, 8, v28
	v_cndmask_b32_e32 v2, v27, v2, vcc
	v_cndmask_b32_e32 v0, v0, v29, vcc
	v_lshlrev_b32_e32 v16, 24, v16
	v_bfrev_b32_e32 v27, 60
	v_lshlrev_b32_e32 v0, 20, v0
	v_and_b32_e32 v16, 0x80000000, v16
	v_lshl_add_u32 v2, v2, 23, v27
	v_or3_b32 v27, v16, v2, v0
.LBB2_2076:                             ;   in Loop: Header=BB2_2057 Depth=2
	s_or_b64 exec, exec, s[62:63]
.LBB2_2077:                             ;   in Loop: Header=BB2_2057 Depth=2
	s_or_b64 exec, exec, s[22:23]
.LBB2_2078:                             ;   in Loop: Header=BB2_2057 Depth=2
	s_or_b64 exec, exec, s[24:25]
	v_and_b32_e32 v2, 0xff, v3
	v_cmp_ne_u16_e32 vcc, 0, v2
	s_and_saveexec_b64 s[22:23], vcc
	s_cbranch_execz .LBB2_2084
; %bb.2079:                             ;   in Loop: Header=BB2_2057 Depth=2
	v_cmp_ne_u16_e32 vcc, s74, v2
	v_bfrev_b32_e32 v22, 1
	s_and_saveexec_b64 s[24:25], vcc
	s_cbranch_execz .LBB2_2083
; %bb.2080:                             ;   in Loop: Header=BB2_2057 Depth=2
	v_and_b32_e32 v16, 0x7f, v3
	v_cmp_ne_u32_e32 vcc, s75, v16
	v_mov_b32_e32 v22, 0x7f800001
	s_and_saveexec_b64 s[62:63], vcc
	s_cbranch_execz .LBB2_2082
; %bb.2081:                             ;   in Loop: Header=BB2_2057 Depth=2
	v_and_b32_e32 v0, 7, v2
	v_ffbh_u32_e32 v28, v0
	v_min_u32_e32 v30, 32, v28
	v_subrev_u32_e32 v28, 28, v30
	v_lshlrev_b64 v[28:29], v28, v[2:3]
	v_lshrrev_b32_e32 v22, 3, v16
	v_sub_u32_e32 v2, 29, v30
	v_and_b32_e32 v28, 7, v28
	v_cmp_gt_u32_e32 vcc, 8, v16
	v_cndmask_b32_e32 v2, v22, v2, vcc
	v_cndmask_b32_e32 v0, v0, v28, vcc
	v_lshlrev_b32_e32 v3, 24, v3
	v_bfrev_b32_e32 v16, 60
	v_lshlrev_b32_e32 v0, 20, v0
	v_and_b32_e32 v3, 0x80000000, v3
	v_lshl_add_u32 v2, v2, 23, v16
	v_or3_b32 v22, v3, v2, v0
.LBB2_2082:                             ;   in Loop: Header=BB2_2057 Depth=2
	s_or_b64 exec, exec, s[62:63]
.LBB2_2083:                             ;   in Loop: Header=BB2_2057 Depth=2
	s_or_b64 exec, exec, s[24:25]
.LBB2_2084:                             ;   in Loop: Header=BB2_2057 Depth=2
	s_or_b64 exec, exec, s[22:23]
	v_max_f32_e32 v0, v22, v22
	v_max_f32_e32 v2, v27, v27
	v_min_f32_e32 v2, v2, v0
.LBB2_2085:                             ;   in Loop: Header=BB2_2057 Depth=2
	v_and_b32_sdwa v16, v2, s74 dst_sel:DWORD dst_unused:UNUSED_PAD src0_sel:BYTE_3 src1_sel:DWORD
	v_and_b32_e32 v28, 0x7f800000, v2
	v_mov_b32_e32 v29, v55
	v_and_b32_e32 v54, 0x7fffff, v2
	v_or_b32_e32 v22, 0x7e, v16
	v_cmp_ne_u64_e32 vcc, s[44:45], v[28:29]
	s_and_saveexec_b64 s[22:23], vcc
	s_xor_b64 s[24:25], exec, s[22:23]
	s_cbranch_execz .LBB2_2099
; %bb.2086:                             ;   in Loop: Header=BB2_2057 Depth=2
	v_and_b32_e32 v28, 0x7fffffff, v2
	v_mov_b32_e32 v29, v55
	v_cmp_gt_u64_e32 vcc, s[46:47], v[28:29]
	s_and_saveexec_b64 s[22:23], vcc
	s_xor_b64 s[62:63], exec, s[22:23]
	s_cbranch_execz .LBB2_2098
; %bb.2087:                             ;   in Loop: Header=BB2_2057 Depth=2
	v_cmp_ne_u32_e32 vcc, 0, v2
	v_mov_b32_e32 v22, 0
	s_and_saveexec_b64 s[64:65], vcc
	s_cbranch_execz .LBB2_2097
; %bb.2088:                             ;   in Loop: Header=BB2_2057 Depth=2
	v_bfe_u32 v0, v2, 23, 8
	v_sub_u32_e32 v3, 0x79, v0
	v_cmp_gt_u32_e32 vcc, s77, v0
	v_add_u32_e32 v2, 0xffffff81, v0
	v_cndmask_b32_e32 v3, 0, v3, vcc
	v_cmp_eq_u32_e32 vcc, 0, v0
	v_mov_b32_e32 v0, 0xffffff82
	v_cndmask_b32_e32 v0, v2, v0, vcc
	v_mov_b32_e32 v2, 0x78
	v_or_b32_e32 v22, 0x800000, v54
	v_cndmask_b32_e32 v27, v3, v2, vcc
	v_cndmask_b32_e32 v54, v22, v54, vcc
	v_add_u32_e32 v2, 20, v27
	v_lshlrev_b64 v[2:3], v2, -1
	v_add_u32_e32 v22, 19, v27
	v_lshrrev_b64 v[34:35], v27, v[54:55]
	v_not_b32_e32 v3, v3
	v_not_b32_e32 v2, v2
	v_lshlrev_b64 v[30:31], v22, 1
	v_lshrrev_b32_e32 v22, 23, v34
	v_and_b32_e32 v3, 0, v3
	v_and_b32_e32 v2, v54, v2
	v_add3_u32 v28, v27, v0, v22
	v_bfe_u32 v0, v34, 20, 1
	v_add_u32_e32 v0, -1, v0
	v_cmp_eq_u64_e32 vcc, v[2:3], v[30:31]
	v_cndmask_b32_e32 v0, 0, v0, vcc
	v_add_u32_e32 v0, v0, v34
	v_and_b32_e32 v0, 0xfffff, v0
	v_add_co_u32_e32 v2, vcc, v0, v34
	v_add_u32_e32 v22, 6, v28
	v_addc_co_u32_e32 v3, vcc, 0, v35, vcc
	v_cmp_ne_u32_e32 vcc, 0, v22
                                        ; implicit-def: $vgpr27
	s_and_saveexec_b64 s[22:23], vcc
	s_xor_b64 s[22:23], exec, s[22:23]
; %bb.2089:                             ;   in Loop: Header=BB2_2057 Depth=2
	v_add_u32_e32 v0, 7, v28
	v_cmp_lt_u64_e32 vcc, s[50:51], v[2:3]
	v_cndmask_b32_e32 v27, v22, v0, vcc
	v_cndmask_b32_e64 v0, 0, 1, vcc
	v_lshrrev_b64 v[2:3], v0, v[2:3]
; %bb.2090:                             ;   in Loop: Header=BB2_2057 Depth=2
	s_andn2_saveexec_b64 s[22:23], s[22:23]
; %bb.2091:                             ;   in Loop: Header=BB2_2057 Depth=2
	v_bfe_u32 v27, v2, 23, 1
; %bb.2092:                             ;   in Loop: Header=BB2_2057 Depth=2
	s_or_b64 exec, exec, s[22:23]
	v_lshrrev_b64 v[2:3], 20, v[2:3]
	v_cmp_gt_i32_e32 vcc, 16, v27
	v_cndmask_b32_e32 v3, 0, v3, vcc
	v_cndmask_b32_e32 v2, 7, v2, vcc
	v_cmp_ne_u32_e32 vcc, 0, v27
	v_cmp_ne_u64_e64 s[22:23], 0, v[2:3]
	s_or_b64 s[22:23], vcc, s[22:23]
                                        ; implicit-def: $vgpr22
	s_mov_b64 vcc, exec
	s_and_b64 s[66:67], vcc, s[22:23]
	v_accvgpr_read_b32 v35, a11
	s_xor_b64 s[22:23], s[66:67], vcc
	v_accvgpr_read_b32 v34, a10
	s_mov_b64 exec, s[66:67]
; %bb.2093:                             ;   in Loop: Header=BB2_2057 Depth=2
	v_min_i32_e32 v0, 15, v27
	v_lshl_or_b32 v0, v0, 3, v16
	v_and_or_b32 v22, v2, 7, v0
                                        ; implicit-def: $vgpr16
; %bb.2094:                             ;   in Loop: Header=BB2_2057 Depth=2
	s_andn2_saveexec_b64 s[22:23], s[22:23]
; %bb.2095:                             ;   in Loop: Header=BB2_2057 Depth=2
	v_mov_b32_e32 v22, v16
; %bb.2096:                             ;   in Loop: Header=BB2_2057 Depth=2
	s_or_b64 exec, exec, s[22:23]
.LBB2_2097:                             ;   in Loop: Header=BB2_2057 Depth=2
	s_or_b64 exec, exec, s[64:65]
.LBB2_2098:                             ;   in Loop: Header=BB2_2057 Depth=2
	s_andn2_saveexec_b64 s[22:23], s[62:63]
	s_or_b64 exec, exec, s[22:23]
                                        ; implicit-def: $vgpr2
.LBB2_2099:                             ;   in Loop: Header=BB2_2057 Depth=2
	s_andn2_saveexec_b64 s[22:23], s[24:25]
; %bb.2100:                             ;   in Loop: Header=BB2_2057 Depth=2
	v_or_b32_sdwa v0, v2, s75 dst_sel:DWORD dst_unused:UNUSED_PAD src0_sel:BYTE_3 src1_sel:DWORD
	v_cmp_eq_u64_e32 vcc, 0, v[54:55]
	v_cndmask_b32_e32 v22, v0, v22, vcc
; %bb.2101:                             ;   in Loop: Header=BB2_2057 Depth=2
	s_or_b64 exec, exec, s[22:23]
	v_and_b32_e32 v2, 0xff, v26
	v_cndmask_b32_e64 v0, 0, 1, s[60:61]
	v_cmp_ne_u32_e64 s[22:23], 1, v0
	s_andn2_b64 vcc, exec, s[60:61]
	v_cmp_ne_u16_e64 s[24:25], 0, v2
	s_cbranch_vccnz .LBB2_2115
; %bb.2102:                             ;   in Loop: Header=BB2_2057 Depth=2
	v_mov_b32_e32 v27, 0
	v_mov_b32_e32 v3, 0
	s_and_saveexec_b64 s[62:63], s[24:25]
	s_cbranch_execz .LBB2_2108
; %bb.2103:                             ;   in Loop: Header=BB2_2057 Depth=2
	v_cmp_ne_u16_e32 vcc, s74, v2
	v_bfrev_b32_e32 v3, 1
	s_and_saveexec_b64 s[64:65], vcc
	s_cbranch_execz .LBB2_2107
; %bb.2104:                             ;   in Loop: Header=BB2_2057 Depth=2
	v_and_b32_e32 v16, 0x7f, v26
	v_cmp_ne_u32_e32 vcc, s75, v16
	v_mov_b32_e32 v3, 0x7f800001
	s_and_saveexec_b64 s[66:67], vcc
	s_cbranch_execz .LBB2_2106
; %bb.2105:                             ;   in Loop: Header=BB2_2057 Depth=2
	v_and_b32_e32 v0, 7, v2
	v_ffbh_u32_e32 v28, v0
	v_min_u32_e32 v30, 32, v28
	v_lshrrev_b32_e32 v3, 3, v16
	v_subrev_u32_e32 v28, 28, v30
	v_lshlrev_b64 v[28:29], v28, v[2:3]
	v_sub_u32_e32 v29, 29, v30
	v_and_b32_e32 v28, 7, v28
	v_cmp_gt_u32_e32 vcc, 8, v16
	v_cndmask_b32_e32 v3, v3, v29, vcc
	v_cndmask_b32_e32 v0, v0, v28, vcc
	v_lshlrev_b32_e32 v16, 24, v26
	v_bfrev_b32_e32 v28, 60
	v_lshlrev_b32_e32 v0, 20, v0
	v_and_b32_e32 v16, 0x80000000, v16
	v_lshl_add_u32 v3, v3, 23, v28
	v_or3_b32 v3, v16, v3, v0
.LBB2_2106:                             ;   in Loop: Header=BB2_2057 Depth=2
	s_or_b64 exec, exec, s[66:67]
.LBB2_2107:                             ;   in Loop: Header=BB2_2057 Depth=2
	s_or_b64 exec, exec, s[64:65]
.LBB2_2108:                             ;   in Loop: Header=BB2_2057 Depth=2
	s_or_b64 exec, exec, s[62:63]
	v_and_b32_e32 v16, 0xff, v25
	v_cmp_ne_u16_e32 vcc, 0, v16
	s_and_saveexec_b64 s[62:63], vcc
	s_cbranch_execz .LBB2_2114
; %bb.2109:                             ;   in Loop: Header=BB2_2057 Depth=2
	v_cmp_ne_u16_e32 vcc, s74, v16
	v_bfrev_b32_e32 v27, 1
	s_and_saveexec_b64 s[64:65], vcc
	s_cbranch_execz .LBB2_2113
; %bb.2110:                             ;   in Loop: Header=BB2_2057 Depth=2
	v_and_b32_e32 v28, 0x7f, v25
	v_cmp_ne_u32_e32 vcc, s75, v28
	v_mov_b32_e32 v27, 0x7f800001
	s_and_saveexec_b64 s[66:67], vcc
	s_cbranch_execz .LBB2_2112
; %bb.2111:                             ;   in Loop: Header=BB2_2057 Depth=2
	v_and_b32_e32 v0, 7, v16
	v_ffbh_u32_e32 v29, v0
	v_min_u32_e32 v29, 32, v29
	v_subrev_u32_e32 v30, 28, v29
	v_lshlrev_b64 v[30:31], v30, v[16:17]
	v_lshrrev_b32_e32 v27, 3, v28
	v_sub_u32_e32 v16, 29, v29
	v_and_b32_e32 v29, 7, v30
	v_cmp_gt_u32_e32 vcc, 8, v28
	v_cndmask_b32_e32 v16, v27, v16, vcc
	v_cndmask_b32_e32 v0, v0, v29, vcc
	v_lshlrev_b32_e32 v27, 24, v25
	v_bfrev_b32_e32 v28, 60
	v_lshlrev_b32_e32 v0, 20, v0
	v_and_b32_e32 v27, 0x80000000, v27
	v_lshl_add_u32 v16, v16, 23, v28
	v_or3_b32 v27, v27, v16, v0
.LBB2_2112:                             ;   in Loop: Header=BB2_2057 Depth=2
	s_or_b64 exec, exec, s[66:67]
.LBB2_2113:                             ;   in Loop: Header=BB2_2057 Depth=2
	s_or_b64 exec, exec, s[64:65]
.LBB2_2114:                             ;   in Loop: Header=BB2_2057 Depth=2
	s_or_b64 exec, exec, s[62:63]
	v_max_f32_e32 v0, v27, v27
	v_max_f32_e32 v3, v3, v3
	;; [unrolled: 1-line block ×3, first 2 shown]
	s_branch .LBB2_2129
.LBB2_2115:                             ;   in Loop: Header=BB2_2057 Depth=2
                                        ; implicit-def: $vgpr3
	s_cbranch_execz .LBB2_2129
; %bb.2116:                             ;   in Loop: Header=BB2_2057 Depth=2
	v_mov_b32_e32 v16, 0
	v_mov_b32_e32 v3, 0
	s_and_saveexec_b64 s[62:63], s[24:25]
	s_cbranch_execz .LBB2_2122
; %bb.2117:                             ;   in Loop: Header=BB2_2057 Depth=2
	v_cmp_ne_u16_e32 vcc, s74, v2
	v_bfrev_b32_e32 v3, 1
	s_and_saveexec_b64 s[24:25], vcc
	s_cbranch_execz .LBB2_2121
; %bb.2118:                             ;   in Loop: Header=BB2_2057 Depth=2
	v_and_b32_e32 v27, 0x7f, v26
	v_cmp_ne_u32_e32 vcc, s75, v27
	v_mov_b32_e32 v3, 0x7f800001
	s_and_saveexec_b64 s[64:65], vcc
	s_cbranch_execz .LBB2_2120
; %bb.2119:                             ;   in Loop: Header=BB2_2057 Depth=2
	v_and_b32_e32 v0, 7, v2
	v_ffbh_u32_e32 v3, v0
	v_min_u32_e32 v29, 32, v3
	v_subrev_u32_e32 v3, 28, v29
	v_lshlrev_b64 v[2:3], v3, v[2:3]
	v_lshrrev_b32_e32 v28, 3, v27
	v_sub_u32_e32 v3, 29, v29
	v_and_b32_e32 v2, 7, v2
	v_cmp_gt_u32_e32 vcc, 8, v27
	v_cndmask_b32_e32 v3, v28, v3, vcc
	v_cndmask_b32_e32 v0, v0, v2, vcc
	v_lshlrev_b32_e32 v2, 24, v26
	v_bfrev_b32_e32 v26, 60
	v_lshlrev_b32_e32 v0, 20, v0
	v_and_b32_e32 v2, 0x80000000, v2
	v_lshl_add_u32 v3, v3, 23, v26
	v_or3_b32 v3, v2, v3, v0
.LBB2_2120:                             ;   in Loop: Header=BB2_2057 Depth=2
	s_or_b64 exec, exec, s[64:65]
.LBB2_2121:                             ;   in Loop: Header=BB2_2057 Depth=2
	s_or_b64 exec, exec, s[24:25]
.LBB2_2122:                             ;   in Loop: Header=BB2_2057 Depth=2
	s_or_b64 exec, exec, s[62:63]
	v_and_b32_e32 v2, 0xff, v25
	v_cmp_ne_u16_e32 vcc, 0, v2
	s_and_saveexec_b64 s[24:25], vcc
	s_cbranch_execz .LBB2_2128
; %bb.2123:                             ;   in Loop: Header=BB2_2057 Depth=2
	v_cmp_ne_u16_e32 vcc, s74, v2
	v_bfrev_b32_e32 v16, 1
	s_and_saveexec_b64 s[62:63], vcc
	s_cbranch_execz .LBB2_2127
; %bb.2124:                             ;   in Loop: Header=BB2_2057 Depth=2
	v_and_b32_e32 v26, 0x7f, v25
	v_cmp_ne_u32_e32 vcc, s75, v26
	v_mov_b32_e32 v16, 0x7f800001
	s_and_saveexec_b64 s[64:65], vcc
	s_cbranch_execz .LBB2_2126
; %bb.2125:                             ;   in Loop: Header=BB2_2057 Depth=2
	v_and_b32_e32 v0, 7, v2
	v_ffbh_u32_e32 v27, v0
	v_min_u32_e32 v27, 32, v27
	v_subrev_u32_e32 v28, 28, v27
	v_lshlrev_b64 v[28:29], v28, v[2:3]
	v_lshrrev_b32_e32 v16, 3, v26
	v_sub_u32_e32 v2, 29, v27
	v_and_b32_e32 v27, 7, v28
	v_cmp_gt_u32_e32 vcc, 8, v26
	v_cndmask_b32_e32 v2, v16, v2, vcc
	v_cndmask_b32_e32 v0, v0, v27, vcc
	v_lshlrev_b32_e32 v16, 24, v25
	v_bfrev_b32_e32 v25, 60
	v_lshlrev_b32_e32 v0, 20, v0
	v_and_b32_e32 v16, 0x80000000, v16
	v_lshl_add_u32 v2, v2, 23, v25
	v_or3_b32 v16, v16, v2, v0
.LBB2_2126:                             ;   in Loop: Header=BB2_2057 Depth=2
	s_or_b64 exec, exec, s[64:65]
.LBB2_2127:                             ;   in Loop: Header=BB2_2057 Depth=2
	s_or_b64 exec, exec, s[62:63]
.LBB2_2128:                             ;   in Loop: Header=BB2_2057 Depth=2
	s_or_b64 exec, exec, s[24:25]
	v_max_f32_e32 v0, v16, v16
	v_max_f32_e32 v2, v3, v3
	v_min_f32_e32 v3, v2, v0
.LBB2_2129:                             ;   in Loop: Header=BB2_2057 Depth=2
	v_and_b32_sdwa v16, v3, s74 dst_sel:DWORD dst_unused:UNUSED_PAD src0_sel:BYTE_3 src1_sel:DWORD
	v_and_b32_e32 v26, 0x7f800000, v3
	v_mov_b32_e32 v27, v55
	v_and_b32_e32 v54, 0x7fffff, v3
	v_or_b32_e32 v25, 0x7e, v16
	v_cmp_ne_u64_e32 vcc, s[44:45], v[26:27]
	s_and_saveexec_b64 s[24:25], vcc
	s_xor_b64 s[62:63], exec, s[24:25]
	s_cbranch_execz .LBB2_2143
; %bb.2130:                             ;   in Loop: Header=BB2_2057 Depth=2
	v_and_b32_e32 v26, 0x7fffffff, v3
	v_mov_b32_e32 v27, v55
	v_cmp_gt_u64_e32 vcc, s[46:47], v[26:27]
	s_and_saveexec_b64 s[24:25], vcc
	s_xor_b64 s[64:65], exec, s[24:25]
	s_cbranch_execz .LBB2_2142
; %bb.2131:                             ;   in Loop: Header=BB2_2057 Depth=2
	v_cmp_ne_u32_e32 vcc, 0, v3
	v_mov_b32_e32 v25, 0
	s_and_saveexec_b64 s[66:67], vcc
	s_cbranch_execz .LBB2_2141
; %bb.2132:                             ;   in Loop: Header=BB2_2057 Depth=2
	v_bfe_u32 v0, v3, 23, 8
	v_sub_u32_e32 v3, 0x79, v0
	v_cmp_gt_u32_e32 vcc, s77, v0
	v_add_u32_e32 v2, 0xffffff81, v0
	v_cndmask_b32_e32 v3, 0, v3, vcc
	v_cmp_eq_u32_e32 vcc, 0, v0
	v_mov_b32_e32 v0, 0xffffff82
	v_cndmask_b32_e32 v0, v2, v0, vcc
	v_mov_b32_e32 v2, 0x78
	v_or_b32_e32 v25, 0x800000, v54
	v_cndmask_b32_e32 v26, v3, v2, vcc
	v_cndmask_b32_e32 v54, v25, v54, vcc
	v_add_u32_e32 v2, 20, v26
	v_lshlrev_b64 v[2:3], v2, -1
	v_add_u32_e32 v25, 19, v26
	v_lshrrev_b64 v[30:31], v26, v[54:55]
	v_not_b32_e32 v3, v3
	v_not_b32_e32 v2, v2
	v_lshlrev_b64 v[28:29], v25, 1
	v_lshrrev_b32_e32 v25, 23, v30
	v_and_b32_e32 v3, 0, v3
	v_and_b32_e32 v2, v54, v2
	v_add3_u32 v27, v26, v0, v25
	v_bfe_u32 v0, v30, 20, 1
	v_add_u32_e32 v0, -1, v0
	v_cmp_eq_u64_e32 vcc, v[2:3], v[28:29]
	v_cndmask_b32_e32 v0, 0, v0, vcc
	v_add_u32_e32 v0, v0, v30
	v_and_b32_e32 v0, 0xfffff, v0
	v_add_co_u32_e32 v2, vcc, v0, v30
	v_add_u32_e32 v25, 6, v27
	v_addc_co_u32_e32 v3, vcc, 0, v31, vcc
	v_cmp_ne_u32_e32 vcc, 0, v25
                                        ; implicit-def: $vgpr26
	s_and_saveexec_b64 s[24:25], vcc
	s_xor_b64 s[24:25], exec, s[24:25]
; %bb.2133:                             ;   in Loop: Header=BB2_2057 Depth=2
	v_add_u32_e32 v0, 7, v27
	v_cmp_lt_u64_e32 vcc, s[50:51], v[2:3]
	v_cndmask_b32_e32 v26, v25, v0, vcc
	v_cndmask_b32_e64 v0, 0, 1, vcc
	v_lshrrev_b64 v[2:3], v0, v[2:3]
; %bb.2134:                             ;   in Loop: Header=BB2_2057 Depth=2
	s_andn2_saveexec_b64 s[24:25], s[24:25]
; %bb.2135:                             ;   in Loop: Header=BB2_2057 Depth=2
	v_bfe_u32 v26, v2, 23, 1
; %bb.2136:                             ;   in Loop: Header=BB2_2057 Depth=2
	s_or_b64 exec, exec, s[24:25]
	v_lshrrev_b64 v[2:3], 20, v[2:3]
	v_cmp_gt_i32_e32 vcc, 16, v26
	v_cndmask_b32_e32 v3, 0, v3, vcc
	v_cndmask_b32_e32 v2, 7, v2, vcc
	v_cmp_ne_u32_e32 vcc, 0, v26
	v_cmp_ne_u64_e64 s[24:25], 0, v[2:3]
	s_or_b64 s[24:25], vcc, s[24:25]
                                        ; implicit-def: $vgpr25
	s_and_saveexec_b64 vcc, s[24:25]
	s_xor_b64 s[24:25], exec, vcc
; %bb.2137:                             ;   in Loop: Header=BB2_2057 Depth=2
	v_min_i32_e32 v0, 15, v26
	v_lshl_or_b32 v0, v0, 3, v16
	v_and_or_b32 v25, v2, 7, v0
                                        ; implicit-def: $vgpr16
; %bb.2138:                             ;   in Loop: Header=BB2_2057 Depth=2
	s_andn2_saveexec_b64 s[24:25], s[24:25]
; %bb.2139:                             ;   in Loop: Header=BB2_2057 Depth=2
	v_mov_b32_e32 v25, v16
; %bb.2140:                             ;   in Loop: Header=BB2_2057 Depth=2
	s_or_b64 exec, exec, s[24:25]
.LBB2_2141:                             ;   in Loop: Header=BB2_2057 Depth=2
	s_or_b64 exec, exec, s[66:67]
.LBB2_2142:                             ;   in Loop: Header=BB2_2057 Depth=2
	s_andn2_saveexec_b64 s[24:25], s[64:65]
	s_or_b64 exec, exec, s[24:25]
                                        ; implicit-def: $vgpr3
.LBB2_2143:                             ;   in Loop: Header=BB2_2057 Depth=2
	s_andn2_saveexec_b64 s[24:25], s[62:63]
; %bb.2144:                             ;   in Loop: Header=BB2_2057 Depth=2
	v_or_b32_sdwa v0, v3, s75 dst_sel:DWORD dst_unused:UNUSED_PAD src0_sel:BYTE_3 src1_sel:DWORD
	v_cmp_eq_u64_e32 vcc, 0, v[54:55]
	v_cndmask_b32_e32 v25, v0, v25, vcc
; %bb.2145:                             ;   in Loop: Header=BB2_2057 Depth=2
	s_or_b64 exec, exec, s[24:25]
	v_and_b32_e32 v2, 0xff, v24
	s_and_b64 vcc, exec, s[22:23]
	v_cmp_ne_u16_e64 s[24:25], 0, v2
	s_cbranch_vccnz .LBB2_2159
; %bb.2146:                             ;   in Loop: Header=BB2_2057 Depth=2
	v_mov_b32_e32 v26, 0
	v_mov_b32_e32 v3, 0
	s_and_saveexec_b64 s[62:63], s[24:25]
	s_cbranch_execz .LBB2_2152
; %bb.2147:                             ;   in Loop: Header=BB2_2057 Depth=2
	v_cmp_ne_u16_e32 vcc, s74, v2
	v_bfrev_b32_e32 v3, 1
	s_and_saveexec_b64 s[64:65], vcc
	s_cbranch_execz .LBB2_2151
; %bb.2148:                             ;   in Loop: Header=BB2_2057 Depth=2
	v_and_b32_e32 v16, 0x7f, v24
	v_cmp_ne_u32_e32 vcc, s75, v16
	v_mov_b32_e32 v3, 0x7f800001
	s_and_saveexec_b64 s[66:67], vcc
	s_cbranch_execz .LBB2_2150
; %bb.2149:                             ;   in Loop: Header=BB2_2057 Depth=2
	v_and_b32_e32 v0, 7, v2
	v_ffbh_u32_e32 v27, v0
	v_min_u32_e32 v27, 32, v27
	v_lshrrev_b32_e32 v3, 3, v16
	v_subrev_u32_e32 v28, 28, v27
	v_lshlrev_b64 v[28:29], v28, v[2:3]
	v_sub_u32_e32 v27, 29, v27
	v_and_b32_e32 v28, 7, v28
	v_cmp_gt_u32_e32 vcc, 8, v16
	v_cndmask_b32_e32 v3, v3, v27, vcc
	v_cndmask_b32_e32 v0, v0, v28, vcc
	v_lshlrev_b32_e32 v16, 24, v24
	v_bfrev_b32_e32 v27, 60
	v_lshlrev_b32_e32 v0, 20, v0
	v_and_b32_e32 v16, 0x80000000, v16
	v_lshl_add_u32 v3, v3, 23, v27
	v_or3_b32 v3, v16, v3, v0
.LBB2_2150:                             ;   in Loop: Header=BB2_2057 Depth=2
	s_or_b64 exec, exec, s[66:67]
.LBB2_2151:                             ;   in Loop: Header=BB2_2057 Depth=2
	s_or_b64 exec, exec, s[64:65]
.LBB2_2152:                             ;   in Loop: Header=BB2_2057 Depth=2
	s_or_b64 exec, exec, s[62:63]
	v_and_b32_e32 v16, 0xff, v23
	v_cmp_ne_u16_e32 vcc, 0, v16
	s_and_saveexec_b64 s[62:63], vcc
	s_cbranch_execz .LBB2_2158
; %bb.2153:                             ;   in Loop: Header=BB2_2057 Depth=2
	v_cmp_ne_u16_e32 vcc, s74, v16
	v_bfrev_b32_e32 v26, 1
	s_and_saveexec_b64 s[64:65], vcc
	s_cbranch_execz .LBB2_2157
; %bb.2154:                             ;   in Loop: Header=BB2_2057 Depth=2
	v_and_b32_e32 v27, 0x7f, v23
	v_cmp_ne_u32_e32 vcc, s75, v27
	v_mov_b32_e32 v26, 0x7f800001
	s_and_saveexec_b64 s[66:67], vcc
	s_cbranch_execz .LBB2_2156
; %bb.2155:                             ;   in Loop: Header=BB2_2057 Depth=2
	v_and_b32_e32 v0, 7, v16
	v_ffbh_u32_e32 v28, v0
	v_min_u32_e32 v30, 32, v28
	v_subrev_u32_e32 v28, 28, v30
	v_lshlrev_b64 v[28:29], v28, v[16:17]
	v_lshrrev_b32_e32 v26, 3, v27
	v_sub_u32_e32 v16, 29, v30
	v_and_b32_e32 v28, 7, v28
	v_cmp_gt_u32_e32 vcc, 8, v27
	v_cndmask_b32_e32 v16, v26, v16, vcc
	v_cndmask_b32_e32 v0, v0, v28, vcc
	v_lshlrev_b32_e32 v26, 24, v23
	v_bfrev_b32_e32 v27, 60
	v_lshlrev_b32_e32 v0, 20, v0
	v_and_b32_e32 v26, 0x80000000, v26
	v_lshl_add_u32 v16, v16, 23, v27
	v_or3_b32 v26, v26, v16, v0
.LBB2_2156:                             ;   in Loop: Header=BB2_2057 Depth=2
	s_or_b64 exec, exec, s[66:67]
.LBB2_2157:                             ;   in Loop: Header=BB2_2057 Depth=2
	s_or_b64 exec, exec, s[64:65]
.LBB2_2158:                             ;   in Loop: Header=BB2_2057 Depth=2
	s_or_b64 exec, exec, s[62:63]
	v_max_f32_e32 v0, v26, v26
	v_max_f32_e32 v3, v3, v3
	;; [unrolled: 1-line block ×3, first 2 shown]
	s_branch .LBB2_2173
.LBB2_2159:                             ;   in Loop: Header=BB2_2057 Depth=2
                                        ; implicit-def: $vgpr3
	s_cbranch_execz .LBB2_2173
; %bb.2160:                             ;   in Loop: Header=BB2_2057 Depth=2
	v_mov_b32_e32 v16, 0
	v_mov_b32_e32 v3, 0
	s_and_saveexec_b64 s[62:63], s[24:25]
	s_cbranch_execz .LBB2_2166
; %bb.2161:                             ;   in Loop: Header=BB2_2057 Depth=2
	v_cmp_ne_u16_e32 vcc, s74, v2
	v_bfrev_b32_e32 v3, 1
	s_and_saveexec_b64 s[24:25], vcc
	s_cbranch_execz .LBB2_2165
; %bb.2162:                             ;   in Loop: Header=BB2_2057 Depth=2
	v_and_b32_e32 v26, 0x7f, v24
	v_cmp_ne_u32_e32 vcc, s75, v26
	v_mov_b32_e32 v3, 0x7f800001
	s_and_saveexec_b64 s[64:65], vcc
	s_cbranch_execz .LBB2_2164
; %bb.2163:                             ;   in Loop: Header=BB2_2057 Depth=2
	v_and_b32_e32 v0, 7, v2
	v_ffbh_u32_e32 v3, v0
	v_min_u32_e32 v28, 32, v3
	v_subrev_u32_e32 v3, 28, v28
	v_lshlrev_b64 v[2:3], v3, v[2:3]
	v_lshrrev_b32_e32 v27, 3, v26
	v_sub_u32_e32 v3, 29, v28
	v_and_b32_e32 v2, 7, v2
	v_cmp_gt_u32_e32 vcc, 8, v26
	v_cndmask_b32_e32 v3, v27, v3, vcc
	v_cndmask_b32_e32 v0, v0, v2, vcc
	v_lshlrev_b32_e32 v2, 24, v24
	v_bfrev_b32_e32 v24, 60
	v_lshlrev_b32_e32 v0, 20, v0
	v_and_b32_e32 v2, 0x80000000, v2
	v_lshl_add_u32 v3, v3, 23, v24
	v_or3_b32 v3, v2, v3, v0
.LBB2_2164:                             ;   in Loop: Header=BB2_2057 Depth=2
	s_or_b64 exec, exec, s[64:65]
.LBB2_2165:                             ;   in Loop: Header=BB2_2057 Depth=2
	s_or_b64 exec, exec, s[24:25]
.LBB2_2166:                             ;   in Loop: Header=BB2_2057 Depth=2
	s_or_b64 exec, exec, s[62:63]
	v_and_b32_e32 v2, 0xff, v23
	v_cmp_ne_u16_e32 vcc, 0, v2
	s_and_saveexec_b64 s[24:25], vcc
	s_cbranch_execz .LBB2_2172
; %bb.2167:                             ;   in Loop: Header=BB2_2057 Depth=2
	v_cmp_ne_u16_e32 vcc, s74, v2
	v_bfrev_b32_e32 v16, 1
	s_and_saveexec_b64 s[62:63], vcc
	s_cbranch_execz .LBB2_2171
; %bb.2168:                             ;   in Loop: Header=BB2_2057 Depth=2
	v_and_b32_e32 v24, 0x7f, v23
	v_cmp_ne_u32_e32 vcc, s75, v24
	v_mov_b32_e32 v16, 0x7f800001
	s_and_saveexec_b64 s[64:65], vcc
	s_cbranch_execz .LBB2_2170
; %bb.2169:                             ;   in Loop: Header=BB2_2057 Depth=2
	v_and_b32_e32 v0, 7, v2
	v_ffbh_u32_e32 v26, v0
	v_min_u32_e32 v28, 32, v26
	v_subrev_u32_e32 v26, 28, v28
	v_lshlrev_b64 v[26:27], v26, v[2:3]
	v_lshrrev_b32_e32 v16, 3, v24
	v_sub_u32_e32 v2, 29, v28
	v_and_b32_e32 v26, 7, v26
	v_cmp_gt_u32_e32 vcc, 8, v24
	v_cndmask_b32_e32 v2, v16, v2, vcc
	v_cndmask_b32_e32 v0, v0, v26, vcc
	v_lshlrev_b32_e32 v16, 24, v23
	v_bfrev_b32_e32 v23, 60
	v_lshlrev_b32_e32 v0, 20, v0
	v_and_b32_e32 v16, 0x80000000, v16
	v_lshl_add_u32 v2, v2, 23, v23
	v_or3_b32 v16, v16, v2, v0
.LBB2_2170:                             ;   in Loop: Header=BB2_2057 Depth=2
	s_or_b64 exec, exec, s[64:65]
.LBB2_2171:                             ;   in Loop: Header=BB2_2057 Depth=2
	s_or_b64 exec, exec, s[62:63]
.LBB2_2172:                             ;   in Loop: Header=BB2_2057 Depth=2
	s_or_b64 exec, exec, s[24:25]
	v_max_f32_e32 v0, v16, v16
	v_max_f32_e32 v2, v3, v3
	v_min_f32_e32 v3, v2, v0
.LBB2_2173:                             ;   in Loop: Header=BB2_2057 Depth=2
	v_and_b32_sdwa v16, v3, s74 dst_sel:DWORD dst_unused:UNUSED_PAD src0_sel:BYTE_3 src1_sel:DWORD
	v_and_b32_e32 v26, 0x7f800000, v3
	v_mov_b32_e32 v27, v55
	v_and_b32_e32 v54, 0x7fffff, v3
	v_or_b32_e32 v23, 0x7e, v16
	v_cmp_ne_u64_e32 vcc, s[44:45], v[26:27]
	s_and_saveexec_b64 s[24:25], vcc
	s_xor_b64 s[62:63], exec, s[24:25]
	s_cbranch_execz .LBB2_2187
; %bb.2174:                             ;   in Loop: Header=BB2_2057 Depth=2
	v_and_b32_e32 v26, 0x7fffffff, v3
	v_mov_b32_e32 v27, v55
	v_cmp_gt_u64_e32 vcc, s[46:47], v[26:27]
	s_and_saveexec_b64 s[24:25], vcc
	s_xor_b64 s[64:65], exec, s[24:25]
	s_cbranch_execz .LBB2_2186
; %bb.2175:                             ;   in Loop: Header=BB2_2057 Depth=2
	v_cmp_ne_u32_e32 vcc, 0, v3
	v_mov_b32_e32 v23, 0
	s_and_saveexec_b64 s[66:67], vcc
	s_cbranch_execz .LBB2_2185
; %bb.2176:                             ;   in Loop: Header=BB2_2057 Depth=2
	v_bfe_u32 v0, v3, 23, 8
	v_sub_u32_e32 v3, 0x79, v0
	v_cmp_gt_u32_e32 vcc, s77, v0
	v_add_u32_e32 v2, 0xffffff81, v0
	v_cndmask_b32_e32 v3, 0, v3, vcc
	v_cmp_eq_u32_e32 vcc, 0, v0
	v_mov_b32_e32 v0, 0xffffff82
	v_cndmask_b32_e32 v0, v2, v0, vcc
	v_mov_b32_e32 v2, 0x78
	v_or_b32_e32 v23, 0x800000, v54
	v_cndmask_b32_e32 v24, v3, v2, vcc
	v_cndmask_b32_e32 v54, v23, v54, vcc
	v_add_u32_e32 v2, 20, v24
	v_lshlrev_b64 v[2:3], v2, -1
	v_add_u32_e32 v23, 19, v24
	v_lshrrev_b64 v[30:31], v24, v[54:55]
	v_not_b32_e32 v3, v3
	v_not_b32_e32 v2, v2
	v_lshlrev_b64 v[28:29], v23, 1
	v_lshrrev_b32_e32 v23, 23, v30
	v_and_b32_e32 v3, 0, v3
	v_and_b32_e32 v2, v54, v2
	v_add3_u32 v26, v24, v0, v23
	v_bfe_u32 v0, v30, 20, 1
	v_add_u32_e32 v0, -1, v0
	v_cmp_eq_u64_e32 vcc, v[2:3], v[28:29]
	v_cndmask_b32_e32 v0, 0, v0, vcc
	v_add_u32_e32 v0, v0, v30
	v_and_b32_e32 v0, 0xfffff, v0
	v_add_co_u32_e32 v2, vcc, v0, v30
	v_add_u32_e32 v23, 6, v26
	v_addc_co_u32_e32 v3, vcc, 0, v31, vcc
	v_cmp_ne_u32_e32 vcc, 0, v23
                                        ; implicit-def: $vgpr24
	s_and_saveexec_b64 s[24:25], vcc
	s_xor_b64 s[24:25], exec, s[24:25]
; %bb.2177:                             ;   in Loop: Header=BB2_2057 Depth=2
	v_add_u32_e32 v0, 7, v26
	v_cmp_lt_u64_e32 vcc, s[50:51], v[2:3]
	v_cndmask_b32_e32 v24, v23, v0, vcc
	v_cndmask_b32_e64 v0, 0, 1, vcc
	v_lshrrev_b64 v[2:3], v0, v[2:3]
; %bb.2178:                             ;   in Loop: Header=BB2_2057 Depth=2
	s_andn2_saveexec_b64 s[24:25], s[24:25]
; %bb.2179:                             ;   in Loop: Header=BB2_2057 Depth=2
	v_bfe_u32 v24, v2, 23, 1
; %bb.2180:                             ;   in Loop: Header=BB2_2057 Depth=2
	s_or_b64 exec, exec, s[24:25]
	v_lshrrev_b64 v[2:3], 20, v[2:3]
	v_cmp_gt_i32_e32 vcc, 16, v24
	v_cndmask_b32_e32 v3, 0, v3, vcc
	v_cndmask_b32_e32 v2, 7, v2, vcc
	v_cmp_ne_u32_e32 vcc, 0, v24
	v_cmp_ne_u64_e64 s[24:25], 0, v[2:3]
	s_or_b64 s[24:25], vcc, s[24:25]
                                        ; implicit-def: $vgpr23
	s_and_saveexec_b64 vcc, s[24:25]
	s_xor_b64 s[24:25], exec, vcc
; %bb.2181:                             ;   in Loop: Header=BB2_2057 Depth=2
	v_min_i32_e32 v0, 15, v24
	v_lshl_or_b32 v0, v0, 3, v16
	v_and_or_b32 v23, v2, 7, v0
                                        ; implicit-def: $vgpr16
; %bb.2182:                             ;   in Loop: Header=BB2_2057 Depth=2
	s_andn2_saveexec_b64 s[24:25], s[24:25]
; %bb.2183:                             ;   in Loop: Header=BB2_2057 Depth=2
	v_mov_b32_e32 v23, v16
; %bb.2184:                             ;   in Loop: Header=BB2_2057 Depth=2
	s_or_b64 exec, exec, s[24:25]
.LBB2_2185:                             ;   in Loop: Header=BB2_2057 Depth=2
	s_or_b64 exec, exec, s[66:67]
.LBB2_2186:                             ;   in Loop: Header=BB2_2057 Depth=2
	s_andn2_saveexec_b64 s[24:25], s[64:65]
	s_or_b64 exec, exec, s[24:25]
                                        ; implicit-def: $vgpr3
.LBB2_2187:                             ;   in Loop: Header=BB2_2057 Depth=2
	s_andn2_saveexec_b64 s[24:25], s[62:63]
; %bb.2188:                             ;   in Loop: Header=BB2_2057 Depth=2
	v_or_b32_sdwa v0, v3, s75 dst_sel:DWORD dst_unused:UNUSED_PAD src0_sel:BYTE_3 src1_sel:DWORD
	v_cmp_eq_u64_e32 vcc, 0, v[54:55]
	v_cndmask_b32_e32 v23, v0, v23, vcc
; %bb.2189:                             ;   in Loop: Header=BB2_2057 Depth=2
	s_or_b64 exec, exec, s[24:25]
	v_and_b32_e32 v2, 0xff, v5
	s_and_b64 vcc, exec, s[22:23]
	v_cmp_ne_u16_e64 s[22:23], 0, v2
	s_cbranch_vccnz .LBB2_2203
; %bb.2190:                             ;   in Loop: Header=BB2_2057 Depth=2
	v_mov_b32_e32 v24, 0
	v_mov_b32_e32 v3, 0
	s_and_saveexec_b64 s[24:25], s[22:23]
	s_cbranch_execz .LBB2_2196
; %bb.2191:                             ;   in Loop: Header=BB2_2057 Depth=2
	v_cmp_ne_u16_e32 vcc, s74, v2
	v_bfrev_b32_e32 v3, 1
	s_and_saveexec_b64 s[62:63], vcc
	s_cbranch_execz .LBB2_2195
; %bb.2192:                             ;   in Loop: Header=BB2_2057 Depth=2
	v_and_b32_e32 v16, 0x7f, v5
	v_cmp_ne_u32_e32 vcc, s75, v16
	v_mov_b32_e32 v3, 0x7f800001
	s_and_saveexec_b64 s[64:65], vcc
	s_cbranch_execz .LBB2_2194
; %bb.2193:                             ;   in Loop: Header=BB2_2057 Depth=2
	v_and_b32_e32 v0, 7, v2
	v_ffbh_u32_e32 v26, v0
	v_min_u32_e32 v28, 32, v26
	v_lshrrev_b32_e32 v3, 3, v16
	v_subrev_u32_e32 v26, 28, v28
	v_lshlrev_b64 v[26:27], v26, v[2:3]
	v_sub_u32_e32 v27, 29, v28
	v_and_b32_e32 v26, 7, v26
	v_cmp_gt_u32_e32 vcc, 8, v16
	v_cndmask_b32_e32 v3, v3, v27, vcc
	v_cndmask_b32_e32 v0, v0, v26, vcc
	v_lshlrev_b32_e32 v16, 24, v5
	v_bfrev_b32_e32 v26, 60
	v_lshlrev_b32_e32 v0, 20, v0
	v_and_b32_e32 v16, 0x80000000, v16
	v_lshl_add_u32 v3, v3, 23, v26
	v_or3_b32 v3, v16, v3, v0
.LBB2_2194:                             ;   in Loop: Header=BB2_2057 Depth=2
	s_or_b64 exec, exec, s[64:65]
.LBB2_2195:                             ;   in Loop: Header=BB2_2057 Depth=2
	s_or_b64 exec, exec, s[62:63]
.LBB2_2196:                             ;   in Loop: Header=BB2_2057 Depth=2
	s_or_b64 exec, exec, s[24:25]
	v_and_b32_e32 v16, 0xff, v4
	v_cmp_ne_u16_e32 vcc, 0, v16
	s_and_saveexec_b64 s[24:25], vcc
	s_cbranch_execz .LBB2_2202
; %bb.2197:                             ;   in Loop: Header=BB2_2057 Depth=2
	v_cmp_ne_u16_e32 vcc, s74, v16
	v_bfrev_b32_e32 v24, 1
	s_and_saveexec_b64 s[62:63], vcc
	s_cbranch_execz .LBB2_2201
; %bb.2198:                             ;   in Loop: Header=BB2_2057 Depth=2
	v_and_b32_e32 v26, 0x7f, v4
	v_cmp_ne_u32_e32 vcc, s75, v26
	v_mov_b32_e32 v24, 0x7f800001
	s_and_saveexec_b64 s[64:65], vcc
	s_cbranch_execz .LBB2_2200
; %bb.2199:                             ;   in Loop: Header=BB2_2057 Depth=2
	v_and_b32_e32 v0, 7, v16
	v_ffbh_u32_e32 v27, v0
	v_min_u32_e32 v27, 32, v27
	v_subrev_u32_e32 v28, 28, v27
	v_lshlrev_b64 v[28:29], v28, v[16:17]
	v_lshrrev_b32_e32 v24, 3, v26
	v_sub_u32_e32 v16, 29, v27
	v_and_b32_e32 v27, 7, v28
	v_cmp_gt_u32_e32 vcc, 8, v26
	v_cndmask_b32_e32 v16, v24, v16, vcc
	v_cndmask_b32_e32 v0, v0, v27, vcc
	v_lshlrev_b32_e32 v24, 24, v4
	v_bfrev_b32_e32 v26, 60
	v_lshlrev_b32_e32 v0, 20, v0
	v_and_b32_e32 v24, 0x80000000, v24
	v_lshl_add_u32 v16, v16, 23, v26
	v_or3_b32 v24, v24, v16, v0
.LBB2_2200:                             ;   in Loop: Header=BB2_2057 Depth=2
	s_or_b64 exec, exec, s[64:65]
.LBB2_2201:                             ;   in Loop: Header=BB2_2057 Depth=2
	s_or_b64 exec, exec, s[62:63]
.LBB2_2202:                             ;   in Loop: Header=BB2_2057 Depth=2
	s_or_b64 exec, exec, s[24:25]
	v_max_f32_e32 v0, v24, v24
	v_max_f32_e32 v3, v3, v3
	;; [unrolled: 1-line block ×3, first 2 shown]
	s_branch .LBB2_2217
.LBB2_2203:                             ;   in Loop: Header=BB2_2057 Depth=2
                                        ; implicit-def: $vgpr16
	s_cbranch_execz .LBB2_2217
; %bb.2204:                             ;   in Loop: Header=BB2_2057 Depth=2
	v_mov_b32_e32 v16, 0
	v_mov_b32_e32 v3, 0
	s_and_saveexec_b64 s[24:25], s[22:23]
	s_cbranch_execz .LBB2_2210
; %bb.2205:                             ;   in Loop: Header=BB2_2057 Depth=2
	v_cmp_ne_u16_e32 vcc, s74, v2
	v_bfrev_b32_e32 v3, 1
	s_and_saveexec_b64 s[22:23], vcc
	s_cbranch_execz .LBB2_2209
; %bb.2206:                             ;   in Loop: Header=BB2_2057 Depth=2
	v_and_b32_e32 v24, 0x7f, v5
	v_cmp_ne_u32_e32 vcc, s75, v24
	v_mov_b32_e32 v3, 0x7f800001
	s_and_saveexec_b64 s[62:63], vcc
	s_cbranch_execz .LBB2_2208
; %bb.2207:                             ;   in Loop: Header=BB2_2057 Depth=2
	v_and_b32_e32 v0, 7, v2
	v_ffbh_u32_e32 v3, v0
	v_min_u32_e32 v27, 32, v3
	v_subrev_u32_e32 v3, 28, v27
	v_lshlrev_b64 v[2:3], v3, v[2:3]
	v_lshrrev_b32_e32 v26, 3, v24
	v_sub_u32_e32 v3, 29, v27
	v_and_b32_e32 v2, 7, v2
	v_cmp_gt_u32_e32 vcc, 8, v24
	v_cndmask_b32_e32 v3, v26, v3, vcc
	v_cndmask_b32_e32 v0, v0, v2, vcc
	v_lshlrev_b32_e32 v2, 24, v5
	v_bfrev_b32_e32 v5, 60
	v_lshlrev_b32_e32 v0, 20, v0
	v_and_b32_e32 v2, 0x80000000, v2
	v_lshl_add_u32 v3, v3, 23, v5
	v_or3_b32 v3, v2, v3, v0
.LBB2_2208:                             ;   in Loop: Header=BB2_2057 Depth=2
	s_or_b64 exec, exec, s[62:63]
.LBB2_2209:                             ;   in Loop: Header=BB2_2057 Depth=2
	s_or_b64 exec, exec, s[22:23]
.LBB2_2210:                             ;   in Loop: Header=BB2_2057 Depth=2
	s_or_b64 exec, exec, s[24:25]
	v_and_b32_e32 v2, 0xff, v4
	v_cmp_ne_u16_e32 vcc, 0, v2
	s_and_saveexec_b64 s[22:23], vcc
	s_cbranch_execz .LBB2_2216
; %bb.2211:                             ;   in Loop: Header=BB2_2057 Depth=2
	v_cmp_ne_u16_e32 vcc, s74, v2
	v_bfrev_b32_e32 v16, 1
	s_and_saveexec_b64 s[24:25], vcc
	s_cbranch_execz .LBB2_2215
; %bb.2212:                             ;   in Loop: Header=BB2_2057 Depth=2
	v_and_b32_e32 v5, 0x7f, v4
	v_cmp_ne_u32_e32 vcc, s75, v5
	v_mov_b32_e32 v16, 0x7f800001
	s_and_saveexec_b64 s[62:63], vcc
	s_cbranch_execz .LBB2_2214
; %bb.2213:                             ;   in Loop: Header=BB2_2057 Depth=2
	v_and_b32_e32 v0, 7, v2
	v_ffbh_u32_e32 v24, v0
	v_min_u32_e32 v24, 32, v24
	v_subrev_u32_e32 v26, 28, v24
	v_lshlrev_b64 v[26:27], v26, v[2:3]
	v_lshrrev_b32_e32 v16, 3, v5
	v_sub_u32_e32 v2, 29, v24
	v_and_b32_e32 v24, 7, v26
	v_cmp_gt_u32_e32 vcc, 8, v5
	v_cndmask_b32_e32 v2, v16, v2, vcc
	v_cndmask_b32_e32 v0, v0, v24, vcc
	v_lshlrev_b32_e32 v4, 24, v4
	v_bfrev_b32_e32 v5, 60
	v_lshlrev_b32_e32 v0, 20, v0
	v_and_b32_e32 v4, 0x80000000, v4
	v_lshl_add_u32 v2, v2, 23, v5
	v_or3_b32 v16, v4, v2, v0
.LBB2_2214:                             ;   in Loop: Header=BB2_2057 Depth=2
	s_or_b64 exec, exec, s[62:63]
.LBB2_2215:                             ;   in Loop: Header=BB2_2057 Depth=2
	s_or_b64 exec, exec, s[24:25]
.LBB2_2216:                             ;   in Loop: Header=BB2_2057 Depth=2
	s_or_b64 exec, exec, s[22:23]
	v_max_f32_e32 v0, v16, v16
	v_max_f32_e32 v2, v3, v3
	v_min_f32_e32 v16, v2, v0
.LBB2_2217:                             ;   in Loop: Header=BB2_2057 Depth=2
	v_and_b32_sdwa v4, v16, s74 dst_sel:DWORD dst_unused:UNUSED_PAD src0_sel:BYTE_3 src1_sel:DWORD
	v_and_b32_e32 v26, 0x7f800000, v16
	v_mov_b32_e32 v27, v55
	v_and_b32_e32 v54, 0x7fffff, v16
	v_or_b32_e32 v3, 0x7e, v4
	v_cmp_ne_u64_e32 vcc, s[44:45], v[26:27]
	s_and_saveexec_b64 s[22:23], vcc
	s_xor_b64 s[24:25], exec, s[22:23]
	s_cbranch_execz .LBB2_2231
; %bb.2218:                             ;   in Loop: Header=BB2_2057 Depth=2
	v_and_b32_e32 v26, 0x7fffffff, v16
	v_mov_b32_e32 v27, v55
	v_cmp_gt_u64_e32 vcc, s[46:47], v[26:27]
	s_and_saveexec_b64 s[22:23], vcc
	s_xor_b64 s[62:63], exec, s[22:23]
	s_cbranch_execz .LBB2_2230
; %bb.2219:                             ;   in Loop: Header=BB2_2057 Depth=2
	v_cmp_ne_u32_e32 vcc, 0, v16
	v_mov_b32_e32 v3, 0
	s_and_saveexec_b64 s[64:65], vcc
	s_cbranch_execz .LBB2_2229
; %bb.2220:                             ;   in Loop: Header=BB2_2057 Depth=2
	v_bfe_u32 v0, v16, 23, 8
	v_sub_u32_e32 v3, 0x79, v0
	v_cmp_gt_u32_e32 vcc, s77, v0
	v_add_u32_e32 v2, 0xffffff81, v0
	v_cndmask_b32_e32 v3, 0, v3, vcc
	v_cmp_eq_u32_e32 vcc, 0, v0
	v_mov_b32_e32 v0, 0xffffff82
	v_cndmask_b32_e32 v0, v2, v0, vcc
	v_mov_b32_e32 v2, 0x78
	v_or_b32_e32 v5, 0x800000, v54
	v_cndmask_b32_e32 v16, v3, v2, vcc
	v_cndmask_b32_e32 v54, v5, v54, vcc
	v_add_u32_e32 v2, 20, v16
	v_lshlrev_b64 v[2:3], v2, -1
	v_add_u32_e32 v5, 19, v16
	v_lshrrev_b64 v[28:29], v16, v[54:55]
	v_not_b32_e32 v3, v3
	v_not_b32_e32 v2, v2
	v_lshlrev_b64 v[26:27], v5, 1
	v_lshrrev_b32_e32 v5, 23, v28
	v_and_b32_e32 v3, 0, v3
	v_and_b32_e32 v2, v54, v2
	v_add3_u32 v24, v16, v0, v5
	v_bfe_u32 v0, v28, 20, 1
	v_add_u32_e32 v0, -1, v0
	v_cmp_eq_u64_e32 vcc, v[2:3], v[26:27]
	v_cndmask_b32_e32 v0, 0, v0, vcc
	v_add_u32_e32 v0, v0, v28
	v_and_b32_e32 v0, 0xfffff, v0
	v_add_co_u32_e32 v2, vcc, v0, v28
	v_add_u32_e32 v16, 6, v24
	v_addc_co_u32_e32 v3, vcc, 0, v29, vcc
	v_cmp_ne_u32_e32 vcc, 0, v16
                                        ; implicit-def: $vgpr5
	s_and_saveexec_b64 s[22:23], vcc
	s_xor_b64 s[22:23], exec, s[22:23]
; %bb.2221:                             ;   in Loop: Header=BB2_2057 Depth=2
	v_add_u32_e32 v0, 7, v24
	v_cmp_lt_u64_e32 vcc, s[50:51], v[2:3]
	v_cndmask_b32_e32 v5, v16, v0, vcc
	v_cndmask_b32_e64 v0, 0, 1, vcc
	v_lshrrev_b64 v[2:3], v0, v[2:3]
; %bb.2222:                             ;   in Loop: Header=BB2_2057 Depth=2
	s_andn2_saveexec_b64 s[22:23], s[22:23]
; %bb.2223:                             ;   in Loop: Header=BB2_2057 Depth=2
	v_bfe_u32 v5, v2, 23, 1
; %bb.2224:                             ;   in Loop: Header=BB2_2057 Depth=2
	s_or_b64 exec, exec, s[22:23]
	v_lshrrev_b64 v[2:3], 20, v[2:3]
	v_cmp_gt_i32_e32 vcc, 16, v5
	v_cndmask_b32_e32 v3, 0, v3, vcc
	v_cndmask_b32_e32 v2, 7, v2, vcc
	v_cmp_ne_u32_e32 vcc, 0, v5
	v_cmp_ne_u64_e64 s[22:23], 0, v[2:3]
	s_or_b64 s[22:23], vcc, s[22:23]
                                        ; implicit-def: $vgpr3
	s_and_saveexec_b64 vcc, s[22:23]
	s_xor_b64 s[22:23], exec, vcc
; %bb.2225:                             ;   in Loop: Header=BB2_2057 Depth=2
	v_min_i32_e32 v0, 15, v5
	v_lshl_or_b32 v0, v0, 3, v4
	v_and_or_b32 v3, v2, 7, v0
                                        ; implicit-def: $vgpr4
; %bb.2226:                             ;   in Loop: Header=BB2_2057 Depth=2
	s_andn2_saveexec_b64 s[22:23], s[22:23]
; %bb.2227:                             ;   in Loop: Header=BB2_2057 Depth=2
	v_mov_b32_e32 v3, v4
; %bb.2228:                             ;   in Loop: Header=BB2_2057 Depth=2
	s_or_b64 exec, exec, s[22:23]
.LBB2_2229:                             ;   in Loop: Header=BB2_2057 Depth=2
	s_or_b64 exec, exec, s[64:65]
.LBB2_2230:                             ;   in Loop: Header=BB2_2057 Depth=2
	s_andn2_saveexec_b64 s[22:23], s[62:63]
	s_or_b64 exec, exec, s[22:23]
                                        ; implicit-def: $vgpr16
.LBB2_2231:                             ;   in Loop: Header=BB2_2057 Depth=2
	s_andn2_saveexec_b64 s[22:23], s[24:25]
	s_cbranch_execz .LBB2_2056
; %bb.2232:                             ;   in Loop: Header=BB2_2057 Depth=2
	v_or_b32_sdwa v0, v16, s75 dst_sel:DWORD dst_unused:UNUSED_PAD src0_sel:BYTE_3 src1_sel:DWORD
	v_cmp_eq_u64_e32 vcc, 0, v[54:55]
	v_cndmask_b32_e32 v3, v0, v3, vcc
	s_branch .LBB2_2056
.LBB2_2233:                             ;   in Loop: Header=BB2_49 Depth=1
	s_or_b64 exec, exec, s[58:59]
.LBB2_2234:                             ;   in Loop: Header=BB2_49 Depth=1
	s_or_b64 exec, exec, s[26:27]
	v_lshlrev_b32_e32 v2, 8, v21
	v_cmp_ne_u32_e32 vcc, v18, v2
	s_and_b64 exec, exec, vcc
	s_cbranch_execz .LBB2_2282
; %bb.2235:                             ;   in Loop: Header=BB2_49 Depth=1
	v_add_u32_e32 v0, v19, v20
	v_and_b32_e32 v0, 0xffffffc0, v0
	v_sub_u32_e32 v0, v19, v0
	v_lshlrev_b32_e32 v1, 6, v1
	v_sub_u32_e32 v0, v0, v1
	v_add_u32_e32 v2, v2, v0
	v_sub_u32_e32 v1, v18, v2
	v_cmp_lt_i32_e32 vcc, 0, v1
	s_and_b64 exec, exec, vcc
	s_cbranch_execz .LBB2_2282
; %bb.2236:                             ;   in Loop: Header=BB2_49 Depth=1
	s_trap 2
	ds_read_b128 v[10:13], v0
	v_add_u32_e32 v0, v2, v17
	ds_read_b64 v[4:5], v0
	v_ashrrev_i32_e32 v14, 31, v0
	s_bitcmp1_b32 s68, 0
	s_waitcnt lgkmcnt(0)
	v_add_co_u32_e32 v2, vcc, v10, v0
	v_addc_co_u32_e32 v3, vcc, v11, v14, vcc
	v_add_co_u32_e32 v10, vcc, v12, v0
	v_addc_co_u32_e32 v11, vcc, v13, v14, vcc
	;; [unrolled: 2-line block ×3, first 2 shown]
	s_mov_b64 s[58:59], 0
	s_cselect_b64 s[60:61], -1, 0
	s_branch .LBB2_2238
.LBB2_2237:                             ;   in Loop: Header=BB2_2238 Depth=2
	s_or_b64 exec, exec, s[22:23]
	v_accvgpr_read_b32 v0, a34
	flat_store_byte v[12:13], v5 glc slc
	v_add_co_u32_e32 v2, vcc, v2, v0
	v_accvgpr_read_b32 v5, a35
	v_addc_co_u32_e32 v3, vcc, v3, v5, vcc
	v_add_co_u32_e32 v10, vcc, v10, v0
	v_addc_co_u32_e32 v11, vcc, v11, v5, vcc
	v_sub_u32_e32 v1, v1, v0
	v_cmp_gt_i32_e32 vcc, 1, v1
	s_or_b64 s[58:59], vcc, s[58:59]
	v_add_co_u32_e32 v12, vcc, v12, v0
	v_addc_co_u32_e32 v13, vcc, v13, v5, vcc
	s_andn2_b64 exec, exec, s[58:59]
	s_cbranch_execz .LBB2_2282
.LBB2_2238:                             ;   Parent Loop BB2_49 Depth=1
                                        ; =>  This Inner Loop Header: Depth=2
	flat_load_ubyte v5, v[10:11] glc slc
	flat_load_ubyte v15, v[2:3] glc slc
	s_and_b64 vcc, exec, s[60:61]
	s_waitcnt vmcnt(0) lgkmcnt(0)
	v_cmp_ne_u16_e64 s[24:25], 0, v5
	v_cmp_ne_u16_e64 s[22:23], s74, v5
	v_and_b32_sdwa v4, sext(v5), s76 dst_sel:DWORD dst_unused:UNUSED_PAD src0_sel:BYTE_0 src1_sel:DWORD
	v_cmp_ne_u16_e64 s[26:27], 0, v15
	s_cbranch_vccz .LBB2_2252
; %bb.2239:                             ;   in Loop: Header=BB2_2238 Depth=2
	v_mov_b32_e32 v16, 0
	v_mov_b32_e32 v17, 0
	s_and_saveexec_b64 s[62:63], s[26:27]
	s_cbranch_execz .LBB2_2245
; %bb.2240:                             ;   in Loop: Header=BB2_2238 Depth=2
	v_cmp_ne_u16_e32 vcc, s74, v15
	v_bfrev_b32_e32 v17, 1
	s_and_saveexec_b64 s[64:65], vcc
	s_cbranch_execz .LBB2_2244
; %bb.2241:                             ;   in Loop: Header=BB2_2238 Depth=2
	v_and_b32_e32 v14, 0xffff, v15
	v_and_b32_e32 v18, 0x7f, v14
	v_cmp_ne_u32_e32 vcc, s75, v18
	v_mov_b32_e32 v17, 0x7f800001
	s_and_saveexec_b64 s[66:67], vcc
	s_cbranch_execz .LBB2_2243
; %bb.2242:                             ;   in Loop: Header=BB2_2238 Depth=2
	v_and_b32_e32 v0, 7, v14
	v_ffbh_u32_e32 v19, v0
	v_min_u32_e32 v19, 32, v19
	v_subrev_u32_e32 v20, 28, v19
	v_lshlrev_b64 v[20:21], v20, v[14:15]
	v_lshrrev_b32_e32 v17, 3, v18
	v_sub_u32_e32 v14, 29, v19
	v_and_b32_e32 v19, 7, v20
	v_cmp_gt_u32_e32 vcc, 8, v18
	v_cndmask_b32_e32 v14, v17, v14, vcc
	v_cndmask_b32_e32 v0, v0, v19, vcc
	v_lshlrev_b32_e32 v17, 24, v15
	v_bfrev_b32_e32 v18, 60
	v_lshlrev_b32_e32 v0, 20, v0
	v_and_b32_e32 v17, 0x80000000, v17
	v_lshl_add_u32 v14, v14, 23, v18
	v_or3_b32 v17, v17, v14, v0
.LBB2_2243:                             ;   in Loop: Header=BB2_2238 Depth=2
	s_or_b64 exec, exec, s[66:67]
.LBB2_2244:                             ;   in Loop: Header=BB2_2238 Depth=2
	s_or_b64 exec, exec, s[64:65]
.LBB2_2245:                             ;   in Loop: Header=BB2_2238 Depth=2
	s_or_b64 exec, exec, s[62:63]
	s_and_saveexec_b64 s[62:63], s[24:25]
	s_cbranch_execz .LBB2_2251
; %bb.2246:                             ;   in Loop: Header=BB2_2238 Depth=2
	v_bfrev_b32_e32 v16, 1
	s_and_saveexec_b64 s[64:65], s[22:23]
	s_cbranch_execz .LBB2_2250
; %bb.2247:                             ;   in Loop: Header=BB2_2238 Depth=2
	v_and_b32_e32 v14, 0xffff, v5
	v_and_b32_e32 v18, 0x7f, v14
	v_cmp_ne_u32_e32 vcc, s75, v18
	v_mov_b32_e32 v16, 0x7f800001
	s_and_saveexec_b64 s[66:67], vcc
	s_cbranch_execz .LBB2_2249
; %bb.2248:                             ;   in Loop: Header=BB2_2238 Depth=2
	v_and_b32_e32 v0, 7, v14
	v_ffbh_u32_e32 v19, v0
	v_min_u32_e32 v19, 32, v19
	v_subrev_u32_e32 v20, 28, v19
	v_lshlrev_b64 v[20:21], v20, v[14:15]
	v_sub_u32_e32 v14, 29, v19
	v_and_b32_e32 v19, 7, v20
	v_cmp_gt_u32_e32 vcc, 8, v18
	v_lshrrev_b32_e32 v16, 3, v18
	v_cndmask_b32_e32 v0, v0, v19, vcc
	v_cndmask_b32_e32 v14, v16, v14, vcc
	v_lshlrev_b32_e32 v0, 20, v0
	v_lshl_or_b32 v0, v14, 23, v0
	v_add_u32_e32 v0, 0x3c000000, v0
	v_or_b32_e32 v16, v0, v4
.LBB2_2249:                             ;   in Loop: Header=BB2_2238 Depth=2
	s_or_b64 exec, exec, s[66:67]
.LBB2_2250:                             ;   in Loop: Header=BB2_2238 Depth=2
	s_or_b64 exec, exec, s[64:65]
.LBB2_2251:                             ;   in Loop: Header=BB2_2238 Depth=2
	s_or_b64 exec, exec, s[62:63]
	v_max_f32_e32 v0, v16, v16
	v_max_f32_e32 v14, v17, v17
	;; [unrolled: 1-line block ×3, first 2 shown]
	s_branch .LBB2_2266
.LBB2_2252:                             ;   in Loop: Header=BB2_2238 Depth=2
                                        ; implicit-def: $vgpr14
	s_cbranch_execz .LBB2_2266
; %bb.2253:                             ;   in Loop: Header=BB2_2238 Depth=2
	v_mov_b32_e32 v16, 0
	v_mov_b32_e32 v17, 0
	s_and_saveexec_b64 s[62:63], s[26:27]
	s_cbranch_execz .LBB2_2259
; %bb.2254:                             ;   in Loop: Header=BB2_2238 Depth=2
	v_cmp_ne_u16_e32 vcc, s74, v15
	v_bfrev_b32_e32 v17, 1
	s_and_saveexec_b64 s[26:27], vcc
	s_cbranch_execz .LBB2_2258
; %bb.2255:                             ;   in Loop: Header=BB2_2238 Depth=2
	v_and_b32_e32 v14, 0xffff, v15
	v_and_b32_e32 v18, 0x7f, v14
	v_cmp_ne_u32_e32 vcc, s75, v18
	v_mov_b32_e32 v17, 0x7f800001
	s_and_saveexec_b64 s[64:65], vcc
	s_cbranch_execz .LBB2_2257
; %bb.2256:                             ;   in Loop: Header=BB2_2238 Depth=2
	v_and_b32_e32 v0, 7, v14
	v_ffbh_u32_e32 v19, v0
	v_min_u32_e32 v19, 32, v19
	v_subrev_u32_e32 v20, 28, v19
	v_lshlrev_b64 v[20:21], v20, v[14:15]
	v_lshrrev_b32_e32 v17, 3, v18
	v_sub_u32_e32 v14, 29, v19
	v_and_b32_e32 v19, 7, v20
	v_cmp_gt_u32_e32 vcc, 8, v18
	v_cndmask_b32_e32 v14, v17, v14, vcc
	v_cndmask_b32_e32 v0, v0, v19, vcc
	v_lshlrev_b32_e32 v15, 24, v15
	v_bfrev_b32_e32 v17, 60
	v_lshlrev_b32_e32 v0, 20, v0
	v_and_b32_e32 v15, 0x80000000, v15
	v_lshl_add_u32 v14, v14, 23, v17
	v_or3_b32 v17, v15, v14, v0
.LBB2_2257:                             ;   in Loop: Header=BB2_2238 Depth=2
	s_or_b64 exec, exec, s[64:65]
.LBB2_2258:                             ;   in Loop: Header=BB2_2238 Depth=2
	s_or_b64 exec, exec, s[26:27]
.LBB2_2259:                             ;   in Loop: Header=BB2_2238 Depth=2
	s_or_b64 exec, exec, s[62:63]
	s_and_saveexec_b64 s[26:27], s[24:25]
	s_cbranch_execz .LBB2_2265
; %bb.2260:                             ;   in Loop: Header=BB2_2238 Depth=2
	v_bfrev_b32_e32 v16, 1
	s_and_saveexec_b64 s[24:25], s[22:23]
	s_cbranch_execz .LBB2_2264
; %bb.2261:                             ;   in Loop: Header=BB2_2238 Depth=2
	v_and_b32_e32 v14, 0xffff, v5
	v_and_b32_e32 v5, 0x7f, v14
	v_cmp_ne_u32_e32 vcc, s75, v5
	v_mov_b32_e32 v16, 0x7f800001
	s_and_saveexec_b64 s[22:23], vcc
	s_cbranch_execz .LBB2_2263
; %bb.2262:                             ;   in Loop: Header=BB2_2238 Depth=2
	v_and_b32_e32 v0, 7, v14
	v_ffbh_u32_e32 v15, v0
	v_min_u32_e32 v18, 32, v15
	v_subrev_u32_e32 v15, 28, v18
	v_lshlrev_b64 v[14:15], v15, v[14:15]
	v_and_b32_e32 v14, 7, v14
	v_cmp_gt_u32_e32 vcc, 8, v5
	v_lshrrev_b32_e32 v16, 3, v5
	v_sub_u32_e32 v15, 29, v18
	v_cndmask_b32_e32 v0, v0, v14, vcc
	v_cndmask_b32_e32 v5, v16, v15, vcc
	v_lshlrev_b32_e32 v0, 20, v0
	v_lshl_or_b32 v0, v5, 23, v0
	v_add_u32_e32 v0, 0x3c000000, v0
	v_or_b32_e32 v16, v0, v4
.LBB2_2263:                             ;   in Loop: Header=BB2_2238 Depth=2
	s_or_b64 exec, exec, s[22:23]
.LBB2_2264:                             ;   in Loop: Header=BB2_2238 Depth=2
	s_or_b64 exec, exec, s[24:25]
.LBB2_2265:                             ;   in Loop: Header=BB2_2238 Depth=2
	s_or_b64 exec, exec, s[26:27]
	v_max_f32_e32 v0, v16, v16
	v_max_f32_e32 v4, v17, v17
	v_min_f32_e32 v14, v4, v0
.LBB2_2266:                             ;   in Loop: Header=BB2_2238 Depth=2
	v_and_b32_sdwa v4, v14, s74 dst_sel:DWORD dst_unused:UNUSED_PAD src0_sel:BYTE_3 src1_sel:DWORD
	v_and_b32_e32 v16, 0x7f800000, v14
	v_mov_b32_e32 v17, v55
	v_and_b32_e32 v54, 0x7fffff, v14
	v_or_b32_e32 v5, 0x7e, v4
	v_cmp_ne_u64_e32 vcc, s[44:45], v[16:17]
	s_and_saveexec_b64 s[22:23], vcc
	s_xor_b64 s[24:25], exec, s[22:23]
	s_cbranch_execz .LBB2_2280
; %bb.2267:                             ;   in Loop: Header=BB2_2238 Depth=2
	v_and_b32_e32 v16, 0x7fffffff, v14
	v_mov_b32_e32 v17, v55
	v_cmp_gt_u64_e32 vcc, s[46:47], v[16:17]
	s_and_saveexec_b64 s[22:23], vcc
	s_xor_b64 s[26:27], exec, s[22:23]
	s_cbranch_execz .LBB2_2279
; %bb.2268:                             ;   in Loop: Header=BB2_2238 Depth=2
	v_cmp_ne_u32_e32 vcc, 0, v14
	v_mov_b32_e32 v5, 0
	s_and_saveexec_b64 s[62:63], vcc
	s_cbranch_execz .LBB2_2278
; %bb.2269:                             ;   in Loop: Header=BB2_2238 Depth=2
	v_bfe_u32 v0, v14, 23, 8
	v_sub_u32_e32 v14, 0x79, v0
	v_cmp_gt_u32_e32 vcc, s77, v0
	v_add_u32_e32 v5, 0xffffff81, v0
	v_cndmask_b32_e32 v14, 0, v14, vcc
	v_cmp_eq_u32_e32 vcc, 0, v0
	v_mov_b32_e32 v0, 0xffffff82
	v_cndmask_b32_e32 v0, v5, v0, vcc
	v_mov_b32_e32 v5, 0x78
	v_or_b32_e32 v15, 0x800000, v54
	v_cndmask_b32_e32 v5, v14, v5, vcc
	v_cndmask_b32_e32 v54, v15, v54, vcc
	v_add_u32_e32 v14, 20, v5
	v_lshlrev_b64 v[14:15], v14, -1
	v_add_u32_e32 v16, 19, v5
	v_lshrrev_b64 v[20:21], v5, v[54:55]
	v_not_b32_e32 v15, v15
	v_not_b32_e32 v14, v14
	v_lshlrev_b64 v[18:19], v16, 1
	v_lshrrev_b32_e32 v16, 23, v20
	v_and_b32_e32 v15, 0, v15
	v_and_b32_e32 v14, v54, v14
	v_add3_u32 v17, v5, v0, v16
	v_bfe_u32 v0, v20, 20, 1
	v_add_u32_e32 v0, -1, v0
	v_cmp_eq_u64_e32 vcc, v[14:15], v[18:19]
	v_cndmask_b32_e32 v0, 0, v0, vcc
	v_add_u32_e32 v0, v0, v20
	v_and_b32_e32 v0, 0xfffff, v0
	v_add_co_u32_e32 v14, vcc, v0, v20
	v_add_u32_e32 v5, 6, v17
	v_addc_co_u32_e32 v15, vcc, 0, v21, vcc
	v_cmp_ne_u32_e32 vcc, 0, v5
                                        ; implicit-def: $vgpr16
	s_and_saveexec_b64 s[22:23], vcc
	s_xor_b64 s[22:23], exec, s[22:23]
; %bb.2270:                             ;   in Loop: Header=BB2_2238 Depth=2
	v_add_u32_e32 v0, 7, v17
	v_cmp_lt_u64_e32 vcc, s[50:51], v[14:15]
	v_cndmask_b32_e32 v16, v5, v0, vcc
	v_cndmask_b32_e64 v0, 0, 1, vcc
	v_lshrrev_b64 v[14:15], v0, v[14:15]
; %bb.2271:                             ;   in Loop: Header=BB2_2238 Depth=2
	s_andn2_saveexec_b64 s[22:23], s[22:23]
; %bb.2272:                             ;   in Loop: Header=BB2_2238 Depth=2
	v_bfe_u32 v16, v14, 23, 1
; %bb.2273:                             ;   in Loop: Header=BB2_2238 Depth=2
	s_or_b64 exec, exec, s[22:23]
	v_lshrrev_b64 v[14:15], 20, v[14:15]
	v_cmp_gt_i32_e32 vcc, 16, v16
	v_cndmask_b32_e32 v15, 0, v15, vcc
	v_cndmask_b32_e32 v14, 7, v14, vcc
	v_cmp_ne_u32_e32 vcc, 0, v16
	v_cmp_ne_u64_e64 s[22:23], 0, v[14:15]
	s_or_b64 s[22:23], vcc, s[22:23]
                                        ; implicit-def: $vgpr5
	s_and_saveexec_b64 vcc, s[22:23]
	s_xor_b64 s[22:23], exec, vcc
; %bb.2274:                             ;   in Loop: Header=BB2_2238 Depth=2
	v_min_i32_e32 v0, 15, v16
	v_lshl_or_b32 v0, v0, 3, v4
	v_and_or_b32 v5, v14, 7, v0
                                        ; implicit-def: $vgpr4
; %bb.2275:                             ;   in Loop: Header=BB2_2238 Depth=2
	s_andn2_saveexec_b64 s[22:23], s[22:23]
; %bb.2276:                             ;   in Loop: Header=BB2_2238 Depth=2
	v_mov_b32_e32 v5, v4
; %bb.2277:                             ;   in Loop: Header=BB2_2238 Depth=2
	s_or_b64 exec, exec, s[22:23]
.LBB2_2278:                             ;   in Loop: Header=BB2_2238 Depth=2
	s_or_b64 exec, exec, s[62:63]
.LBB2_2279:                             ;   in Loop: Header=BB2_2238 Depth=2
	s_andn2_saveexec_b64 s[22:23], s[26:27]
	s_or_b64 exec, exec, s[22:23]
                                        ; implicit-def: $vgpr14
.LBB2_2280:                             ;   in Loop: Header=BB2_2238 Depth=2
	s_andn2_saveexec_b64 s[22:23], s[24:25]
	s_cbranch_execz .LBB2_2237
; %bb.2281:                             ;   in Loop: Header=BB2_2238 Depth=2
	v_or_b32_sdwa v0, v14, s75 dst_sel:DWORD dst_unused:UNUSED_PAD src0_sel:BYTE_3 src1_sel:DWORD
	v_cmp_eq_u64_e32 vcc, 0, v[54:55]
	v_cndmask_b32_e32 v5, v0, v5, vcc
	s_branch .LBB2_2237
.LBB2_2282:                             ;   in Loop: Header=BB2_49 Depth=1
	s_or_b64 exec, exec, s[56:57]
	v_cmp_ne_u32_e64 s[22:23], 0, v50
	v_accvgpr_read_b32 v14, a36
	v_accvgpr_read_b32 v16, a38
.LBB2_2283:                             ;   in Loop: Header=BB2_49 Depth=1
	s_and_saveexec_b64 s[24:25], s[12:13]
	s_cbranch_execz .LBB2_2302
; %bb.2284:                             ;   in Loop: Header=BB2_49 Depth=1
	s_and_saveexec_b64 s[26:27], s[38:39]
	s_xor_b64 s[26:27], exec, s[26:27]
	s_cbranch_execz .LBB2_2299
; %bb.2285:                             ;   in Loop: Header=BB2_49 Depth=1
	s_and_saveexec_b64 s[56:57], s[14:15]
	s_cbranch_execz .LBB2_2298
; %bb.2286:                             ;   in Loop: Header=BB2_49 Depth=1
	s_mov_b64 s[60:61], exec
	v_mbcnt_lo_u32_b32 v0, s60, 0
	v_mbcnt_hi_u32_b32 v0, s61, v0
	v_cmp_eq_u32_e32 vcc, 0, v0
	s_waitcnt vmcnt(0) lgkmcnt(0)
	buffer_wbinvl1_vol
	s_and_saveexec_b64 s[58:59], vcc
	s_cbranch_execz .LBB2_2288
; %bb.2287:                             ;   in Loop: Header=BB2_49 Depth=1
	s_bcnt1_i32_b64 vcc_lo, s[60:61]
	v_mov_b32_e32 v54, vcc_lo
	ds_add_u64 v0, v[54:55]
	s_trap 2
.LBB2_2288:                             ;   in Loop: Header=BB2_49 Depth=1
	s_or_b64 exec, exec, s[58:59]
	s_trap 2
	ds_read_b64 v[0:1], v0
	v_accvgpr_read_b32 v2, a16
	v_accvgpr_read_b32 v3, a17
	v_add_co_u32_e32 v2, vcc, v2, v60
	v_addc_co_u32_e32 v3, vcc, 0, v3, vcc
	v_accvgpr_write_b32 a17, v3
	v_accvgpr_write_b32 a16, v2
	s_waitcnt lgkmcnt(0)
	v_cmp_lt_u64_e32 vcc, v[0:1], v[2:3]
	s_and_saveexec_b64 s[58:59], vcc
	s_cbranch_execz .LBB2_2297
; %bb.2289:                             ;   in Loop: Header=BB2_49 Depth=1
	s_mov_b32 s79, 0
	s_mov_b64 s[60:61], 0
                                        ; implicit-def: $sgpr62_sgpr63
                                        ; implicit-def: $sgpr64_sgpr65
	s_branch .LBB2_2291
.LBB2_2290:                             ;   in Loop: Header=BB2_2291 Depth=2
	s_or_b64 exec, exec, s[68:69]
	s_and_b64 vcc, exec, vcc
	s_or_b64 s[60:61], vcc, s[60:61]
	s_andn2_b64 vcc, s[62:63], exec
	s_and_b64 s[62:63], s[64:65], exec
	s_or_b64 s[62:63], vcc, s[62:63]
	s_andn2_b64 exec, exec, s[60:61]
	s_cbranch_execz .LBB2_2295
.LBB2_2291:                             ;   Parent Loop BB2_49 Depth=1
                                        ; =>  This Inner Loop Header: Depth=2
	s_add_i32 s79, s79, 1
	s_cmpk_lg_i32 s79, 0x2710
	s_cselect_b64 s[66:67], -1, 0
	s_and_b64 vcc, exec, s[66:67]
                                        ; implicit-def: $sgpr68_sgpr69
	s_cbranch_vccnz .LBB2_2293
; %bb.2292:                             ;   in Loop: Header=BB2_2291 Depth=2
	s_trap 2
	ds_read_b64 v[0:1], v0
	s_andn2_b64 s[66:67], s[66:67], exec
	s_mov_b32 s79, 0
	s_mov_b64 s[68:69], -1
	s_waitcnt lgkmcnt(0)
	flat_load_dword v0, v[0:1] glc
	s_waitcnt vmcnt(0) lgkmcnt(0)
	buffer_invl2
	buffer_wbinvl1_vol
	v_cmp_eq_u32_e32 vcc, 0, v0
	s_and_b64 vcc, vcc, exec
	s_or_b64 s[66:67], s[66:67], vcc
.LBB2_2293:                             ;   in Loop: Header=BB2_2291 Depth=2
	s_andn2_b64 s[64:65], s[64:65], exec
	s_and_b64 s[68:69], s[68:69], exec
	s_mov_b64 vcc, -1
	s_or_b64 s[64:65], s[64:65], s[68:69]
	s_and_saveexec_b64 s[68:69], s[66:67]
	s_cbranch_execz .LBB2_2290
; %bb.2294:                             ;   in Loop: Header=BB2_2291 Depth=2
	s_sleep 1
	s_trap 2
	ds_read_b64 v[0:1], v0
	v_accvgpr_read_b32 v2, a16
	v_accvgpr_read_b32 v3, a17
	s_andn2_b64 s[64:65], s[64:65], exec
	s_waitcnt lgkmcnt(0)
	v_cmp_ge_u64_e32 vcc, v[0:1], v[2:3]
	s_orn2_b64 vcc, vcc, exec
	s_branch .LBB2_2290
.LBB2_2295:                             ;   in Loop: Header=BB2_49 Depth=1
	s_or_b64 exec, exec, s[60:61]
	s_and_saveexec_b64 vcc, s[62:63]
	s_xor_b64 vcc, exec, vcc
	s_cbranch_execz .LBB2_2297
; %bb.2296:                             ;   in Loop: Header=BB2_49 Depth=1
	ds_write_b32 v0, v49
	s_trap 2
.LBB2_2297:                             ;   in Loop: Header=BB2_49 Depth=1
	s_or_b64 exec, exec, s[58:59]
	;;#ASMSTART
	s_wakeup
	;;#ASMEND
.LBB2_2298:                             ;   in Loop: Header=BB2_49 Depth=1
	s_or_b64 exec, exec, s[56:57]
.LBB2_2299:                             ;   in Loop: Header=BB2_49 Depth=1
	s_andn2_saveexec_b64 s[26:27], s[26:27]
	s_cbranch_execz .LBB2_2301
; %bb.2300:                             ;   in Loop: Header=BB2_49 Depth=1
	s_waitcnt vmcnt(0) lgkmcnt(0)
	buffer_wbinvl1_vol
	s_barrier
.LBB2_2301:                             ;   in Loop: Header=BB2_49 Depth=1
	s_or_b64 exec, exec, s[26:27]
.LBB2_2302:                             ;   in Loop: Header=BB2_49 Depth=1
	s_or_b64 exec, exec, s[24:25]
	v_and_b32_e32 v1, 16, v62
	v_cmp_ne_u32_e32 vcc, 0, v1
	s_and_b64 s[24:25], vcc, s[22:23]
	s_and_saveexec_b64 s[22:23], s[24:25]
	s_cbranch_execz .LBB2_2304
; %bb.2303:                             ;   in Loop: Header=BB2_49 Depth=1
	s_waitcnt vmcnt(0) lgkmcnt(0)
	buffer_wbinvl1_vol
.LBB2_2304:                             ;   in Loop: Header=BB2_49 Depth=1
	s_or_b64 exec, exec, s[22:23]
	v_cmp_ne_u32_e32 vcc, 0, v1
	s_xor_b64 s[22:23], s[20:21], -1
	s_and_b64 s[24:25], vcc, s[22:23]
	s_and_saveexec_b64 s[22:23], s[24:25]
	s_cbranch_execz .LBB2_2306
; %bb.2305:                             ;   in Loop: Header=BB2_49 Depth=1
	flat_store_dword v[42:43], v49
.LBB2_2306:                             ;   in Loop: Header=BB2_49 Depth=1
	s_or_b64 exec, exec, s[22:23]
	v_and_b32_e32 v0, 48, v62
	v_cmp_ne_u32_e32 vcc, 0, v0
	s_and_saveexec_b64 s[22:23], vcc
	s_cbranch_execz .LBB2_2308
; %bb.2307:                             ;   in Loop: Header=BB2_49 Depth=1
	v_add_co_u32_e32 v8, vcc, 1, v8
	v_addc_co_u32_e32 v9, vcc, 0, v9, vcc
	flat_store_dwordx2 v[32:33], v[8:9]
.LBB2_2308:                             ;   in Loop: Header=BB2_49 Depth=1
	s_or_b64 exec, exec, s[22:23]
	v_mov_b32_e32 v1, v16
.LBB2_2309:                             ;   in Loop: Header=BB2_49 Depth=1
	s_or_b64 exec, exec, s[54:55]
	s_and_saveexec_b64 s[24:25], s[52:53]
	s_cbranch_execz .LBB2_48
; %bb.2310:                             ;   in Loop: Header=BB2_49 Depth=1
	v_and_b32_e32 v0, 12, v62
	v_cmp_ne_u32_e32 vcc, 0, v0
	s_mov_b64 s[26:27], -1
	s_and_saveexec_b64 s[22:23], vcc
	s_cbranch_execz .LBB2_2322
; %bb.2311:                             ;   in Loop: Header=BB2_49 Depth=1
	v_and_b32_e32 v2, 8, v62
	v_add_co_u32_e32 v4, vcc, v36, v2
	v_addc_co_u32_e32 v5, vcc, 0, v37, vcc
	v_add_co_u32_e32 v10, vcc, 1, v8
	v_addc_co_u32_e32 v11, vcc, 0, v9, vcc
	v_cmp_lt_u64_e32 vcc, v[4:5], v[10:11]
	v_mov_b32_e32 v3, 1
	s_and_saveexec_b64 s[26:27], vcc
	s_cbranch_execz .LBB2_2321
; %bb.2312:                             ;   in Loop: Header=BB2_49 Depth=1
	s_mov_b64 s[52:53], 0
	v_mov_b32_e32 v3, 0
                                        ; implicit-def: $sgpr54_sgpr55
	s_branch .LBB2_2316
.LBB2_2313:                             ;   in Loop: Header=BB2_2316 Depth=2
	s_or_b64 exec, exec, s[62:63]
	v_mov_b32_e32 v4, 0
	s_orn2_b64 s[60:61], s[60:61], exec
.LBB2_2314:                             ;   in Loop: Header=BB2_2316 Depth=2
	s_or_b64 exec, exec, s[58:59]
	s_andn2_b64 vcc, s[54:55], exec
	s_and_b64 s[54:55], s[60:61], exec
	s_or_b64 s[54:55], vcc, s[54:55]
	v_mov_b32_e32 v3, v4
.LBB2_2315:                             ;   in Loop: Header=BB2_2316 Depth=2
	s_or_b64 exec, exec, s[56:57]
	s_waitcnt vmcnt(0) lgkmcnt(0)
	v_add_co_u32_e32 v4, vcc, v36, v2
	v_addc_co_u32_e32 v5, vcc, 0, v37, vcc
	v_cmp_ge_u64_e32 vcc, v[4:5], v[10:11]
	s_xor_b64 s[56:57], s[54:55], -1
	s_or_b64 vcc, s[56:57], vcc
	s_and_b64 vcc, exec, vcc
	s_or_b64 s[52:53], vcc, s[52:53]
	s_andn2_b64 exec, exec, s[52:53]
	s_cbranch_execz .LBB2_2320
.LBB2_2316:                             ;   Parent Loop BB2_49 Depth=1
                                        ; =>  This Inner Loop Header: Depth=2
	s_sleep 1
	flat_load_dwordx2 v[36:37], v[32:33] glc
	v_and_b32_e32 v0, 64, v62
	v_cmp_eq_u32_e32 vcc, 0, v0
	s_andn2_b64 s[54:55], s[54:55], exec
	s_and_saveexec_b64 s[56:57], vcc
	s_cbranch_execz .LBB2_2315
; %bb.2317:                             ;   in Loop: Header=BB2_2316 Depth=2
	v_add_u32_e32 v4, 1, v3
	v_cmp_lt_i32_e32 vcc, s72, v3
	s_mov_b64 s[60:61], -1
	s_and_saveexec_b64 s[58:59], vcc
	s_cbranch_execz .LBB2_2314
; %bb.2318:                             ;   in Loop: Header=BB2_2316 Depth=2
	s_trap 2
	ds_read_b64 v[4:5], v0
	s_waitcnt vmcnt(0) lgkmcnt(0)
	flat_load_dword v3, v[4:5] glc
	s_waitcnt vmcnt(0) lgkmcnt(0)
	buffer_invl2
	buffer_wbinvl1_vol
	v_cmp_ne_u32_e32 vcc, 0, v3
	s_and_saveexec_b64 s[62:63], vcc
	s_cbranch_execz .LBB2_2313
; %bb.2319:                             ;   in Loop: Header=BB2_2316 Depth=2
	v_or_b32_e32 v62, 64, v62
	s_xor_b64 s[60:61], exec, -1
	ds_write_b32 v0, v3
	s_trap 2
	s_branch .LBB2_2313
.LBB2_2320:                             ;   in Loop: Header=BB2_49 Depth=1
	s_or_b64 exec, exec, s[52:53]
	v_and_b32_e32 v3, 12, v62
.LBB2_2321:                             ;   in Loop: Header=BB2_49 Depth=1
	s_or_b64 exec, exec, s[26:27]
	v_cmp_eq_u32_e32 vcc, 0, v3
	s_orn2_b64 s[26:27], vcc, exec
	;;#ASMSTART
	s_wakeup
	;;#ASMEND
.LBB2_2322:                             ;   in Loop: Header=BB2_49 Depth=1
	s_or_b64 exec, exec, s[22:23]
	v_sub_u32_e32 v0, v14, v1
	s_xor_b64 s[22:23], s[26:27], -1
	v_min_i32_e32 v2, v16, v0
	s_and_saveexec_b64 s[26:27], s[22:23]
	s_cbranch_execz .LBB2_2334
; %bb.2323:                             ;   in Loop: Header=BB2_49 Depth=1
	v_and_b32_e32 v0, 0x108, v62
	v_cmp_ne_u32_e32 vcc, s73, v0
	v_and_b32_e32 v10, 7, v8
	s_and_saveexec_b64 s[22:23], vcc
	s_xor_b64 s[22:23], exec, s[22:23]
	s_andn2_saveexec_b64 s[22:23], s[22:23]
	s_cbranch_execz .LBB2_2325
; %bb.2324:                             ;   in Loop: Header=BB2_49 Depth=1
	v_mad_u64_u32 v[0:1], vcc, v10, 24, v[6:7]
	v_ashrrev_i32_e32 v3, 31, v2
	flat_store_dwordx2 v[0:1], v[2:3] offset:8
.LBB2_2325:                             ;   in Loop: Header=BB2_49 Depth=1
	s_or_b64 exec, exec, s[22:23]
	v_and_b32_e32 v0, 0x100, v62
	v_cmp_ne_u32_e32 vcc, 0, v0
	s_mov_b64 s[22:23], -1
                                        ; implicit-def: $vgpr12_vgpr13
	s_and_saveexec_b64 s[52:53], vcc
	s_cbranch_execz .LBB2_2329
; %bb.2326:                             ;   in Loop: Header=BB2_49 Depth=1
	v_mad_u64_u32 v[14:15], s[22:23], v10, 24, v[6:7]
	v_mov_b32_e32 v0, v15
	v_mad_u64_u32 v[0:1], s[22:23], v55, 24, v[0:1]
	v_mov_b32_e32 v15, v0
	flat_load_dword v0, v[14:15]
                                        ; implicit-def: $vgpr12_vgpr13
	s_waitcnt vmcnt(0) lgkmcnt(0)
	v_cmp_ne_u32_e32 vcc, 1, v0
	v_cmp_eq_u32_e64 s[22:23], 1, v0
	s_and_saveexec_b64 s[54:55], s[22:23]
	s_cbranch_execz .LBB2_2328
; %bb.2327:                             ;   in Loop: Header=BB2_49 Depth=1
	flat_load_dword v12, v[14:15] offset:4 glc
	s_waitcnt vmcnt(0) lgkmcnt(0)
	v_ashrrev_i32_e32 v13, 31, v12
.LBB2_2328:                             ;   in Loop: Header=BB2_49 Depth=1
	s_or_b64 exec, exec, s[54:55]
	s_orn2_b64 s[22:23], vcc, exec
.LBB2_2329:                             ;   in Loop: Header=BB2_49 Depth=1
	s_or_b64 exec, exec, s[52:53]
	s_and_saveexec_b64 vcc, s[22:23]
; %bb.2330:                             ;   in Loop: Header=BB2_49 Depth=1
	v_accvgpr_read_b32 v4, a12
	v_mul_lo_u32 v0, v55, v4
	v_mul_lo_u32 v1, v10, v59
	v_mad_u64_u32 v[12:13], s[22:23], v10, v4, 0
	v_add3_u32 v13, v13, v1, v0
; %bb.2331:                             ;   in Loop: Header=BB2_49 Depth=1
	s_or_b64 exec, exec, vcc
	v_accvgpr_read_b32 v0, a14
	v_accvgpr_read_b32 v1, a15
	v_add_co_u32_e32 v0, vcc, v0, v12
	v_addc_co_u32_e32 v1, vcc, v1, v13, vcc
	s_trap 2
	ds_write_b64 v0, v[0:1]
	v_and_b32_e32 v0, 0x2000, v62
	v_cmp_ne_u32_e32 vcc, 0, v0
	s_and_saveexec_b64 s[22:23], vcc
	s_cbranch_execz .LBB2_2333
; %bb.2332:                             ;   in Loop: Header=BB2_49 Depth=1
	ds_read_b64 v[0:1], v0 offset:584
	s_waitcnt lgkmcnt(0)
	v_add_co_u32_e32 v0, vcc, 1, v0
	v_addc_co_u32_e32 v1, vcc, 0, v1, vcc
	ds_write_b64 v0, v[0:1] offset:584
.LBB2_2333:                             ;   in Loop: Header=BB2_49 Depth=1
	s_or_b64 exec, exec, s[22:23]
	v_add_co_u32_e32 v8, vcc, 1, v8
	v_addc_co_u32_e32 v9, vcc, 0, v9, vcc
.LBB2_2334:                             ;   in Loop: Header=BB2_49 Depth=1
	s_or_b64 exec, exec, s[26:27]
	s_and_saveexec_b64 s[22:23], s[12:13]
	s_cbranch_execz .LBB2_2353
; %bb.2335:                             ;   in Loop: Header=BB2_49 Depth=1
	s_and_saveexec_b64 s[26:27], s[38:39]
	s_xor_b64 s[26:27], exec, s[26:27]
	s_cbranch_execz .LBB2_2350
; %bb.2336:                             ;   in Loop: Header=BB2_49 Depth=1
	s_and_saveexec_b64 s[52:53], s[14:15]
	s_cbranch_execz .LBB2_2349
; %bb.2337:                             ;   in Loop: Header=BB2_49 Depth=1
	s_mov_b64 s[56:57], exec
	v_mbcnt_lo_u32_b32 v0, s56, 0
	v_mbcnt_hi_u32_b32 v0, s57, v0
	v_cmp_eq_u32_e32 vcc, 0, v0
	s_waitcnt vmcnt(0) lgkmcnt(0)
	buffer_wbinvl1_vol
	s_and_saveexec_b64 s[54:55], vcc
	s_cbranch_execz .LBB2_2339
; %bb.2338:                             ;   in Loop: Header=BB2_49 Depth=1
	s_bcnt1_i32_b64 vcc_lo, s[56:57]
	v_mov_b32_e32 v54, vcc_lo
	ds_add_u64 v0, v[54:55]
	s_trap 2
.LBB2_2339:                             ;   in Loop: Header=BB2_49 Depth=1
	s_or_b64 exec, exec, s[54:55]
	s_trap 2
	ds_read_b64 v[0:1], v0
	v_accvgpr_read_b32 v4, a16
	v_accvgpr_read_b32 v5, a17
	v_add_co_u32_e32 v4, vcc, v4, v60
	v_addc_co_u32_e32 v5, vcc, 0, v5, vcc
	v_accvgpr_write_b32 a17, v5
	v_accvgpr_write_b32 a16, v4
	s_waitcnt lgkmcnt(0)
	v_cmp_lt_u64_e32 vcc, v[0:1], v[4:5]
	s_and_saveexec_b64 s[54:55], vcc
	s_cbranch_execz .LBB2_2348
; %bb.2340:                             ;   in Loop: Header=BB2_49 Depth=1
	s_mov_b32 s66, 0
	s_mov_b64 s[56:57], 0
                                        ; implicit-def: $sgpr58_sgpr59
                                        ; implicit-def: $sgpr60_sgpr61
	s_branch .LBB2_2342
.LBB2_2341:                             ;   in Loop: Header=BB2_2342 Depth=2
	s_or_b64 exec, exec, s[64:65]
	s_and_b64 vcc, exec, vcc
	s_or_b64 s[56:57], vcc, s[56:57]
	s_andn2_b64 vcc, s[58:59], exec
	s_and_b64 s[58:59], s[60:61], exec
	s_or_b64 s[58:59], vcc, s[58:59]
	s_andn2_b64 exec, exec, s[56:57]
	s_cbranch_execz .LBB2_2346
.LBB2_2342:                             ;   Parent Loop BB2_49 Depth=1
                                        ; =>  This Inner Loop Header: Depth=2
	s_add_i32 s66, s66, 1
	s_cmpk_lg_i32 s66, 0x2710
	s_cselect_b64 s[62:63], -1, 0
	s_and_b64 vcc, exec, s[62:63]
                                        ; implicit-def: $sgpr64_sgpr65
	s_cbranch_vccnz .LBB2_2344
; %bb.2343:                             ;   in Loop: Header=BB2_2342 Depth=2
	s_trap 2
	ds_read_b64 v[0:1], v0
	s_andn2_b64 s[62:63], s[62:63], exec
	s_mov_b32 s66, 0
	s_mov_b64 s[64:65], -1
	s_waitcnt lgkmcnt(0)
	flat_load_dword v0, v[0:1] glc
	s_waitcnt vmcnt(0) lgkmcnt(0)
	buffer_invl2
	buffer_wbinvl1_vol
	v_cmp_eq_u32_e32 vcc, 0, v0
	s_and_b64 vcc, vcc, exec
	s_or_b64 s[62:63], s[62:63], vcc
.LBB2_2344:                             ;   in Loop: Header=BB2_2342 Depth=2
	s_andn2_b64 s[60:61], s[60:61], exec
	s_and_b64 s[64:65], s[64:65], exec
	s_mov_b64 vcc, -1
	s_or_b64 s[60:61], s[60:61], s[64:65]
	s_and_saveexec_b64 s[64:65], s[62:63]
	s_cbranch_execz .LBB2_2341
; %bb.2345:                             ;   in Loop: Header=BB2_2342 Depth=2
	s_sleep 1
	s_trap 2
	ds_read_b64 v[0:1], v0
	v_accvgpr_read_b32 v4, a16
	v_accvgpr_read_b32 v5, a17
	s_andn2_b64 s[60:61], s[60:61], exec
	s_waitcnt lgkmcnt(0)
	v_cmp_ge_u64_e32 vcc, v[0:1], v[4:5]
	s_orn2_b64 vcc, vcc, exec
	s_branch .LBB2_2341
.LBB2_2346:                             ;   in Loop: Header=BB2_49 Depth=1
	s_or_b64 exec, exec, s[56:57]
	s_and_saveexec_b64 vcc, s[58:59]
	s_xor_b64 vcc, exec, vcc
	s_cbranch_execz .LBB2_2348
; %bb.2347:                             ;   in Loop: Header=BB2_49 Depth=1
	ds_write_b32 v0, v49
	s_trap 2
.LBB2_2348:                             ;   in Loop: Header=BB2_49 Depth=1
	s_or_b64 exec, exec, s[54:55]
	;;#ASMSTART
	s_wakeup
	;;#ASMEND
.LBB2_2349:                             ;   in Loop: Header=BB2_49 Depth=1
	s_or_b64 exec, exec, s[52:53]
.LBB2_2350:                             ;   in Loop: Header=BB2_49 Depth=1
	s_andn2_saveexec_b64 s[26:27], s[26:27]
	s_cbranch_execz .LBB2_2352
; %bb.2351:                             ;   in Loop: Header=BB2_49 Depth=1
	s_waitcnt vmcnt(0) lgkmcnt(0)
	buffer_wbinvl1_vol
	s_barrier
.LBB2_2352:                             ;   in Loop: Header=BB2_49 Depth=1
	s_or_b64 exec, exec, s[26:27]
.LBB2_2353:                             ;   in Loop: Header=BB2_49 Depth=1
	s_or_b64 exec, exec, s[22:23]
	s_trap 2
	ds_read_b32 v0, v0
	v_cmp_lt_i32_e32 vcc, 0, v2
	v_and_b32_e32 v1, 16, v62
	s_waitcnt lgkmcnt(0)
	v_readfirstlane_b32 s22, v0
	s_cmp_eq_u32 s22, 0
	s_cselect_b64 s[22:23], -1, 0
	s_and_b64 s[22:23], vcc, s[22:23]
	v_cmp_ne_u32_e32 vcc, 0, v1
	s_and_b64 s[26:27], vcc, s[22:23]
	s_and_saveexec_b64 s[22:23], s[26:27]
	s_cbranch_execz .LBB2_2355
; %bb.2354:                             ;   in Loop: Header=BB2_49 Depth=1
	s_waitcnt vmcnt(0)
	buffer_wbinvl1_vol
.LBB2_2355:                             ;   in Loop: Header=BB2_49 Depth=1
	s_or_b64 exec, exec, s[22:23]
	v_cmp_ne_u32_e32 vcc, 0, v1
	s_xor_b64 s[22:23], s[20:21], -1
	s_and_b64 s[26:27], vcc, s[22:23]
	s_and_saveexec_b64 s[22:23], s[26:27]
	s_cbranch_execz .LBB2_2357
; %bb.2356:                             ;   in Loop: Header=BB2_49 Depth=1
	flat_store_dword v[42:43], v49
.LBB2_2357:                             ;   in Loop: Header=BB2_49 Depth=1
	s_or_b64 exec, exec, s[22:23]
	v_and_b32_e32 v0, 48, v62
	v_cmp_ne_u32_e32 vcc, 0, v0
	s_and_saveexec_b64 s[22:23], vcc
	s_cbranch_execz .LBB2_47
; %bb.2358:                             ;   in Loop: Header=BB2_49 Depth=1
	v_add_co_u32_e32 v8, vcc, 1, v8
	v_addc_co_u32_e32 v9, vcc, 0, v9, vcc
	flat_store_dwordx2 v[32:33], v[8:9]
	s_branch .LBB2_47
.LBB2_2359:
	s_or_b64 exec, exec, s[40:41]
.LBB2_2360:
	s_or_b64 exec, exec, s[36:37]
                                        ; implicit-def: $vgpr44_vgpr45
                                        ; implicit-def: $vgpr40_vgpr41
                                        ; implicit-def: $agpr12
                                        ; implicit-def: $vgpr36_vgpr37
                                        ; implicit-def: $agpr14_agpr15
                                        ; implicit-def: $vgpr32_vgpr33
                                        ; implicit-def: $vgpr58
                                        ; implicit-def: $vgpr1
                                        ; implicit-def: $agpr18_agpr19
.LBB2_2361:
	s_andn2_saveexec_b64 s[24:25], s[34:35]
	s_cbranch_execz .LBB2_4670
; %bb.2362:
	v_pk_mov_b32 v[2:3], 0, 0
	v_accvgpr_write_b32 a17, v3
	v_accvgpr_write_b32 a16, v2
	s_and_saveexec_b64 s[26:27], s[6:7]
	s_cbranch_execz .LBB2_4669
; %bb.2363:
	v_and_b32_e32 v0, 63, v47
	v_cmp_eq_u32_e64 s[12:13], 0, v0
	v_ashrrev_i32_e32 v0, 31, v58
	v_lshrrev_b32_e32 v0, 26, v0
	v_add_u32_e32 v0, v58, v0
	v_ashrrev_i32_e32 v55, 6, v0
	v_and_b32_e32 v0, 0xffffffc0, v0
	v_sub_u32_e32 v2, v58, v0
	v_lshlrev_b32_e32 v0, 11, v55
	v_lshl_add_u32 v0, v2, 4, v0
	v_lshrrev_b32_e32 v60, 6, v46
	v_cmp_le_i32_e64 s[14:15], v2, v1
	v_accvgpr_write_b32 a22, v0
	v_ashrrev_i32_e32 v1, 31, v0
	v_mov_b32_e32 v0, 0xfffff800
	v_lshl_add_u32 v0, v60, 11, v0
	s_movk_i32 s18, 0x800
	v_accvgpr_write_b32 a23, v1
	v_ashrrev_i32_e32 v1, 31, v0
	v_add_co_u32_e64 v0, s[18:19], s18, v0
	v_accvgpr_write_b32 a24, v0
	v_addc_co_u32_e64 v0, s[18:19], 0, v1, s[18:19]
	v_lshlrev_b32_e32 v57, 10, v60
	v_accvgpr_write_b32 a25, v0
	v_add_u32_e32 v0, 0xfffffc00, v57
	s_movk_i32 s18, 0x400
	v_ashrrev_i32_e32 v1, 31, v0
	v_add_co_u32_e64 v59, s[18:19], s18, v0
	v_addc_co_u32_e64 v0, s[18:19], 0, v1, s[18:19]
	v_accvgpr_write_b32 a28, v0
	v_mov_b32_e32 v0, 0xffffff00
	v_lshl_add_u32 v0, v60, 8, v0
	s_movk_i32 s18, 0x100
	v_ashrrev_i32_e32 v1, 31, v0
	v_add_co_u32_e64 v0, s[18:19], s18, v0
	s_ashr_i32 s6, s70, 31
	v_accvgpr_write_b32 a29, v0
	v_addc_co_u32_e64 v0, s[18:19], 0, v1, s[18:19]
	s_lshr_b32 s6, s6, 24
	v_accvgpr_write_b32 a30, v0
	v_and_b32_e32 v0, 0xffffffc0, v46
	s_waitcnt vmcnt(0) lgkmcnt(0)
	v_pk_mov_b32 v[42:43], 0, 0
	s_add_i32 s6, s70, s6
	v_cmp_eq_u32_e32 vcc, 64, v46
	v_cmp_gt_i32_e64 s[16:17], 1, v2
	v_accvgpr_write_b32 a21, v2
	v_ashrrev_i32_e32 v1, 31, v0
	s_mov_b32 s44, -1
	v_accvgpr_write_b32 a16, v42
	v_accvgpr_read_b32 v2, a18
	s_ashr_i32 s66, s6, 8
	v_cmp_ge_i32_e64 s[6:7], v58, v46
	v_cmp_ne_u32_e64 s[10:11], 64, v46
	v_cmp_ne_u32_sdwa s[34:35], v56, v46 src0_sel:WORD_0 src1_sel:DWORD
	v_mov_b32_e32 v53, 0
	v_accvgpr_write_b32 a32, v0
	v_accvgpr_write_b32 a31, v1
	s_mov_b64 s[36:37], 0
	s_movk_i32 s67, 0x270e
	s_xor_b64 s[38:39], vcc, -1
	s_movk_i32 s68, 0x80
	s_movk_i32 s69, 0x7f
	s_brev_b32 s71, 1
	s_mov_b64 s[40:41], 0x7f800000
	s_mov_b64 s[42:43], 0x43e00001
	s_movk_i32 s72, 0x7a
	s_mov_b32 s45, 0xffffff
	s_mov_b64 s[46:47], 0xffffff
	s_mov_b32 s73, 0xc0c0500
	v_bfrev_b32_e32 v49, 60
	v_accvgpr_write_b32 a17, v43
	v_accvgpr_read_b32 v3, a19
	s_trap 2
	s_branch .LBB2_2366
.LBB2_2364:                             ;   in Loop: Header=BB2_2366 Depth=1
	s_or_b64 exec, exec, s[18:19]
.LBB2_2365:                             ;   in Loop: Header=BB2_2366 Depth=1
	s_or_b64 exec, exec, s[20:21]
	v_accvgpr_read_b32 v2, a18
	v_add_co_u32_e32 v42, vcc, v42, v2
	v_accvgpr_read_b32 v41, a5
	v_addc_co_u32_e32 v43, vcc, 0, v43, vcc
	v_accvgpr_read_b32 v40, a4
	v_cmp_ge_u64_e32 vcc, v[42:43], v[40:41]
	v_accvgpr_read_b32 v3, a19
	s_or_b64 s[36:37], vcc, s[36:37]
	s_andn2_b64 exec, exec, s[36:37]
	s_cbranch_execz .LBB2_4668
.LBB2_2366:                             ; =>This Loop Header: Depth=1
                                        ;     Child Loop BB2_2377 Depth 2
                                        ;     Child Loop BB2_2399 Depth 2
	;; [unrolled: 1-line block ×10, first 2 shown]
	v_sub_co_u32_e32 v0, vcc, v40, v42
	v_subb_co_u32_e32 v1, vcc, v41, v43, vcc
	v_cmp_lt_u64_e32 vcc, v[2:3], v[0:1]
	v_cndmask_b32_e64 v13, v1, 0, vcc
	v_cndmask_b32_e32 v12, v0, v2, vcc
	v_add_u32_e32 v0, 15, v12
	v_cmp_eq_u64_e32 vcc, 0, v[12:13]
	v_accvgpr_write_b32 a4, v40
	v_and_b32_e32 v0, 0x7ffffff0, v0
	s_or_b64 s[48:49], s[6:7], vcc
	v_accvgpr_write_b32 a5, v41
	v_max_i32_e32 v14, s66, v0
	s_xor_b64 s[18:19], s[48:49], -1
	v_mov_b32_e32 v0, v53
	s_and_saveexec_b64 s[50:51], s[18:19]
	s_cbranch_execz .LBB2_4622
; %bb.2367:                             ;   in Loop: Header=BB2_2366 Depth=1
	s_and_saveexec_b64 s[18:19], s[4:5]
	s_cbranch_execz .LBB2_2369
; %bb.2368:                             ;   in Loop: Header=BB2_2366 Depth=1
	s_trap 2
	ds_read2_b64 v[0:3], v0 offset1:1
	v_add_co_u32_e32 v10, vcc, v42, v44
	v_addc_co_u32_e32 v11, vcc, v43, v45, vcc
	s_waitcnt lgkmcnt(0)
	ds_read_b64 v[4:5], v0
	v_add_co_u32_e32 v0, vcc, v0, v10
	v_addc_co_u32_e32 v1, vcc, v1, v11, vcc
	ds_write_b64 v0, v[0:1]
	v_add_co_u32_e32 v0, vcc, v2, v10
	v_addc_co_u32_e32 v1, vcc, v3, v11, vcc
	ds_write_b64 v0, v[0:1]
	s_waitcnt lgkmcnt(0)
	v_add_co_u32_e32 v0, vcc, v4, v10
	v_addc_co_u32_e32 v1, vcc, v5, v11, vcc
	v_cmp_ne_u64_e32 vcc, 0, v[4:5]
	v_cndmask_b32_e32 v1, 0, v1, vcc
	v_cndmask_b32_e32 v0, 0, v0, vcc
	ds_write_b64 v0, v[0:1]
.LBB2_2369:                             ;   in Loop: Header=BB2_2366 Depth=1
	s_or_b64 exec, exec, s[18:19]
	v_and_b32_e32 v0, 4, v62
	v_cmp_ne_u32_e32 vcc, 0, v0
	s_mov_b64 s[20:21], -1
	s_and_saveexec_b64 s[18:19], vcc
	s_cbranch_execnz .LBB2_2372
; %bb.2370:                             ;   in Loop: Header=BB2_2366 Depth=1
	s_or_b64 exec, exec, s[18:19]
	s_xor_b64 s[18:19], s[20:21], -1
	s_and_saveexec_b64 s[20:21], s[18:19]
	s_cbranch_execnz .LBB2_2383
.LBB2_2371:                             ;   in Loop: Header=BB2_2366 Depth=1
	s_or_b64 exec, exec, s[20:21]
	s_and_saveexec_b64 s[18:19], s[10:11]
	s_cbranch_execnz .LBB2_2392
	s_branch .LBB2_2410
.LBB2_2372:                             ;   in Loop: Header=BB2_2366 Depth=1
	v_add_co_u32_e32 v2, vcc, 1, v8
	v_addc_co_u32_e32 v3, vcc, 0, v9, vcc
	v_cmp_lt_u64_e32 vcc, v[36:37], v[2:3]
	v_mov_b32_e32 v0, 1
	s_and_saveexec_b64 s[20:21], vcc
	s_cbranch_execz .LBB2_2382
; %bb.2373:                             ;   in Loop: Header=BB2_2366 Depth=1
	s_mov_b64 s[22:23], 0
	v_mov_b32_e32 v0, 0
                                        ; implicit-def: $sgpr52_sgpr53
	s_branch .LBB2_2377
.LBB2_2374:                             ;   in Loop: Header=BB2_2377 Depth=2
	s_or_b64 exec, exec, s[60:61]
	v_mov_b32_e32 v1, 0
	s_orn2_b64 s[58:59], s[58:59], exec
.LBB2_2375:                             ;   in Loop: Header=BB2_2377 Depth=2
	s_or_b64 exec, exec, s[56:57]
	s_andn2_b64 vcc, s[52:53], exec
	s_and_b64 s[52:53], s[58:59], exec
	s_or_b64 s[52:53], vcc, s[52:53]
	v_mov_b32_e32 v0, v1
.LBB2_2376:                             ;   in Loop: Header=BB2_2377 Depth=2
	s_or_b64 exec, exec, s[54:55]
	s_waitcnt vmcnt(0) lgkmcnt(0)
	v_cmp_ge_u64_e32 vcc, v[36:37], v[2:3]
	s_xor_b64 s[54:55], s[52:53], -1
	s_or_b64 vcc, s[54:55], vcc
	s_and_b64 vcc, exec, vcc
	s_or_b64 s[22:23], vcc, s[22:23]
	s_andn2_b64 exec, exec, s[22:23]
	s_cbranch_execz .LBB2_2381
.LBB2_2377:                             ;   Parent Loop BB2_2366 Depth=1
                                        ; =>  This Inner Loop Header: Depth=2
	s_sleep 1
	flat_load_dwordx2 v[36:37], v[32:33] glc
	v_and_b32_e32 v1, 64, v62
	v_cmp_eq_u32_e32 vcc, 0, v1
	s_andn2_b64 s[52:53], s[52:53], exec
	s_and_saveexec_b64 s[54:55], vcc
	s_cbranch_execz .LBB2_2376
; %bb.2378:                             ;   in Loop: Header=BB2_2377 Depth=2
	v_add_u32_e32 v1, 1, v0
	v_cmp_lt_i32_e32 vcc, s67, v0
	s_mov_b64 s[58:59], -1
	s_and_saveexec_b64 s[56:57], vcc
	s_cbranch_execz .LBB2_2375
; %bb.2379:                             ;   in Loop: Header=BB2_2377 Depth=2
	s_trap 2
	ds_read_b64 v[0:1], v0
	s_waitcnt vmcnt(0) lgkmcnt(0)
	flat_load_dword v0, v[0:1] glc
	s_waitcnt vmcnt(0) lgkmcnt(0)
	buffer_invl2
	buffer_wbinvl1_vol
	v_cmp_ne_u32_e32 vcc, 0, v0
	s_and_saveexec_b64 s[60:61], vcc
	s_cbranch_execz .LBB2_2374
; %bb.2380:                             ;   in Loop: Header=BB2_2377 Depth=2
	v_or_b32_e32 v62, 64, v62
	s_xor_b64 s[58:59], exec, -1
	ds_write_b32 v0, v0
	s_trap 2
	s_branch .LBB2_2374
.LBB2_2381:                             ;   in Loop: Header=BB2_2366 Depth=1
	s_or_b64 exec, exec, s[22:23]
	v_and_b32_e32 v0, 4, v62
.LBB2_2382:                             ;   in Loop: Header=BB2_2366 Depth=1
	s_or_b64 exec, exec, s[20:21]
	v_cmp_eq_u32_e32 vcc, 0, v0
	s_orn2_b64 s[20:21], vcc, exec
	;;#ASMSTART
	s_wakeup
	;;#ASMEND
	s_or_b64 exec, exec, s[18:19]
	s_xor_b64 s[18:19], s[20:21], -1
	s_and_saveexec_b64 s[20:21], s[18:19]
	s_cbranch_execz .LBB2_2371
.LBB2_2383:                             ;   in Loop: Header=BB2_2366 Depth=1
	v_and_b32_e32 v0, 0x100, v62
	v_cmp_ne_u32_e32 vcc, 0, v0
	v_and_b32_e32 v0, 7, v8
	s_mov_b64 s[18:19], -1
                                        ; implicit-def: $vgpr2_vgpr3
	s_and_saveexec_b64 s[22:23], vcc
	s_cbranch_execz .LBB2_2387
; %bb.2384:                             ;   in Loop: Header=BB2_2366 Depth=1
	v_mad_u64_u32 v[10:11], s[18:19], v0, 24, v[6:7]
	flat_load_dword v1, v[10:11]
                                        ; implicit-def: $vgpr2_vgpr3
	s_waitcnt vmcnt(0) lgkmcnt(0)
	v_cmp_ne_u32_e32 vcc, 1, v1
	v_cmp_eq_u32_e64 s[18:19], 1, v1
	s_and_saveexec_b64 s[52:53], s[18:19]
	s_cbranch_execz .LBB2_2386
; %bb.2385:                             ;   in Loop: Header=BB2_2366 Depth=1
	flat_load_dword v2, v[10:11] offset:4 glc
	s_waitcnt vmcnt(0) lgkmcnt(0)
	v_ashrrev_i32_e32 v3, 31, v2
.LBB2_2386:                             ;   in Loop: Header=BB2_2366 Depth=1
	s_or_b64 exec, exec, s[52:53]
	s_orn2_b64 s[18:19], vcc, exec
.LBB2_2387:                             ;   in Loop: Header=BB2_2366 Depth=1
	s_or_b64 exec, exec, s[22:23]
	s_and_saveexec_b64 s[22:23], s[18:19]
; %bb.2388:                             ;   in Loop: Header=BB2_2366 Depth=1
	v_accvgpr_read_b32 v2, a12
	v_mad_i64_i32 v[2:3], s[18:19], v0, v2, 0
; %bb.2389:                             ;   in Loop: Header=BB2_2366 Depth=1
	s_or_b64 exec, exec, s[22:23]
	v_accvgpr_read_b32 v0, a14
	v_accvgpr_read_b32 v1, a15
	v_add_co_u32_e32 v0, vcc, v0, v2
	v_addc_co_u32_e32 v1, vcc, v1, v3, vcc
	ds_write_b64 v0, v[0:1] offset:728
	v_and_b32_e32 v0, 0x2000, v62
	v_cmp_ne_u32_e32 vcc, 0, v0
	s_and_saveexec_b64 s[18:19], vcc
	s_cbranch_execz .LBB2_2391
; %bb.2390:                             ;   in Loop: Header=BB2_2366 Depth=1
	ds_read_b64 v[0:1], v0 offset:584
	s_waitcnt lgkmcnt(0)
	v_add_co_u32_e32 v0, vcc, 1, v0
	v_addc_co_u32_e32 v1, vcc, 0, v1, vcc
	ds_write_b64 v0, v[0:1] offset:584
.LBB2_2391:                             ;   in Loop: Header=BB2_2366 Depth=1
	s_or_b64 exec, exec, s[18:19]
	v_add_co_u32_e32 v8, vcc, 1, v8
	v_addc_co_u32_e32 v9, vcc, 0, v9, vcc
	s_or_b64 exec, exec, s[20:21]
	s_and_saveexec_b64 s[18:19], s[10:11]
	s_cbranch_execz .LBB2_2410
.LBB2_2392:                             ;   in Loop: Header=BB2_2366 Depth=1
	s_and_saveexec_b64 s[20:21], s[34:35]
	s_xor_b64 s[20:21], exec, s[20:21]
	s_cbranch_execz .LBB2_2407
; %bb.2393:                             ;   in Loop: Header=BB2_2366 Depth=1
	s_and_saveexec_b64 s[22:23], s[12:13]
	s_cbranch_execz .LBB2_2406
; %bb.2394:                             ;   in Loop: Header=BB2_2366 Depth=1
	s_mov_b64 s[54:55], exec
	v_mbcnt_lo_u32_b32 v0, s54, 0
	v_mbcnt_hi_u32_b32 v0, s55, v0
	v_cmp_eq_u32_e32 vcc, 0, v0
	s_waitcnt vmcnt(0) lgkmcnt(0)
	buffer_wbinvl1_vol
	s_and_saveexec_b64 s[52:53], vcc
	s_cbranch_execz .LBB2_2396
; %bb.2395:                             ;   in Loop: Header=BB2_2366 Depth=1
	s_bcnt1_i32_b64 vcc_lo, s[54:55]
	v_mov_b32_e32 v52, vcc_lo
	ds_add_u64 v0, v[52:53]
	s_trap 2
.LBB2_2396:                             ;   in Loop: Header=BB2_2366 Depth=1
	s_or_b64 exec, exec, s[52:53]
	s_trap 2
	ds_read_b64 v[0:1], v0
	v_accvgpr_read_b32 v2, a16
	v_accvgpr_read_b32 v3, a17
	v_add_co_u32_e32 v2, vcc, v2, v60
	v_addc_co_u32_e32 v3, vcc, 0, v3, vcc
	v_accvgpr_write_b32 a17, v3
	v_accvgpr_write_b32 a16, v2
	s_waitcnt lgkmcnt(0)
	v_cmp_lt_u64_e32 vcc, v[0:1], v[2:3]
	s_and_saveexec_b64 s[52:53], vcc
	s_cbranch_execz .LBB2_2405
; %bb.2397:                             ;   in Loop: Header=BB2_2366 Depth=1
	s_mov_b32 s64, 0
	s_mov_b64 s[54:55], 0
                                        ; implicit-def: $sgpr56_sgpr57
                                        ; implicit-def: $sgpr58_sgpr59
	s_branch .LBB2_2399
.LBB2_2398:                             ;   in Loop: Header=BB2_2399 Depth=2
	s_or_b64 exec, exec, s[62:63]
	s_and_b64 vcc, exec, vcc
	s_or_b64 s[54:55], vcc, s[54:55]
	s_andn2_b64 vcc, s[56:57], exec
	s_and_b64 s[56:57], s[58:59], exec
	s_or_b64 s[56:57], vcc, s[56:57]
	s_andn2_b64 exec, exec, s[54:55]
	s_cbranch_execz .LBB2_2403
.LBB2_2399:                             ;   Parent Loop BB2_2366 Depth=1
                                        ; =>  This Inner Loop Header: Depth=2
	s_add_i32 s64, s64, 1
	s_cmpk_lg_i32 s64, 0x2710
	s_cselect_b64 s[60:61], -1, 0
	s_and_b64 vcc, exec, s[60:61]
                                        ; implicit-def: $sgpr62_sgpr63
	s_cbranch_vccnz .LBB2_2401
; %bb.2400:                             ;   in Loop: Header=BB2_2399 Depth=2
	s_trap 2
	ds_read_b64 v[0:1], v0
	s_andn2_b64 s[60:61], s[60:61], exec
	s_mov_b32 s64, 0
	s_mov_b64 s[62:63], -1
	s_waitcnt lgkmcnt(0)
	flat_load_dword v0, v[0:1] glc
	s_waitcnt vmcnt(0) lgkmcnt(0)
	buffer_invl2
	buffer_wbinvl1_vol
	v_cmp_eq_u32_e32 vcc, 0, v0
	s_and_b64 vcc, vcc, exec
	s_or_b64 s[60:61], s[60:61], vcc
.LBB2_2401:                             ;   in Loop: Header=BB2_2399 Depth=2
	s_andn2_b64 s[58:59], s[58:59], exec
	s_and_b64 s[62:63], s[62:63], exec
	s_mov_b64 vcc, -1
	s_or_b64 s[58:59], s[58:59], s[62:63]
	s_and_saveexec_b64 s[62:63], s[60:61]
	s_cbranch_execz .LBB2_2398
; %bb.2402:                             ;   in Loop: Header=BB2_2399 Depth=2
	s_sleep 1
	s_trap 2
	ds_read_b64 v[0:1], v0
	v_accvgpr_read_b32 v2, a16
	v_accvgpr_read_b32 v3, a17
	s_andn2_b64 s[58:59], s[58:59], exec
	s_waitcnt lgkmcnt(0)
	v_cmp_ge_u64_e32 vcc, v[0:1], v[2:3]
	s_orn2_b64 vcc, vcc, exec
	s_branch .LBB2_2398
.LBB2_2403:                             ;   in Loop: Header=BB2_2366 Depth=1
	s_or_b64 exec, exec, s[54:55]
	s_and_saveexec_b64 vcc, s[56:57]
	s_xor_b64 vcc, exec, vcc
	s_cbranch_execz .LBB2_2405
; %bb.2404:                             ;   in Loop: Header=BB2_2366 Depth=1
	v_mov_b32_e32 v0, 1
	ds_write_b32 v0, v0
	s_trap 2
.LBB2_2405:                             ;   in Loop: Header=BB2_2366 Depth=1
	s_or_b64 exec, exec, s[52:53]
	;;#ASMSTART
	s_wakeup
	;;#ASMEND
.LBB2_2406:                             ;   in Loop: Header=BB2_2366 Depth=1
	s_or_b64 exec, exec, s[22:23]
.LBB2_2407:                             ;   in Loop: Header=BB2_2366 Depth=1
	s_andn2_saveexec_b64 s[20:21], s[20:21]
	s_cbranch_execz .LBB2_2409
; %bb.2408:                             ;   in Loop: Header=BB2_2366 Depth=1
	s_waitcnt vmcnt(0) lgkmcnt(0)
	buffer_wbinvl1_vol
	s_barrier
.LBB2_2409:                             ;   in Loop: Header=BB2_2366 Depth=1
	s_or_b64 exec, exec, s[20:21]
.LBB2_2410:                             ;   in Loop: Header=BB2_2366 Depth=1
	s_or_b64 exec, exec, s[18:19]
	s_trap 2
	ds_read_b32 v1, v0
	v_and_b32_e32 v0, 0x4000, v62
	v_cmp_ne_u32_e32 vcc, 0, v0
	s_and_b64 s[20:21], s[38:39], vcc
	s_and_saveexec_b64 s[18:19], s[20:21]
	s_cbranch_execz .LBB2_2429
; %bb.2411:                             ;   in Loop: Header=BB2_2366 Depth=1
	s_and_saveexec_b64 s[20:21], s[34:35]
	s_xor_b64 s[20:21], exec, s[20:21]
	s_cbranch_execz .LBB2_2426
; %bb.2412:                             ;   in Loop: Header=BB2_2366 Depth=1
	s_and_saveexec_b64 s[22:23], s[12:13]
	s_cbranch_execz .LBB2_2425
; %bb.2413:                             ;   in Loop: Header=BB2_2366 Depth=1
	s_mov_b64 s[54:55], exec
	v_mbcnt_lo_u32_b32 v0, s54, 0
	v_mbcnt_hi_u32_b32 v0, s55, v0
	v_cmp_eq_u32_e32 vcc, 0, v0
	s_waitcnt vmcnt(0) lgkmcnt(0)
	buffer_wbinvl1_vol
	s_and_saveexec_b64 s[52:53], vcc
	s_cbranch_execz .LBB2_2415
; %bb.2414:                             ;   in Loop: Header=BB2_2366 Depth=1
	s_bcnt1_i32_b64 vcc_lo, s[54:55]
	v_mov_b32_e32 v52, vcc_lo
	ds_add_u64 v0, v[52:53]
	s_trap 2
.LBB2_2415:                             ;   in Loop: Header=BB2_2366 Depth=1
	s_or_b64 exec, exec, s[52:53]
	s_trap 2
	ds_read_b64 v[2:3], v0
	v_accvgpr_read_b32 v4, a16
	v_accvgpr_read_b32 v5, a17
	v_add_co_u32_e32 v4, vcc, v4, v60
	v_addc_co_u32_e32 v5, vcc, 0, v5, vcc
	v_accvgpr_write_b32 a17, v5
	v_accvgpr_write_b32 a16, v4
	s_waitcnt lgkmcnt(0)
	v_cmp_lt_u64_e32 vcc, v[2:3], v[4:5]
	s_and_saveexec_b64 s[52:53], vcc
	s_cbranch_execz .LBB2_2424
; %bb.2416:                             ;   in Loop: Header=BB2_2366 Depth=1
	s_mov_b32 s64, 0
	s_mov_b64 s[54:55], 0
                                        ; implicit-def: $sgpr56_sgpr57
                                        ; implicit-def: $sgpr58_sgpr59
	s_branch .LBB2_2418
.LBB2_2417:                             ;   in Loop: Header=BB2_2418 Depth=2
	s_or_b64 exec, exec, s[62:63]
	s_and_b64 vcc, exec, vcc
	s_or_b64 s[54:55], vcc, s[54:55]
	s_andn2_b64 vcc, s[56:57], exec
	s_and_b64 s[56:57], s[58:59], exec
	s_or_b64 s[56:57], vcc, s[56:57]
	s_andn2_b64 exec, exec, s[54:55]
	s_cbranch_execz .LBB2_2422
.LBB2_2418:                             ;   Parent Loop BB2_2366 Depth=1
                                        ; =>  This Inner Loop Header: Depth=2
	s_add_i32 s64, s64, 1
	s_cmpk_lg_i32 s64, 0x2710
	s_cselect_b64 s[60:61], -1, 0
	s_and_b64 vcc, exec, s[60:61]
                                        ; implicit-def: $sgpr62_sgpr63
	s_cbranch_vccnz .LBB2_2420
; %bb.2419:                             ;   in Loop: Header=BB2_2418 Depth=2
	s_trap 2
	ds_read_b64 v[2:3], v0
	s_andn2_b64 s[60:61], s[60:61], exec
	s_mov_b32 s64, 0
	s_mov_b64 s[62:63], -1
	s_waitcnt lgkmcnt(0)
	flat_load_dword v0, v[2:3] glc
	s_waitcnt vmcnt(0) lgkmcnt(0)
	buffer_invl2
	buffer_wbinvl1_vol
	v_cmp_eq_u32_e32 vcc, 0, v0
	s_and_b64 vcc, vcc, exec
	s_or_b64 s[60:61], s[60:61], vcc
.LBB2_2420:                             ;   in Loop: Header=BB2_2418 Depth=2
	s_andn2_b64 s[58:59], s[58:59], exec
	s_and_b64 s[62:63], s[62:63], exec
	s_mov_b64 vcc, -1
	s_or_b64 s[58:59], s[58:59], s[62:63]
	s_and_saveexec_b64 s[62:63], s[60:61]
	s_cbranch_execz .LBB2_2417
; %bb.2421:                             ;   in Loop: Header=BB2_2418 Depth=2
	s_sleep 1
	s_trap 2
	ds_read_b64 v[2:3], v0
	v_accvgpr_read_b32 v4, a16
	v_accvgpr_read_b32 v5, a17
	s_andn2_b64 s[58:59], s[58:59], exec
	s_waitcnt lgkmcnt(0)
	v_cmp_ge_u64_e32 vcc, v[2:3], v[4:5]
	s_orn2_b64 vcc, vcc, exec
	s_branch .LBB2_2417
.LBB2_2422:                             ;   in Loop: Header=BB2_2366 Depth=1
	s_or_b64 exec, exec, s[54:55]
	s_and_saveexec_b64 vcc, s[56:57]
	s_xor_b64 vcc, exec, vcc
	s_cbranch_execz .LBB2_2424
; %bb.2423:                             ;   in Loop: Header=BB2_2366 Depth=1
	v_mov_b32_e32 v0, 1
	ds_write_b32 v0, v0
	s_trap 2
.LBB2_2424:                             ;   in Loop: Header=BB2_2366 Depth=1
	s_or_b64 exec, exec, s[52:53]
	;;#ASMSTART
	s_wakeup
	;;#ASMEND
.LBB2_2425:                             ;   in Loop: Header=BB2_2366 Depth=1
	s_or_b64 exec, exec, s[22:23]
.LBB2_2426:                             ;   in Loop: Header=BB2_2366 Depth=1
	s_andn2_saveexec_b64 s[20:21], s[20:21]
	s_cbranch_execz .LBB2_2428
; %bb.2427:                             ;   in Loop: Header=BB2_2366 Depth=1
	s_waitcnt vmcnt(0) lgkmcnt(0)
	buffer_wbinvl1_vol
	s_barrier
.LBB2_2428:                             ;   in Loop: Header=BB2_2366 Depth=1
	s_or_b64 exec, exec, s[20:21]
.LBB2_2429:                             ;   in Loop: Header=BB2_2366 Depth=1
	s_or_b64 exec, exec, s[18:19]
	s_trap 2
	ds_read_b64 v[2:3], v0
	v_min_u32_e32 v14, v14, v12
	s_waitcnt lgkmcnt(0)
	v_readfirstlane_b32 s18, v2
	v_readfirstlane_b32 s19, v3
	s_cmp_eq_u64 s[18:19], 0
	s_cselect_b64 s[18:19], -1, 0
	s_or_b64 s[20:21], s[18:19], s[18:19]
	s_mov_b64 s[18:19], 0
	s_and_b64 vcc, exec, s[20:21]
	s_cbranch_vccnz .LBB2_4598
; %bb.2430:                             ;   in Loop: Header=BB2_2366 Depth=1
	s_trap 2
	ds_read_b64 v[2:3], v0
	s_mov_b64 s[20:21], -1
	s_waitcnt lgkmcnt(0)
	v_readfirstlane_b32 s64, v2
	s_and_saveexec_b64 s[18:19], s[14:15]
	s_cbranch_execz .LBB2_2432
; %bb.2431:                             ;   in Loop: Header=BB2_2366 Depth=1
	ds_read_b32 v0, v0 offset:720
	s_waitcnt lgkmcnt(0)
	v_and_b32_e32 v0, 15, v0
	v_cmp_eq_u32_e32 vcc, 0, v0
	s_orn2_b64 s[20:21], vcc, exec
.LBB2_2432:                             ;   in Loop: Header=BB2_2366 Depth=1
	s_or_b64 exec, exec, s[18:19]
	s_and_saveexec_b64 s[18:19], s[16:17]
	s_cbranch_execz .LBB2_2434
; %bb.2433:                             ;   in Loop: Header=BB2_2366 Depth=1
	ds_read_b32 v0, v0 offset:784
	s_waitcnt lgkmcnt(0)
	v_and_b32_e32 v0, 15, v0
	v_cmp_eq_u32_e32 vcc, 0, v0
	s_and_b64 s[22:23], s[20:21], vcc
	s_andn2_b64 s[20:21], s[20:21], exec
	s_and_b64 s[22:23], s[22:23], exec
	s_or_b64 s[20:21], s[20:21], s[22:23]
.LBB2_2434:                             ;   in Loop: Header=BB2_2366 Depth=1
	s_or_b64 exec, exec, s[18:19]
	s_xor_b64 s[20:21], s[20:21], -1
	v_cmp_eq_u32_e32 vcc, 0, v1
	v_cndmask_b32_e64 v1, 0, 1, s[20:21]
	v_cndmask_b32_e32 v2, 0, v14, vcc
	;;#ASMSTART
	;;#ASMEND
	v_accvgpr_write_b32 a34, v12
	v_mov_b32_e32 v0, 0
	v_accvgpr_write_b32 a33, v14
	s_mov_b64 s[18:19], -1
	v_cmp_ne_u32_e32 vcc, 0, v1
	v_accvgpr_write_b32 a35, v2
	v_mov_b32_e32 v1, v2
	v_mov_b32_e32 v17, v58
	;; [unrolled: 1-line block ×3, first 2 shown]
	s_cbranch_vccz .LBB2_2436
; %bb.2435:                             ;   in Loop: Header=BB2_2366 Depth=1
	s_and_saveexec_b64 s[52:53], s[18:19]
	s_cbranch_execnz .LBB2_4369
	s_branch .LBB2_4597
.LBB2_2436:                             ;   in Loop: Header=BB2_2366 Depth=1
	v_accvgpr_read_b32 v0, a35
	v_accvgpr_write_b32 a6, v44
	v_lshrrev_b32_e32 v0, 11, v0
	v_accvgpr_write_b32 a7, v45
	v_sub_u32_e32 v45, v0, v55
	v_cmp_lt_i32_e32 vcc, 0, v45
	s_and_saveexec_b64 s[22:23], vcc
	s_cbranch_execz .LBB2_3720
; %bb.2437:                             ;   in Loop: Header=BB2_2366 Depth=1
	s_trap 2
	ds_read_b128 v[0:3], v0
	v_accvgpr_read_b32 v10, a22
	v_accvgpr_write_b32 a0, v46
	v_accvgpr_read_b32 v11, a23
	v_accvgpr_write_b32 a1, v47
	s_waitcnt lgkmcnt(0)
	ds_read_b64 v[4:5], v0
	v_add_co_u32_e32 v46, vcc, v0, v10
	v_addc_co_u32_e32 v47, vcc, v1, v11, vcc
	v_accvgpr_write_b32 a2, v56
	v_add_co_u32_e32 v56, vcc, v2, v10
	v_accvgpr_write_b32 a26, v57
	v_addc_co_u32_e32 v57, vcc, v3, v11, vcc
	v_accvgpr_write_b32 a3, v58
	s_waitcnt lgkmcnt(0)
	v_add_co_u32_e32 v58, vcc, v4, v10
	s_bitcmp1_b32 s64, 0
	v_accvgpr_write_b32 a27, v59
	v_accvgpr_write_b32 a13, v55
	v_addc_co_u32_e32 v59, vcc, v5, v11, vcc
	s_mov_b64 s[52:53], 0
	s_cselect_b64 s[54:55], -1, 0
	s_branch .LBB2_2439
.LBB2_2438:                             ;   in Loop: Header=BB2_2439 Depth=2
	s_or_b64 exec, exec, s[18:19]
	v_lshlrev_b32_e32 v3, 8, v30
	v_perm_b32 v3, v3, v41, s73
	v_lshl_or_b32 v3, v31, 16, v3
	v_lshl_or_b32 v39, v23, 24, v3
	v_and_b32_e32 v3, 0xff, v51
	v_lshlrev_b32_e32 v12, 8, v40
	v_accvgpr_read_b32 v13, a36
	v_lshlrev_b32_e32 v10, 24, v55
	v_lshlrev_b32_e32 v3, 16, v3
	v_perm_b32 v12, v12, v13, s73
	v_or3_b32 v38, v10, v3, v12
	v_and_b32_e32 v3, 0xff, v50
	v_lshlrev_b32_e32 v12, 8, v60
	v_lshlrev_b32_e32 v10, 24, v44
	;; [unrolled: 1-line block ×3, first 2 shown]
	v_perm_b32 v12, v12, v28, s73
	v_or3_b32 v40, v10, v3, v12
	v_lshlrev_b32_e32 v3, 8, v22
	v_perm_b32 v3, v3, v29, s73
	v_lshl_or_b32 v3, v54, 16, v3
	v_lshl_or_b32 v41, v21, 24, v3
	v_lshlrev_b32_e32 v3, 8, v19
	v_perm_b32 v3, v3, v27, s73
	v_lshl_or_b32 v3, v20, 16, v3
	v_and_b32_e32 v0, 0xff, v0
	v_lshlrev_b32_e32 v10, 8, v25
	v_lshl_or_b32 v17, v15, 24, v3
	v_lshlrev_b32_e32 v3, 24, v26
	v_lshlrev_b32_e32 v0, 16, v0
	v_perm_b32 v10, v10, v24, s73
	v_or3_b32 v16, v3, v0, v10
	v_and_b32_e32 v0, 0xff, v1
	v_lshlrev_b32_e32 v3, 8, v61
	v_lshlrev_b32_e32 v1, 24, v4
	;; [unrolled: 1-line block ×3, first 2 shown]
	v_perm_b32 v3, v3, v18, s73
	v_or3_b32 v18, v1, v0, v3
	v_lshlrev_b32_e32 v0, 8, v11
	v_perm_b32 v0, v0, v5, s73
	v_lshl_or_b32 v0, v14, 16, v0
	v_lshl_or_b32 v19, v2, 24, v0
	v_accvgpr_read_b32 v0, a24
	v_add_co_u32_e32 v46, vcc, v46, v0
	v_accvgpr_read_b32 v1, a25
	v_addc_co_u32_e32 v47, vcc, v47, v1, vcc
	v_add_co_u32_e32 v56, vcc, v56, v0
	v_accvgpr_read_b32 v60, a20
	v_addc_co_u32_e32 v57, vcc, v57, v1, vcc
	v_sub_u32_e32 v45, v45, v60
	v_cmp_gt_i32_e32 vcc, 1, v45
	global_store_dwordx4 v[58:59], v[38:41], off glc slc
	global_store_dwordx4 v[58:59], v[16:19], off offset:1024 glc slc
	s_or_b64 s[52:53], vcc, s[52:53]
	v_add_co_u32_e32 v58, vcc, v58, v0
	v_addc_co_u32_e32 v59, vcc, v59, v1, vcc
	s_andn2_b64 exec, exec, s[52:53]
	s_cbranch_execz .LBB2_3719
.LBB2_2439:                             ;   Parent Loop BB2_2366 Depth=1
                                        ; =>  This Inner Loop Header: Depth=2
	global_load_dwordx4 v[22:25], v[46:47], off glc slc
	global_load_dwordx4 v[14:17], v[46:47], off offset:1024 glc slc
	global_load_dwordx4 v[18:21], v[56:57], off glc slc
	global_load_dwordx4 v[10:13], v[56:57], off offset:1024 glc slc
	s_and_b64 vcc, exec, s[54:55]
	s_waitcnt vmcnt(0)
	v_cmp_ne_u16_sdwa s[18:19], v22, v53 src0_sel:BYTE_0 src1_sel:DWORD
	s_cbranch_vccz .LBB2_2453
; %bb.2440:                             ;   in Loop: Header=BB2_2439 Depth=2
	v_mov_b32_e32 v1, 0
	v_mov_b32_e32 v0, 0
	s_and_saveexec_b64 s[20:21], s[18:19]
	s_cbranch_execz .LBB2_2446
; %bb.2441:                             ;   in Loop: Header=BB2_2439 Depth=2
	v_cmp_ne_u16_sdwa vcc, v22, s68 src0_sel:BYTE_0 src1_sel:DWORD
	v_bfrev_b32_e32 v0, 1
	s_and_saveexec_b64 s[56:57], vcc
	s_cbranch_execz .LBB2_2445
; %bb.2442:                             ;   in Loop: Header=BB2_2439 Depth=2
	v_and_b32_e32 v2, 0x7f, v22
	v_cmp_ne_u32_e32 vcc, s69, v2
	v_mov_b32_e32 v0, 0x7f800001
	s_and_saveexec_b64 s[58:59], vcc
	s_cbranch_execz .LBB2_2444
; %bb.2443:                             ;   in Loop: Header=BB2_2439 Depth=2
	v_and_b32_e32 v0, 7, v22
	v_ffbh_u32_e32 v0, v0
	v_min_u32_e32 v0, 32, v0
	v_subrev_u32_e32 v4, 28, v0
	v_cmp_gt_u32_e32 vcc, 8, v2
	v_lshrrev_b32_e32 v3, 3, v2
	v_sub_u32_e32 v0, 29, v0
	v_cndmask_b32_e32 v2, 0, v4, vcc
	v_cndmask_b32_e32 v0, v3, v0, vcc
	v_lshlrev_b64 v[2:3], v2, v[22:23]
	v_lshlrev_b32_e32 v2, 20, v2
	v_lshlrev_b32_e32 v3, 24, v22
	v_and_b32_e32 v2, 0x700000, v2
	v_and_b32_e32 v3, 0x80000000, v3
	v_lshl_add_u32 v0, v0, 23, v49
	v_or3_b32 v0, v3, v0, v2
.LBB2_2444:                             ;   in Loop: Header=BB2_2439 Depth=2
	s_or_b64 exec, exec, s[58:59]
.LBB2_2445:                             ;   in Loop: Header=BB2_2439 Depth=2
	s_or_b64 exec, exec, s[56:57]
.LBB2_2446:                             ;   in Loop: Header=BB2_2439 Depth=2
	s_or_b64 exec, exec, s[20:21]
	s_waitcnt vmcnt(1)
	v_cmp_ne_u16_sdwa vcc, v18, v53 src0_sel:BYTE_0 src1_sel:DWORD
	s_and_saveexec_b64 s[20:21], vcc
	s_cbranch_execz .LBB2_2452
; %bb.2447:                             ;   in Loop: Header=BB2_2439 Depth=2
	v_cmp_ne_u16_sdwa vcc, v18, s68 src0_sel:BYTE_0 src1_sel:DWORD
	v_bfrev_b32_e32 v1, 1
	s_and_saveexec_b64 s[56:57], vcc
	s_cbranch_execz .LBB2_2451
; %bb.2448:                             ;   in Loop: Header=BB2_2439 Depth=2
	v_and_b32_e32 v2, 0x7f, v18
	v_cmp_ne_u32_e32 vcc, s69, v2
	v_mov_b32_e32 v1, 0x7f800001
	s_and_saveexec_b64 s[58:59], vcc
	s_cbranch_execz .LBB2_2450
; %bb.2449:                             ;   in Loop: Header=BB2_2439 Depth=2
	v_and_b32_e32 v1, 7, v18
	v_ffbh_u32_e32 v1, v1
	v_min_u32_e32 v1, 32, v1
	v_subrev_u32_e32 v4, 28, v1
	v_cmp_gt_u32_e32 vcc, 8, v2
	v_lshrrev_b32_e32 v3, 3, v2
	v_sub_u32_e32 v1, 29, v1
	v_cndmask_b32_e32 v2, 0, v4, vcc
	v_cndmask_b32_e32 v1, v3, v1, vcc
	v_lshlrev_b64 v[2:3], v2, v[18:19]
	v_lshlrev_b32_e32 v2, 20, v2
	v_lshlrev_b32_e32 v3, 24, v18
	v_and_b32_e32 v2, 0x700000, v2
	v_and_b32_e32 v3, 0x80000000, v3
	v_lshl_add_u32 v1, v1, 23, v49
	v_or3_b32 v1, v3, v1, v2
.LBB2_2450:                             ;   in Loop: Header=BB2_2439 Depth=2
	s_or_b64 exec, exec, s[58:59]
.LBB2_2451:                             ;   in Loop: Header=BB2_2439 Depth=2
	s_or_b64 exec, exec, s[56:57]
.LBB2_2452:                             ;   in Loop: Header=BB2_2439 Depth=2
	s_or_b64 exec, exec, s[20:21]
	v_max_f32_e32 v1, v1, v1
	v_max_f32_e32 v0, v0, v0
	;; [unrolled: 1-line block ×3, first 2 shown]
	s_branch .LBB2_2467
.LBB2_2453:                             ;   in Loop: Header=BB2_2439 Depth=2
                                        ; implicit-def: $vgpr1
	s_cbranch_execz .LBB2_2467
; %bb.2454:                             ;   in Loop: Header=BB2_2439 Depth=2
	v_mov_b32_e32 v1, 0
	v_mov_b32_e32 v0, 0
	s_and_saveexec_b64 s[20:21], s[18:19]
	s_cbranch_execz .LBB2_2460
; %bb.2455:                             ;   in Loop: Header=BB2_2439 Depth=2
	v_cmp_ne_u16_sdwa vcc, v22, s68 src0_sel:BYTE_0 src1_sel:DWORD
	v_bfrev_b32_e32 v0, 1
	s_and_saveexec_b64 s[18:19], vcc
	s_cbranch_execz .LBB2_2459
; %bb.2456:                             ;   in Loop: Header=BB2_2439 Depth=2
	v_and_b32_e32 v2, 0x7f, v22
	v_cmp_ne_u32_e32 vcc, s69, v2
	v_mov_b32_e32 v0, 0x7f800001
	s_and_saveexec_b64 s[56:57], vcc
	s_cbranch_execz .LBB2_2458
; %bb.2457:                             ;   in Loop: Header=BB2_2439 Depth=2
	v_and_b32_e32 v0, 7, v22
	v_ffbh_u32_e32 v0, v0
	v_min_u32_e32 v0, 32, v0
	v_subrev_u32_e32 v4, 28, v0
	v_cmp_gt_u32_e32 vcc, 8, v2
	v_lshrrev_b32_e32 v3, 3, v2
	v_sub_u32_e32 v0, 29, v0
	v_cndmask_b32_e32 v2, 0, v4, vcc
	v_cndmask_b32_e32 v0, v3, v0, vcc
	v_lshlrev_b64 v[2:3], v2, v[22:23]
	v_lshlrev_b32_e32 v2, 20, v2
	v_lshlrev_b32_e32 v3, 24, v22
	v_and_b32_e32 v2, 0x700000, v2
	v_and_b32_e32 v3, 0x80000000, v3
	v_lshl_add_u32 v0, v0, 23, v49
	v_or3_b32 v0, v3, v0, v2
.LBB2_2458:                             ;   in Loop: Header=BB2_2439 Depth=2
	s_or_b64 exec, exec, s[56:57]
.LBB2_2459:                             ;   in Loop: Header=BB2_2439 Depth=2
	s_or_b64 exec, exec, s[18:19]
.LBB2_2460:                             ;   in Loop: Header=BB2_2439 Depth=2
	s_or_b64 exec, exec, s[20:21]
	s_waitcnt vmcnt(1)
	v_cmp_ne_u16_sdwa s[20:21], v18, v53 src0_sel:BYTE_0 src1_sel:DWORD
	s_and_saveexec_b64 s[18:19], s[20:21]
	s_cbranch_execz .LBB2_2466
; %bb.2461:                             ;   in Loop: Header=BB2_2439 Depth=2
	v_cmp_ne_u16_sdwa vcc, v18, s68 src0_sel:BYTE_0 src1_sel:DWORD
	v_bfrev_b32_e32 v1, 1
	s_and_saveexec_b64 s[20:21], vcc
	s_cbranch_execz .LBB2_2465
; %bb.2462:                             ;   in Loop: Header=BB2_2439 Depth=2
	v_and_b32_e32 v2, 0x7f, v18
	v_cmp_ne_u32_e32 vcc, s69, v2
	v_mov_b32_e32 v1, 0x7f800001
	s_and_saveexec_b64 s[56:57], vcc
	s_cbranch_execz .LBB2_2464
; %bb.2463:                             ;   in Loop: Header=BB2_2439 Depth=2
	v_and_b32_e32 v1, 7, v18
	v_ffbh_u32_e32 v1, v1
	v_min_u32_e32 v1, 32, v1
	v_subrev_u32_e32 v4, 28, v1
	v_cmp_gt_u32_e32 vcc, 8, v2
	v_lshrrev_b32_e32 v3, 3, v2
	v_sub_u32_e32 v1, 29, v1
	v_cndmask_b32_e32 v2, 0, v4, vcc
	v_cndmask_b32_e32 v1, v3, v1, vcc
	v_lshlrev_b64 v[2:3], v2, v[18:19]
	v_lshlrev_b32_e32 v2, 20, v2
	v_lshlrev_b32_e32 v3, 24, v18
	v_and_b32_e32 v2, 0x700000, v2
	v_and_b32_e32 v3, 0x80000000, v3
	v_lshl_add_u32 v1, v1, 23, v49
	v_or3_b32 v1, v3, v1, v2
.LBB2_2464:                             ;   in Loop: Header=BB2_2439 Depth=2
	s_or_b64 exec, exec, s[56:57]
.LBB2_2465:                             ;   in Loop: Header=BB2_2439 Depth=2
	s_or_b64 exec, exec, s[20:21]
.LBB2_2466:                             ;   in Loop: Header=BB2_2439 Depth=2
	s_or_b64 exec, exec, s[18:19]
	v_max_f32_e32 v1, v1, v1
	v_max_f32_e32 v0, v0, v0
	v_min_f32_e32 v1, v0, v1
.LBB2_2467:                             ;   in Loop: Header=BB2_2439 Depth=2
	v_and_b32_sdwa v0, v1, s68 dst_sel:DWORD dst_unused:UNUSED_PAD src0_sel:BYTE_3 src1_sel:DWORD
	v_and_b32_e32 v2, 0x7f800000, v1
	v_mov_b32_e32 v3, v53
	v_and_b32_e32 v52, 0x7fffff, v1
	v_or_b32_e32 v30, 0x7e, v0
	v_cmp_ne_u64_e32 vcc, s[40:41], v[2:3]
	s_and_saveexec_b64 s[18:19], vcc
	s_xor_b64 s[20:21], exec, s[18:19]
	s_cbranch_execz .LBB2_2477
; %bb.2468:                             ;   in Loop: Header=BB2_2439 Depth=2
	v_and_b32_e32 v2, 0x7fffffff, v1
	v_mov_b32_e32 v3, v53
	v_cmp_gt_u64_e32 vcc, s[42:43], v[2:3]
	s_and_saveexec_b64 s[56:57], vcc
	s_cbranch_execz .LBB2_2476
; %bb.2469:                             ;   in Loop: Header=BB2_2439 Depth=2
	v_cmp_ne_u32_e32 vcc, 0, v1
	v_mov_b32_e32 v30, 0
	s_and_saveexec_b64 s[58:59], vcc
	s_cbranch_execz .LBB2_2475
; %bb.2470:                             ;   in Loop: Header=BB2_2439 Depth=2
	v_bfe_u32 v1, v1, 23, 8
	v_sub_u32_e32 v3, 0x79, v1
	v_cmp_gt_u32_e32 vcc, s72, v1
	v_add_u32_e32 v2, 0xffffff81, v1
	v_cndmask_b32_e32 v3, 0, v3, vcc
	v_cmp_eq_u32_e32 vcc, 0, v1
	v_mov_b32_e32 v1, 0xffffff82
	v_cndmask_b32_e32 v1, v2, v1, vcc
	v_mov_b32_e32 v2, 0x78
	v_or_b32_e32 v4, 0x800000, v52
	v_cndmask_b32_e32 v5, v3, v2, vcc
	v_cndmask_b32_e32 v52, v4, v52, vcc
	v_add_u32_e32 v2, 20, v5
	v_lshlrev_b64 v[2:3], v2, -1
	v_add_u32_e32 v4, 19, v5
	v_lshrrev_b64 v[28:29], v5, v[52:53]
	v_not_b32_e32 v3, v3
	v_not_b32_e32 v2, v2
	v_lshlrev_b64 v[26:27], v4, 1
	v_lshrrev_b32_e32 v4, 23, v28
	v_and_b32_e32 v3, 0, v3
	v_and_b32_e32 v2, v52, v2
	v_add3_u32 v5, v5, v1, v4
	v_bfe_u32 v1, v28, 20, 1
	v_add_u32_e32 v1, -1, v1
	v_cmp_eq_u64_e32 vcc, v[2:3], v[26:27]
	v_cndmask_b32_e32 v1, 0, v1, vcc
	v_add_u32_e32 v1, v1, v28
	v_and_b32_e32 v1, 0xfffff, v1
	v_add_co_u32_e32 v2, vcc, v1, v28
	v_add_u32_e32 v4, 6, v5
	v_addc_co_u32_e32 v3, vcc, 0, v29, vcc
	v_cmp_ne_u32_e32 vcc, 0, v4
                                        ; implicit-def: $vgpr1
	s_and_saveexec_b64 s[18:19], vcc
	s_xor_b64 s[18:19], exec, s[18:19]
; %bb.2471:                             ;   in Loop: Header=BB2_2439 Depth=2
	v_add_u32_e32 v1, 7, v5
	v_cmp_lt_u64_e32 vcc, s[46:47], v[2:3]
	v_cndmask_b32_e32 v1, v4, v1, vcc
	v_cndmask_b32_e64 v4, 0, 1, vcc
	v_lshrrev_b64 v[2:3], v4, v[2:3]
; %bb.2472:                             ;   in Loop: Header=BB2_2439 Depth=2
	s_andn2_saveexec_b64 s[18:19], s[18:19]
; %bb.2473:                             ;   in Loop: Header=BB2_2439 Depth=2
	v_bfe_u32 v1, v2, 23, 1
; %bb.2474:                             ;   in Loop: Header=BB2_2439 Depth=2
	s_or_b64 exec, exec, s[18:19]
	v_lshrrev_b64 v[2:3], 20, v[2:3]
	v_cmp_gt_i32_e32 vcc, 16, v1
	v_cndmask_b32_e32 v3, 0, v3, vcc
	v_cndmask_b32_e32 v2, 7, v2, vcc
	v_cmp_eq_u32_e32 vcc, 0, v1
	v_min_i32_e32 v1, 15, v1
	v_cmp_eq_u64_e64 s[18:19], 0, v[2:3]
	v_lshlrev_b32_e32 v1, 3, v1
	v_and_or_b32 v1, v2, 7, v1
	s_and_b64 s[18:19], vcc, s[18:19]
	v_cndmask_b32_e64 v1, v1, 0, s[18:19]
	v_or_b32_e32 v30, v1, v0
.LBB2_2475:                             ;   in Loop: Header=BB2_2439 Depth=2
	s_or_b64 exec, exec, s[58:59]
.LBB2_2476:                             ;   in Loop: Header=BB2_2439 Depth=2
	s_or_b64 exec, exec, s[56:57]
                                        ; implicit-def: $vgpr1
.LBB2_2477:                             ;   in Loop: Header=BB2_2439 Depth=2
	s_andn2_saveexec_b64 s[18:19], s[20:21]
; %bb.2478:                             ;   in Loop: Header=BB2_2439 Depth=2
	v_or_b32_sdwa v0, v1, s69 dst_sel:DWORD dst_unused:UNUSED_PAD src0_sel:BYTE_3 src1_sel:DWORD
	v_cmp_eq_u64_e32 vcc, 0, v[52:53]
	v_cndmask_b32_e32 v30, v0, v30, vcc
; %bb.2479:                             ;   in Loop: Header=BB2_2439 Depth=2
	s_or_b64 exec, exec, s[18:19]
	v_lshrrev_b16_e32 v28, 8, v22
	s_waitcnt vmcnt(1)
	v_lshrrev_b16_e32 v2, 8, v18
	v_cmp_ne_u16_e64 s[18:19], 0, v28
	s_and_b64 vcc, exec, s[54:55]
	s_cbranch_vccz .LBB2_2493
; %bb.2480:                             ;   in Loop: Header=BB2_2439 Depth=2
	v_mov_b32_e32 v1, 0
	v_mov_b32_e32 v0, 0
	s_and_saveexec_b64 s[20:21], s[18:19]
	s_cbranch_execz .LBB2_2486
; %bb.2481:                             ;   in Loop: Header=BB2_2439 Depth=2
	v_cmp_ne_u16_e32 vcc, s68, v28
	v_bfrev_b32_e32 v0, 1
	s_and_saveexec_b64 s[56:57], vcc
	s_cbranch_execz .LBB2_2485
; %bb.2482:                             ;   in Loop: Header=BB2_2439 Depth=2
	v_and_b32_e32 v3, 0x7f, v28
	v_cmp_ne_u32_e32 vcc, s69, v3
	v_mov_b32_e32 v0, 0x7f800001
	s_and_saveexec_b64 s[58:59], vcc
	s_cbranch_execz .LBB2_2484
; %bb.2483:                             ;   in Loop: Header=BB2_2439 Depth=2
	v_and_b32_e32 v0, 7, v28
	v_ffbh_u32_e32 v4, v0
	v_min_u32_e32 v27, 32, v4
	v_subrev_u32_e32 v4, 28, v27
	v_lshlrev_b64 v[4:5], v4, v[28:29]
	v_lshrrev_b32_e32 v26, 3, v3
	v_sub_u32_e32 v5, 29, v27
	v_and_b32_e32 v4, 7, v4
	v_cmp_gt_u32_e32 vcc, 8, v3
	v_cndmask_b32_e32 v3, v26, v5, vcc
	v_cndmask_b32_e32 v0, v0, v4, vcc
	v_lshlrev_b32_e32 v4, 16, v22
	v_lshlrev_b32_e32 v0, 20, v0
	v_and_b32_e32 v4, 0x80000000, v4
	v_lshl_add_u32 v3, v3, 23, v49
	v_or3_b32 v0, v4, v3, v0
.LBB2_2484:                             ;   in Loop: Header=BB2_2439 Depth=2
	s_or_b64 exec, exec, s[58:59]
.LBB2_2485:                             ;   in Loop: Header=BB2_2439 Depth=2
	s_or_b64 exec, exec, s[56:57]
.LBB2_2486:                             ;   in Loop: Header=BB2_2439 Depth=2
	s_or_b64 exec, exec, s[20:21]
	v_cmp_ne_u16_e32 vcc, 0, v2
	s_and_saveexec_b64 s[20:21], vcc
	s_cbranch_execz .LBB2_2492
; %bb.2487:                             ;   in Loop: Header=BB2_2439 Depth=2
	v_cmp_ne_u16_e32 vcc, s68, v2
	v_bfrev_b32_e32 v1, 1
	s_and_saveexec_b64 s[56:57], vcc
	s_cbranch_execz .LBB2_2491
; %bb.2488:                             ;   in Loop: Header=BB2_2439 Depth=2
	v_and_b32_e32 v3, 0x7f, v2
	v_cmp_ne_u32_e32 vcc, s69, v3
	v_mov_b32_e32 v1, 0x7f800001
	s_and_saveexec_b64 s[58:59], vcc
	s_cbranch_execz .LBB2_2490
; %bb.2489:                             ;   in Loop: Header=BB2_2439 Depth=2
	v_and_b32_e32 v1, 7, v2
	v_ffbh_u32_e32 v4, v1
	v_min_u32_e32 v27, 32, v4
	v_subrev_u32_e32 v4, 28, v27
	v_lshlrev_b64 v[4:5], v4, v[2:3]
	v_lshrrev_b32_e32 v26, 3, v3
	v_sub_u32_e32 v5, 29, v27
	v_and_b32_e32 v4, 7, v4
	v_cmp_gt_u32_e32 vcc, 8, v3
	v_cndmask_b32_e32 v3, v26, v5, vcc
	v_cndmask_b32_e32 v1, v1, v4, vcc
	v_lshlrev_b32_e32 v4, 16, v18
	v_lshlrev_b32_e32 v1, 20, v1
	v_and_b32_e32 v4, 0x80000000, v4
	v_lshl_add_u32 v3, v3, 23, v49
	v_or3_b32 v1, v4, v3, v1
.LBB2_2490:                             ;   in Loop: Header=BB2_2439 Depth=2
	s_or_b64 exec, exec, s[58:59]
.LBB2_2491:                             ;   in Loop: Header=BB2_2439 Depth=2
	s_or_b64 exec, exec, s[56:57]
.LBB2_2492:                             ;   in Loop: Header=BB2_2439 Depth=2
	s_or_b64 exec, exec, s[20:21]
	v_max_f32_e32 v1, v1, v1
	v_max_f32_e32 v0, v0, v0
	;; [unrolled: 1-line block ×3, first 2 shown]
	s_branch .LBB2_2507
.LBB2_2493:                             ;   in Loop: Header=BB2_2439 Depth=2
                                        ; implicit-def: $vgpr1
	s_cbranch_execz .LBB2_2507
; %bb.2494:                             ;   in Loop: Header=BB2_2439 Depth=2
	v_mov_b32_e32 v1, 0
	v_mov_b32_e32 v0, 0
	s_and_saveexec_b64 s[20:21], s[18:19]
	s_cbranch_execz .LBB2_2500
; %bb.2495:                             ;   in Loop: Header=BB2_2439 Depth=2
	v_cmp_ne_u16_e32 vcc, s68, v28
	v_bfrev_b32_e32 v0, 1
	s_and_saveexec_b64 s[18:19], vcc
	s_cbranch_execz .LBB2_2499
; %bb.2496:                             ;   in Loop: Header=BB2_2439 Depth=2
	v_and_b32_e32 v3, 0x7f, v28
	v_cmp_ne_u32_e32 vcc, s69, v3
	v_mov_b32_e32 v0, 0x7f800001
	s_and_saveexec_b64 s[56:57], vcc
	s_cbranch_execz .LBB2_2498
; %bb.2497:                             ;   in Loop: Header=BB2_2439 Depth=2
	v_and_b32_e32 v0, 7, v28
	v_ffbh_u32_e32 v4, v0
	v_min_u32_e32 v27, 32, v4
	v_subrev_u32_e32 v4, 28, v27
	v_lshlrev_b64 v[4:5], v4, v[28:29]
	v_lshrrev_b32_e32 v26, 3, v3
	v_sub_u32_e32 v5, 29, v27
	v_and_b32_e32 v4, 7, v4
	v_cmp_gt_u32_e32 vcc, 8, v3
	v_cndmask_b32_e32 v3, v26, v5, vcc
	v_cndmask_b32_e32 v0, v0, v4, vcc
	v_lshlrev_b32_e32 v4, 16, v22
	v_lshlrev_b32_e32 v0, 20, v0
	v_and_b32_e32 v4, 0x80000000, v4
	v_lshl_add_u32 v3, v3, 23, v49
	v_or3_b32 v0, v4, v3, v0
.LBB2_2498:                             ;   in Loop: Header=BB2_2439 Depth=2
	s_or_b64 exec, exec, s[56:57]
.LBB2_2499:                             ;   in Loop: Header=BB2_2439 Depth=2
	s_or_b64 exec, exec, s[18:19]
.LBB2_2500:                             ;   in Loop: Header=BB2_2439 Depth=2
	s_or_b64 exec, exec, s[20:21]
	v_cmp_ne_u16_e32 vcc, 0, v2
	s_and_saveexec_b64 s[18:19], vcc
	s_cbranch_execz .LBB2_2506
; %bb.2501:                             ;   in Loop: Header=BB2_2439 Depth=2
	v_cmp_ne_u16_e32 vcc, s68, v2
	v_bfrev_b32_e32 v1, 1
	s_and_saveexec_b64 s[20:21], vcc
	s_cbranch_execz .LBB2_2505
; %bb.2502:                             ;   in Loop: Header=BB2_2439 Depth=2
	v_and_b32_e32 v3, 0x7f, v2
	v_cmp_ne_u32_e32 vcc, s69, v3
	v_mov_b32_e32 v1, 0x7f800001
	s_and_saveexec_b64 s[56:57], vcc
	s_cbranch_execz .LBB2_2504
; %bb.2503:                             ;   in Loop: Header=BB2_2439 Depth=2
	v_and_b32_e32 v1, 7, v2
	v_ffbh_u32_e32 v4, v1
	v_min_u32_e32 v27, 32, v4
	v_subrev_u32_e32 v4, 28, v27
	v_lshlrev_b64 v[4:5], v4, v[2:3]
	v_lshrrev_b32_e32 v26, 3, v3
	v_sub_u32_e32 v2, 29, v27
	v_and_b32_e32 v4, 7, v4
	v_cmp_gt_u32_e32 vcc, 8, v3
	v_cndmask_b32_e32 v2, v26, v2, vcc
	v_cndmask_b32_e32 v1, v1, v4, vcc
	v_lshlrev_b32_e32 v3, 16, v18
	v_lshlrev_b32_e32 v1, 20, v1
	v_and_b32_e32 v3, 0x80000000, v3
	v_lshl_add_u32 v2, v2, 23, v49
	v_or3_b32 v1, v3, v2, v1
.LBB2_2504:                             ;   in Loop: Header=BB2_2439 Depth=2
	s_or_b64 exec, exec, s[56:57]
.LBB2_2505:                             ;   in Loop: Header=BB2_2439 Depth=2
	s_or_b64 exec, exec, s[20:21]
.LBB2_2506:                             ;   in Loop: Header=BB2_2439 Depth=2
	s_or_b64 exec, exec, s[18:19]
	v_max_f32_e32 v1, v1, v1
	v_max_f32_e32 v0, v0, v0
	v_min_f32_e32 v1, v0, v1
.LBB2_2507:                             ;   in Loop: Header=BB2_2439 Depth=2
	v_and_b32_sdwa v0, v1, s68 dst_sel:DWORD dst_unused:UNUSED_PAD src0_sel:BYTE_3 src1_sel:DWORD
	v_and_b32_e32 v2, 0x7f800000, v1
	v_mov_b32_e32 v3, v53
	v_and_b32_e32 v52, 0x7fffff, v1
	v_or_b32_e32 v40, 0x7e, v0
	v_cmp_ne_u64_e32 vcc, s[40:41], v[2:3]
	s_and_saveexec_b64 s[18:19], vcc
	s_xor_b64 s[20:21], exec, s[18:19]
	s_cbranch_execz .LBB2_2517
; %bb.2508:                             ;   in Loop: Header=BB2_2439 Depth=2
	v_and_b32_e32 v2, 0x7fffffff, v1
	v_mov_b32_e32 v3, v53
	v_cmp_gt_u64_e32 vcc, s[42:43], v[2:3]
	s_and_saveexec_b64 s[56:57], vcc
	s_cbranch_execz .LBB2_2516
; %bb.2509:                             ;   in Loop: Header=BB2_2439 Depth=2
	v_cmp_ne_u32_e32 vcc, 0, v1
	v_mov_b32_e32 v40, 0
	s_and_saveexec_b64 s[58:59], vcc
	s_cbranch_execz .LBB2_2515
; %bb.2510:                             ;   in Loop: Header=BB2_2439 Depth=2
	v_bfe_u32 v1, v1, 23, 8
	v_sub_u32_e32 v3, 0x79, v1
	v_cmp_gt_u32_e32 vcc, s72, v1
	v_add_u32_e32 v2, 0xffffff81, v1
	v_cndmask_b32_e32 v3, 0, v3, vcc
	v_cmp_eq_u32_e32 vcc, 0, v1
	v_mov_b32_e32 v1, 0xffffff82
	v_cndmask_b32_e32 v1, v2, v1, vcc
	v_mov_b32_e32 v2, 0x78
	v_or_b32_e32 v4, 0x800000, v52
	v_cndmask_b32_e32 v5, v3, v2, vcc
	v_cndmask_b32_e32 v52, v4, v52, vcc
	v_add_u32_e32 v2, 20, v5
	v_lshlrev_b64 v[2:3], v2, -1
	v_add_u32_e32 v4, 19, v5
	v_lshrrev_b64 v[28:29], v5, v[52:53]
	v_not_b32_e32 v3, v3
	v_not_b32_e32 v2, v2
	v_lshlrev_b64 v[26:27], v4, 1
	v_lshrrev_b32_e32 v4, 23, v28
	v_and_b32_e32 v3, 0, v3
	v_and_b32_e32 v2, v52, v2
	v_add3_u32 v5, v5, v1, v4
	v_bfe_u32 v1, v28, 20, 1
	v_add_u32_e32 v1, -1, v1
	v_cmp_eq_u64_e32 vcc, v[2:3], v[26:27]
	v_cndmask_b32_e32 v1, 0, v1, vcc
	v_add_u32_e32 v1, v1, v28
	v_and_b32_e32 v1, 0xfffff, v1
	v_add_co_u32_e32 v2, vcc, v1, v28
	v_add_u32_e32 v4, 6, v5
	v_addc_co_u32_e32 v3, vcc, 0, v29, vcc
	v_cmp_ne_u32_e32 vcc, 0, v4
                                        ; implicit-def: $vgpr1
	s_and_saveexec_b64 s[18:19], vcc
	s_xor_b64 s[18:19], exec, s[18:19]
; %bb.2511:                             ;   in Loop: Header=BB2_2439 Depth=2
	v_add_u32_e32 v1, 7, v5
	v_cmp_lt_u64_e32 vcc, s[46:47], v[2:3]
	v_cndmask_b32_e32 v1, v4, v1, vcc
	v_cndmask_b32_e64 v4, 0, 1, vcc
	v_lshrrev_b64 v[2:3], v4, v[2:3]
; %bb.2512:                             ;   in Loop: Header=BB2_2439 Depth=2
	s_andn2_saveexec_b64 s[18:19], s[18:19]
; %bb.2513:                             ;   in Loop: Header=BB2_2439 Depth=2
	v_bfe_u32 v1, v2, 23, 1
; %bb.2514:                             ;   in Loop: Header=BB2_2439 Depth=2
	s_or_b64 exec, exec, s[18:19]
	v_lshrrev_b64 v[2:3], 20, v[2:3]
	v_cmp_gt_i32_e32 vcc, 16, v1
	v_cndmask_b32_e32 v3, 0, v3, vcc
	v_cndmask_b32_e32 v2, 7, v2, vcc
	v_cmp_eq_u32_e32 vcc, 0, v1
	v_min_i32_e32 v1, 15, v1
	v_cmp_eq_u64_e64 s[18:19], 0, v[2:3]
	v_lshlrev_b32_e32 v1, 3, v1
	v_and_or_b32 v1, v2, 7, v1
	s_and_b64 s[18:19], vcc, s[18:19]
	v_cndmask_b32_e64 v1, v1, 0, s[18:19]
	v_or_b32_e32 v40, v1, v0
.LBB2_2515:                             ;   in Loop: Header=BB2_2439 Depth=2
	s_or_b64 exec, exec, s[58:59]
.LBB2_2516:                             ;   in Loop: Header=BB2_2439 Depth=2
	s_or_b64 exec, exec, s[56:57]
                                        ; implicit-def: $vgpr1
.LBB2_2517:                             ;   in Loop: Header=BB2_2439 Depth=2
	s_andn2_saveexec_b64 s[18:19], s[20:21]
; %bb.2518:                             ;   in Loop: Header=BB2_2439 Depth=2
	v_or_b32_sdwa v0, v1, s69 dst_sel:DWORD dst_unused:UNUSED_PAD src0_sel:BYTE_3 src1_sel:DWORD
	v_cmp_eq_u64_e32 vcc, 0, v[52:53]
	v_cndmask_b32_e32 v40, v0, v40, vcc
; %bb.2519:                             ;   in Loop: Header=BB2_2439 Depth=2
	s_or_b64 exec, exec, s[18:19]
	v_lshrrev_b32_e32 v28, 16, v22
	v_lshrrev_b32_e32 v2, 16, v18
	v_cmp_ne_u16_sdwa s[18:19], v28, v53 src0_sel:BYTE_0 src1_sel:DWORD
	s_and_b64 vcc, exec, s[54:55]
	s_cbranch_vccz .LBB2_2533
; %bb.2520:                             ;   in Loop: Header=BB2_2439 Depth=2
	v_mov_b32_e32 v1, 0
	v_mov_b32_e32 v0, 0
	s_and_saveexec_b64 s[20:21], s[18:19]
	s_cbranch_execz .LBB2_2526
; %bb.2521:                             ;   in Loop: Header=BB2_2439 Depth=2
	v_cmp_ne_u16_sdwa vcc, v28, s68 src0_sel:BYTE_0 src1_sel:DWORD
	v_bfrev_b32_e32 v0, 1
	s_and_saveexec_b64 s[56:57], vcc
	s_cbranch_execz .LBB2_2525
; %bb.2522:                             ;   in Loop: Header=BB2_2439 Depth=2
	v_bfe_u32 v3, v22, 16, 7
	v_cmp_ne_u32_e32 vcc, s69, v3
	v_mov_b32_e32 v0, 0x7f800001
	s_and_saveexec_b64 s[58:59], vcc
	s_cbranch_execz .LBB2_2524
; %bb.2523:                             ;   in Loop: Header=BB2_2439 Depth=2
	v_and_b32_e32 v0, 7, v28
	v_ffbh_u32_e32 v4, v0
	v_min_u32_e32 v27, 32, v4
	v_subrev_u32_e32 v4, 28, v27
	v_lshlrev_b64 v[4:5], v4, v[28:29]
	v_lshrrev_b32_e32 v26, 3, v3
	v_sub_u32_e32 v5, 29, v27
	v_and_b32_e32 v4, 7, v4
	v_cmp_gt_u32_e32 vcc, 8, v3
	v_cndmask_b32_e32 v3, v26, v5, vcc
	v_cndmask_b32_e32 v0, v0, v4, vcc
	v_lshlrev_b32_e32 v4, 24, v28
	v_lshlrev_b32_e32 v0, 20, v0
	v_and_b32_e32 v4, 0x80000000, v4
	v_lshl_add_u32 v3, v3, 23, v49
	v_or3_b32 v0, v4, v3, v0
.LBB2_2524:                             ;   in Loop: Header=BB2_2439 Depth=2
	s_or_b64 exec, exec, s[58:59]
.LBB2_2525:                             ;   in Loop: Header=BB2_2439 Depth=2
	s_or_b64 exec, exec, s[56:57]
.LBB2_2526:                             ;   in Loop: Header=BB2_2439 Depth=2
	s_or_b64 exec, exec, s[20:21]
	v_cmp_ne_u16_sdwa vcc, v2, v53 src0_sel:BYTE_0 src1_sel:DWORD
	s_and_saveexec_b64 s[20:21], vcc
	s_cbranch_execz .LBB2_2532
; %bb.2527:                             ;   in Loop: Header=BB2_2439 Depth=2
	v_cmp_ne_u16_sdwa vcc, v2, s68 src0_sel:BYTE_0 src1_sel:DWORD
	v_bfrev_b32_e32 v1, 1
	s_and_saveexec_b64 s[56:57], vcc
	s_cbranch_execz .LBB2_2531
; %bb.2528:                             ;   in Loop: Header=BB2_2439 Depth=2
	v_bfe_u32 v3, v18, 16, 7
	v_cmp_ne_u32_e32 vcc, s69, v3
	v_mov_b32_e32 v1, 0x7f800001
	s_and_saveexec_b64 s[58:59], vcc
	s_cbranch_execz .LBB2_2530
; %bb.2529:                             ;   in Loop: Header=BB2_2439 Depth=2
	v_and_b32_e32 v1, 7, v2
	v_ffbh_u32_e32 v4, v1
	v_min_u32_e32 v27, 32, v4
	v_subrev_u32_e32 v4, 28, v27
	v_lshlrev_b64 v[4:5], v4, v[2:3]
	v_lshrrev_b32_e32 v26, 3, v3
	v_sub_u32_e32 v5, 29, v27
	v_and_b32_e32 v4, 7, v4
	v_cmp_gt_u32_e32 vcc, 8, v3
	v_cndmask_b32_e32 v3, v26, v5, vcc
	v_cndmask_b32_e32 v1, v1, v4, vcc
	v_lshlrev_b32_e32 v4, 24, v2
	v_lshlrev_b32_e32 v1, 20, v1
	v_and_b32_e32 v4, 0x80000000, v4
	v_lshl_add_u32 v3, v3, 23, v49
	v_or3_b32 v1, v4, v3, v1
.LBB2_2530:                             ;   in Loop: Header=BB2_2439 Depth=2
	s_or_b64 exec, exec, s[58:59]
.LBB2_2531:                             ;   in Loop: Header=BB2_2439 Depth=2
	s_or_b64 exec, exec, s[56:57]
.LBB2_2532:                             ;   in Loop: Header=BB2_2439 Depth=2
	s_or_b64 exec, exec, s[20:21]
	v_max_f32_e32 v1, v1, v1
	v_max_f32_e32 v0, v0, v0
	;; [unrolled: 1-line block ×3, first 2 shown]
	s_branch .LBB2_2547
.LBB2_2533:                             ;   in Loop: Header=BB2_2439 Depth=2
                                        ; implicit-def: $vgpr1
	s_cbranch_execz .LBB2_2547
; %bb.2534:                             ;   in Loop: Header=BB2_2439 Depth=2
	v_mov_b32_e32 v1, 0
	v_mov_b32_e32 v0, 0
	s_and_saveexec_b64 s[20:21], s[18:19]
	s_cbranch_execz .LBB2_2540
; %bb.2535:                             ;   in Loop: Header=BB2_2439 Depth=2
	v_cmp_ne_u16_sdwa vcc, v28, s68 src0_sel:BYTE_0 src1_sel:DWORD
	v_bfrev_b32_e32 v0, 1
	s_and_saveexec_b64 s[18:19], vcc
	s_cbranch_execz .LBB2_2539
; %bb.2536:                             ;   in Loop: Header=BB2_2439 Depth=2
	v_bfe_u32 v3, v22, 16, 7
	v_cmp_ne_u32_e32 vcc, s69, v3
	v_mov_b32_e32 v0, 0x7f800001
	s_and_saveexec_b64 s[56:57], vcc
	s_cbranch_execz .LBB2_2538
; %bb.2537:                             ;   in Loop: Header=BB2_2439 Depth=2
	v_and_b32_e32 v0, 7, v28
	v_ffbh_u32_e32 v4, v0
	v_min_u32_e32 v27, 32, v4
	v_subrev_u32_e32 v4, 28, v27
	v_lshlrev_b64 v[4:5], v4, v[28:29]
	v_lshrrev_b32_e32 v26, 3, v3
	v_sub_u32_e32 v5, 29, v27
	v_and_b32_e32 v4, 7, v4
	v_cmp_gt_u32_e32 vcc, 8, v3
	v_cndmask_b32_e32 v3, v26, v5, vcc
	v_cndmask_b32_e32 v0, v0, v4, vcc
	v_lshlrev_b32_e32 v4, 24, v28
	v_lshlrev_b32_e32 v0, 20, v0
	v_and_b32_e32 v4, 0x80000000, v4
	v_lshl_add_u32 v3, v3, 23, v49
	v_or3_b32 v0, v4, v3, v0
.LBB2_2538:                             ;   in Loop: Header=BB2_2439 Depth=2
	s_or_b64 exec, exec, s[56:57]
.LBB2_2539:                             ;   in Loop: Header=BB2_2439 Depth=2
	s_or_b64 exec, exec, s[18:19]
.LBB2_2540:                             ;   in Loop: Header=BB2_2439 Depth=2
	s_or_b64 exec, exec, s[20:21]
	v_cmp_ne_u16_sdwa s[20:21], v2, v53 src0_sel:BYTE_0 src1_sel:DWORD
	s_and_saveexec_b64 s[18:19], s[20:21]
	s_cbranch_execz .LBB2_2546
; %bb.2541:                             ;   in Loop: Header=BB2_2439 Depth=2
	v_cmp_ne_u16_sdwa vcc, v2, s68 src0_sel:BYTE_0 src1_sel:DWORD
	v_bfrev_b32_e32 v1, 1
	s_and_saveexec_b64 s[20:21], vcc
	s_cbranch_execz .LBB2_2545
; %bb.2542:                             ;   in Loop: Header=BB2_2439 Depth=2
	v_bfe_u32 v3, v18, 16, 7
	v_cmp_ne_u32_e32 vcc, s69, v3
	v_mov_b32_e32 v1, 0x7f800001
	s_and_saveexec_b64 s[56:57], vcc
	s_cbranch_execz .LBB2_2544
; %bb.2543:                             ;   in Loop: Header=BB2_2439 Depth=2
	v_and_b32_e32 v1, 7, v2
	v_ffbh_u32_e32 v4, v1
	v_min_u32_e32 v27, 32, v4
	v_subrev_u32_e32 v4, 28, v27
	v_lshlrev_b64 v[4:5], v4, v[2:3]
	v_lshrrev_b32_e32 v26, 3, v3
	v_sub_u32_e32 v5, 29, v27
	v_and_b32_e32 v4, 7, v4
	v_cmp_gt_u32_e32 vcc, 8, v3
	v_cndmask_b32_e32 v3, v26, v5, vcc
	v_cndmask_b32_e32 v1, v1, v4, vcc
	v_lshlrev_b32_e32 v2, 24, v2
	v_lshlrev_b32_e32 v1, 20, v1
	v_and_b32_e32 v2, 0x80000000, v2
	v_lshl_add_u32 v3, v3, 23, v49
	v_or3_b32 v1, v2, v3, v1
.LBB2_2544:                             ;   in Loop: Header=BB2_2439 Depth=2
	s_or_b64 exec, exec, s[56:57]
.LBB2_2545:                             ;   in Loop: Header=BB2_2439 Depth=2
	s_or_b64 exec, exec, s[20:21]
.LBB2_2546:                             ;   in Loop: Header=BB2_2439 Depth=2
	s_or_b64 exec, exec, s[18:19]
	v_max_f32_e32 v1, v1, v1
	v_max_f32_e32 v0, v0, v0
	v_min_f32_e32 v1, v0, v1
.LBB2_2547:                             ;   in Loop: Header=BB2_2439 Depth=2
	v_and_b32_sdwa v0, v1, s68 dst_sel:DWORD dst_unused:UNUSED_PAD src0_sel:BYTE_3 src1_sel:DWORD
	v_and_b32_e32 v2, 0x7f800000, v1
	v_mov_b32_e32 v3, v53
	v_and_b32_e32 v52, 0x7fffff, v1
	v_or_b32_e32 v51, 0x7e, v0
	v_cmp_ne_u64_e32 vcc, s[40:41], v[2:3]
	s_and_saveexec_b64 s[18:19], vcc
	s_xor_b64 s[20:21], exec, s[18:19]
	s_cbranch_execz .LBB2_2557
; %bb.2548:                             ;   in Loop: Header=BB2_2439 Depth=2
	v_and_b32_e32 v2, 0x7fffffff, v1
	v_mov_b32_e32 v3, v53
	v_cmp_gt_u64_e32 vcc, s[42:43], v[2:3]
	s_and_saveexec_b64 s[56:57], vcc
	s_cbranch_execz .LBB2_2556
; %bb.2549:                             ;   in Loop: Header=BB2_2439 Depth=2
	v_cmp_ne_u32_e32 vcc, 0, v1
	v_mov_b32_e32 v51, 0
	s_and_saveexec_b64 s[58:59], vcc
	s_cbranch_execz .LBB2_2555
; %bb.2550:                             ;   in Loop: Header=BB2_2439 Depth=2
	v_bfe_u32 v1, v1, 23, 8
	v_sub_u32_e32 v3, 0x79, v1
	v_cmp_gt_u32_e32 vcc, s72, v1
	v_add_u32_e32 v2, 0xffffff81, v1
	v_cndmask_b32_e32 v3, 0, v3, vcc
	v_cmp_eq_u32_e32 vcc, 0, v1
	v_mov_b32_e32 v1, 0xffffff82
	v_cndmask_b32_e32 v1, v2, v1, vcc
	v_mov_b32_e32 v2, 0x78
	v_or_b32_e32 v4, 0x800000, v52
	v_cndmask_b32_e32 v5, v3, v2, vcc
	v_cndmask_b32_e32 v52, v4, v52, vcc
	v_add_u32_e32 v2, 20, v5
	v_lshlrev_b64 v[2:3], v2, -1
	v_add_u32_e32 v4, 19, v5
	v_lshrrev_b64 v[28:29], v5, v[52:53]
	v_not_b32_e32 v3, v3
	v_not_b32_e32 v2, v2
	v_lshlrev_b64 v[26:27], v4, 1
	v_lshrrev_b32_e32 v4, 23, v28
	v_and_b32_e32 v3, 0, v3
	v_and_b32_e32 v2, v52, v2
	v_add3_u32 v5, v5, v1, v4
	v_bfe_u32 v1, v28, 20, 1
	v_add_u32_e32 v1, -1, v1
	v_cmp_eq_u64_e32 vcc, v[2:3], v[26:27]
	v_cndmask_b32_e32 v1, 0, v1, vcc
	v_add_u32_e32 v1, v1, v28
	v_and_b32_e32 v1, 0xfffff, v1
	v_add_co_u32_e32 v2, vcc, v1, v28
	v_add_u32_e32 v4, 6, v5
	v_addc_co_u32_e32 v3, vcc, 0, v29, vcc
	v_cmp_ne_u32_e32 vcc, 0, v4
                                        ; implicit-def: $vgpr1
	s_and_saveexec_b64 s[18:19], vcc
	s_xor_b64 s[18:19], exec, s[18:19]
; %bb.2551:                             ;   in Loop: Header=BB2_2439 Depth=2
	v_add_u32_e32 v1, 7, v5
	v_cmp_lt_u64_e32 vcc, s[46:47], v[2:3]
	v_cndmask_b32_e32 v1, v4, v1, vcc
	v_cndmask_b32_e64 v4, 0, 1, vcc
	v_lshrrev_b64 v[2:3], v4, v[2:3]
; %bb.2552:                             ;   in Loop: Header=BB2_2439 Depth=2
	s_andn2_saveexec_b64 s[18:19], s[18:19]
; %bb.2553:                             ;   in Loop: Header=BB2_2439 Depth=2
	v_bfe_u32 v1, v2, 23, 1
; %bb.2554:                             ;   in Loop: Header=BB2_2439 Depth=2
	s_or_b64 exec, exec, s[18:19]
	v_lshrrev_b64 v[2:3], 20, v[2:3]
	v_cmp_gt_i32_e32 vcc, 16, v1
	v_cndmask_b32_e32 v3, 0, v3, vcc
	v_cndmask_b32_e32 v2, 7, v2, vcc
	v_cmp_eq_u32_e32 vcc, 0, v1
	v_min_i32_e32 v1, 15, v1
	v_cmp_eq_u64_e64 s[18:19], 0, v[2:3]
	v_lshlrev_b32_e32 v1, 3, v1
	v_and_or_b32 v1, v2, 7, v1
	s_and_b64 s[18:19], vcc, s[18:19]
	v_cndmask_b32_e64 v1, v1, 0, s[18:19]
	v_or_b32_e32 v51, v1, v0
.LBB2_2555:                             ;   in Loop: Header=BB2_2439 Depth=2
	s_or_b64 exec, exec, s[58:59]
.LBB2_2556:                             ;   in Loop: Header=BB2_2439 Depth=2
	s_or_b64 exec, exec, s[56:57]
                                        ; implicit-def: $vgpr1
.LBB2_2557:                             ;   in Loop: Header=BB2_2439 Depth=2
	s_andn2_saveexec_b64 s[18:19], s[20:21]
; %bb.2558:                             ;   in Loop: Header=BB2_2439 Depth=2
	v_or_b32_sdwa v0, v1, s69 dst_sel:DWORD dst_unused:UNUSED_PAD src0_sel:BYTE_3 src1_sel:DWORD
	v_cmp_eq_u64_e32 vcc, 0, v[52:53]
	v_cndmask_b32_e32 v51, v0, v51, vcc
; %bb.2559:                             ;   in Loop: Header=BB2_2439 Depth=2
	s_or_b64 exec, exec, s[18:19]
	v_lshrrev_b32_e32 v28, 24, v22
	v_lshrrev_b32_e32 v2, 24, v18
	v_cmp_lt_u32_e64 s[18:19], s45, v22
	s_and_b64 vcc, exec, s[54:55]
	s_cbranch_vccz .LBB2_2573
; %bb.2560:                             ;   in Loop: Header=BB2_2439 Depth=2
	v_mov_b32_e32 v1, 0
	v_mov_b32_e32 v0, 0
	s_and_saveexec_b64 s[20:21], s[18:19]
	s_cbranch_execz .LBB2_2566
; %bb.2561:                             ;   in Loop: Header=BB2_2439 Depth=2
	v_cmp_ne_u32_e32 vcc, s68, v28
	v_bfrev_b32_e32 v0, 1
	s_and_saveexec_b64 s[56:57], vcc
	s_cbranch_execz .LBB2_2565
; %bb.2562:                             ;   in Loop: Header=BB2_2439 Depth=2
	v_bfe_u32 v3, v22, 24, 7
	v_cmp_ne_u32_e32 vcc, s69, v3
	v_mov_b32_e32 v0, 0x7f800001
	s_and_saveexec_b64 s[58:59], vcc
	s_cbranch_execz .LBB2_2564
; %bb.2563:                             ;   in Loop: Header=BB2_2439 Depth=2
	v_and_b32_e32 v0, 7, v28
	v_ffbh_u32_e32 v4, v0
	v_min_u32_e32 v27, 32, v4
	v_subrev_u32_e32 v4, 28, v27
	v_lshlrev_b64 v[4:5], v4, v[28:29]
	v_lshrrev_b32_e32 v26, 3, v3
	v_sub_u32_e32 v5, 29, v27
	v_and_b32_e32 v4, 7, v4
	v_cmp_gt_u32_e32 vcc, 8, v3
	v_cndmask_b32_e32 v3, v26, v5, vcc
	v_cndmask_b32_e32 v0, v0, v4, vcc
	v_lshlrev_b32_e32 v4, 24, v28
	v_lshlrev_b32_e32 v0, 20, v0
	v_and_b32_e32 v4, 0x80000000, v4
	v_lshl_add_u32 v3, v3, 23, v49
	v_or3_b32 v0, v4, v3, v0
.LBB2_2564:                             ;   in Loop: Header=BB2_2439 Depth=2
	s_or_b64 exec, exec, s[58:59]
.LBB2_2565:                             ;   in Loop: Header=BB2_2439 Depth=2
	s_or_b64 exec, exec, s[56:57]
.LBB2_2566:                             ;   in Loop: Header=BB2_2439 Depth=2
	s_or_b64 exec, exec, s[20:21]
	v_cmp_lt_u32_e32 vcc, s45, v18
	s_and_saveexec_b64 s[20:21], vcc
	s_cbranch_execz .LBB2_2572
; %bb.2567:                             ;   in Loop: Header=BB2_2439 Depth=2
	v_cmp_ne_u32_e32 vcc, s68, v2
	v_bfrev_b32_e32 v1, 1
	s_and_saveexec_b64 s[56:57], vcc
	s_cbranch_execz .LBB2_2571
; %bb.2568:                             ;   in Loop: Header=BB2_2439 Depth=2
	v_bfe_u32 v3, v18, 24, 7
	v_cmp_ne_u32_e32 vcc, s69, v3
	v_mov_b32_e32 v1, 0x7f800001
	s_and_saveexec_b64 s[58:59], vcc
	s_cbranch_execz .LBB2_2570
; %bb.2569:                             ;   in Loop: Header=BB2_2439 Depth=2
	v_and_b32_e32 v1, 7, v2
	v_ffbh_u32_e32 v4, v1
	v_min_u32_e32 v27, 32, v4
	v_subrev_u32_e32 v4, 28, v27
	v_lshlrev_b64 v[4:5], v4, v[2:3]
	v_lshrrev_b32_e32 v26, 3, v3
	v_sub_u32_e32 v5, 29, v27
	v_and_b32_e32 v4, 7, v4
	v_cmp_gt_u32_e32 vcc, 8, v3
	v_cndmask_b32_e32 v3, v26, v5, vcc
	v_cndmask_b32_e32 v1, v1, v4, vcc
	v_lshlrev_b32_e32 v4, 24, v2
	v_lshlrev_b32_e32 v1, 20, v1
	v_and_b32_e32 v4, 0x80000000, v4
	v_lshl_add_u32 v3, v3, 23, v49
	v_or3_b32 v1, v4, v3, v1
.LBB2_2570:                             ;   in Loop: Header=BB2_2439 Depth=2
	s_or_b64 exec, exec, s[58:59]
.LBB2_2571:                             ;   in Loop: Header=BB2_2439 Depth=2
	s_or_b64 exec, exec, s[56:57]
.LBB2_2572:                             ;   in Loop: Header=BB2_2439 Depth=2
	s_or_b64 exec, exec, s[20:21]
	v_max_f32_e32 v1, v1, v1
	v_max_f32_e32 v0, v0, v0
	;; [unrolled: 1-line block ×3, first 2 shown]
	s_branch .LBB2_2587
.LBB2_2573:                             ;   in Loop: Header=BB2_2439 Depth=2
                                        ; implicit-def: $vgpr1
	s_cbranch_execz .LBB2_2587
; %bb.2574:                             ;   in Loop: Header=BB2_2439 Depth=2
	v_mov_b32_e32 v1, 0
	v_mov_b32_e32 v0, 0
	s_and_saveexec_b64 s[20:21], s[18:19]
	s_cbranch_execz .LBB2_2580
; %bb.2575:                             ;   in Loop: Header=BB2_2439 Depth=2
	v_cmp_ne_u32_e32 vcc, s68, v28
	v_bfrev_b32_e32 v0, 1
	s_and_saveexec_b64 s[18:19], vcc
	s_cbranch_execz .LBB2_2579
; %bb.2576:                             ;   in Loop: Header=BB2_2439 Depth=2
	v_bfe_u32 v3, v22, 24, 7
	v_cmp_ne_u32_e32 vcc, s69, v3
	v_mov_b32_e32 v0, 0x7f800001
	s_and_saveexec_b64 s[56:57], vcc
	s_cbranch_execz .LBB2_2578
; %bb.2577:                             ;   in Loop: Header=BB2_2439 Depth=2
	v_and_b32_e32 v0, 7, v28
	v_ffbh_u32_e32 v4, v0
	v_min_u32_e32 v27, 32, v4
	v_subrev_u32_e32 v4, 28, v27
	v_lshlrev_b64 v[4:5], v4, v[28:29]
	v_lshrrev_b32_e32 v26, 3, v3
	v_sub_u32_e32 v5, 29, v27
	v_and_b32_e32 v4, 7, v4
	v_cmp_gt_u32_e32 vcc, 8, v3
	v_cndmask_b32_e32 v3, v26, v5, vcc
	v_cndmask_b32_e32 v0, v0, v4, vcc
	v_lshlrev_b32_e32 v4, 24, v28
	v_lshlrev_b32_e32 v0, 20, v0
	v_and_b32_e32 v4, 0x80000000, v4
	v_lshl_add_u32 v3, v3, 23, v49
	v_or3_b32 v0, v4, v3, v0
.LBB2_2578:                             ;   in Loop: Header=BB2_2439 Depth=2
	s_or_b64 exec, exec, s[56:57]
.LBB2_2579:                             ;   in Loop: Header=BB2_2439 Depth=2
	s_or_b64 exec, exec, s[18:19]
.LBB2_2580:                             ;   in Loop: Header=BB2_2439 Depth=2
	s_or_b64 exec, exec, s[20:21]
	v_cmp_lt_u32_e32 vcc, s45, v18
	s_and_saveexec_b64 s[18:19], vcc
	s_cbranch_execz .LBB2_2586
; %bb.2581:                             ;   in Loop: Header=BB2_2439 Depth=2
	v_cmp_ne_u32_e32 vcc, s68, v2
	v_bfrev_b32_e32 v1, 1
	s_and_saveexec_b64 s[20:21], vcc
	s_cbranch_execz .LBB2_2585
; %bb.2582:                             ;   in Loop: Header=BB2_2439 Depth=2
	v_bfe_u32 v3, v18, 24, 7
	v_cmp_ne_u32_e32 vcc, s69, v3
	v_mov_b32_e32 v1, 0x7f800001
	s_and_saveexec_b64 s[56:57], vcc
	s_cbranch_execz .LBB2_2584
; %bb.2583:                             ;   in Loop: Header=BB2_2439 Depth=2
	v_and_b32_e32 v1, 7, v2
	v_ffbh_u32_e32 v4, v1
	v_min_u32_e32 v27, 32, v4
	v_subrev_u32_e32 v4, 28, v27
	v_lshlrev_b64 v[4:5], v4, v[2:3]
	v_lshrrev_b32_e32 v26, 3, v3
	v_sub_u32_e32 v5, 29, v27
	v_and_b32_e32 v4, 7, v4
	v_cmp_gt_u32_e32 vcc, 8, v3
	v_cndmask_b32_e32 v3, v26, v5, vcc
	v_cndmask_b32_e32 v1, v1, v4, vcc
	v_lshlrev_b32_e32 v2, 24, v2
	v_lshlrev_b32_e32 v1, 20, v1
	v_and_b32_e32 v2, 0x80000000, v2
	v_lshl_add_u32 v3, v3, 23, v49
	v_or3_b32 v1, v2, v3, v1
.LBB2_2584:                             ;   in Loop: Header=BB2_2439 Depth=2
	s_or_b64 exec, exec, s[56:57]
.LBB2_2585:                             ;   in Loop: Header=BB2_2439 Depth=2
	s_or_b64 exec, exec, s[20:21]
.LBB2_2586:                             ;   in Loop: Header=BB2_2439 Depth=2
	s_or_b64 exec, exec, s[18:19]
	v_max_f32_e32 v1, v1, v1
	v_max_f32_e32 v0, v0, v0
	v_min_f32_e32 v1, v0, v1
.LBB2_2587:                             ;   in Loop: Header=BB2_2439 Depth=2
	v_and_b32_sdwa v0, v1, s68 dst_sel:DWORD dst_unused:UNUSED_PAD src0_sel:BYTE_3 src1_sel:DWORD
	v_and_b32_e32 v2, 0x7f800000, v1
	v_mov_b32_e32 v3, v53
	v_and_b32_e32 v52, 0x7fffff, v1
	v_or_b32_e32 v55, 0x7e, v0
	v_cmp_ne_u64_e32 vcc, s[40:41], v[2:3]
	s_and_saveexec_b64 s[18:19], vcc
	s_xor_b64 s[20:21], exec, s[18:19]
	s_cbranch_execz .LBB2_2597
; %bb.2588:                             ;   in Loop: Header=BB2_2439 Depth=2
	v_and_b32_e32 v2, 0x7fffffff, v1
	v_mov_b32_e32 v3, v53
	v_cmp_gt_u64_e32 vcc, s[42:43], v[2:3]
	s_and_saveexec_b64 s[56:57], vcc
	s_cbranch_execz .LBB2_2596
; %bb.2589:                             ;   in Loop: Header=BB2_2439 Depth=2
	v_cmp_ne_u32_e32 vcc, 0, v1
	v_mov_b32_e32 v55, 0
	s_and_saveexec_b64 s[58:59], vcc
	s_cbranch_execz .LBB2_2595
; %bb.2590:                             ;   in Loop: Header=BB2_2439 Depth=2
	v_bfe_u32 v1, v1, 23, 8
	v_sub_u32_e32 v3, 0x79, v1
	v_cmp_gt_u32_e32 vcc, s72, v1
	v_add_u32_e32 v2, 0xffffff81, v1
	v_cndmask_b32_e32 v3, 0, v3, vcc
	v_cmp_eq_u32_e32 vcc, 0, v1
	v_mov_b32_e32 v1, 0xffffff82
	v_cndmask_b32_e32 v1, v2, v1, vcc
	v_mov_b32_e32 v2, 0x78
	v_or_b32_e32 v4, 0x800000, v52
	v_cndmask_b32_e32 v5, v3, v2, vcc
	v_cndmask_b32_e32 v52, v4, v52, vcc
	v_add_u32_e32 v2, 20, v5
	v_lshlrev_b64 v[2:3], v2, -1
	v_add_u32_e32 v4, 19, v5
	v_lshrrev_b64 v[28:29], v5, v[52:53]
	v_not_b32_e32 v3, v3
	v_not_b32_e32 v2, v2
	v_lshlrev_b64 v[26:27], v4, 1
	v_lshrrev_b32_e32 v4, 23, v28
	v_and_b32_e32 v3, 0, v3
	v_and_b32_e32 v2, v52, v2
	v_add3_u32 v5, v5, v1, v4
	v_bfe_u32 v1, v28, 20, 1
	v_add_u32_e32 v1, -1, v1
	v_cmp_eq_u64_e32 vcc, v[2:3], v[26:27]
	v_cndmask_b32_e32 v1, 0, v1, vcc
	v_add_u32_e32 v1, v1, v28
	v_and_b32_e32 v1, 0xfffff, v1
	v_add_co_u32_e32 v2, vcc, v1, v28
	v_add_u32_e32 v4, 6, v5
	v_addc_co_u32_e32 v3, vcc, 0, v29, vcc
	v_cmp_ne_u32_e32 vcc, 0, v4
                                        ; implicit-def: $vgpr1
	s_and_saveexec_b64 s[18:19], vcc
	s_xor_b64 s[18:19], exec, s[18:19]
; %bb.2591:                             ;   in Loop: Header=BB2_2439 Depth=2
	v_add_u32_e32 v1, 7, v5
	v_cmp_lt_u64_e32 vcc, s[46:47], v[2:3]
	v_cndmask_b32_e32 v1, v4, v1, vcc
	v_cndmask_b32_e64 v4, 0, 1, vcc
	v_lshrrev_b64 v[2:3], v4, v[2:3]
; %bb.2592:                             ;   in Loop: Header=BB2_2439 Depth=2
	s_andn2_saveexec_b64 s[18:19], s[18:19]
; %bb.2593:                             ;   in Loop: Header=BB2_2439 Depth=2
	v_bfe_u32 v1, v2, 23, 1
; %bb.2594:                             ;   in Loop: Header=BB2_2439 Depth=2
	s_or_b64 exec, exec, s[18:19]
	v_lshrrev_b64 v[2:3], 20, v[2:3]
	v_cmp_gt_i32_e32 vcc, 16, v1
	v_cndmask_b32_e32 v3, 0, v3, vcc
	v_cndmask_b32_e32 v2, 7, v2, vcc
	v_cmp_eq_u32_e32 vcc, 0, v1
	v_min_i32_e32 v1, 15, v1
	v_cmp_eq_u64_e64 s[18:19], 0, v[2:3]
	v_lshlrev_b32_e32 v1, 3, v1
	v_and_or_b32 v1, v2, 7, v1
	s_and_b64 s[18:19], vcc, s[18:19]
	v_cndmask_b32_e64 v1, v1, 0, s[18:19]
	v_or_b32_e32 v55, v1, v0
.LBB2_2595:                             ;   in Loop: Header=BB2_2439 Depth=2
	s_or_b64 exec, exec, s[58:59]
.LBB2_2596:                             ;   in Loop: Header=BB2_2439 Depth=2
	s_or_b64 exec, exec, s[56:57]
                                        ; implicit-def: $vgpr1
.LBB2_2597:                             ;   in Loop: Header=BB2_2439 Depth=2
	s_andn2_saveexec_b64 s[18:19], s[20:21]
; %bb.2598:                             ;   in Loop: Header=BB2_2439 Depth=2
	v_or_b32_sdwa v0, v1, s69 dst_sel:DWORD dst_unused:UNUSED_PAD src0_sel:BYTE_3 src1_sel:DWORD
	v_cmp_eq_u64_e32 vcc, 0, v[52:53]
	v_cndmask_b32_e32 v55, v0, v55, vcc
; %bb.2599:                             ;   in Loop: Header=BB2_2439 Depth=2
	s_or_b64 exec, exec, s[18:19]
	v_mov_b32_e32 v52, v23
	v_mov_b32_e32 v2, v19
	;; [unrolled: 1-line block ×3, first 2 shown]
	v_cmp_ne_u16_sdwa s[18:19], v23, v53 src0_sel:BYTE_0 src1_sel:DWORD
	s_and_b64 vcc, exec, s[54:55]
	s_cbranch_vccz .LBB2_2613
; %bb.2600:                             ;   in Loop: Header=BB2_2439 Depth=2
	v_mov_b32_e32 v1, 0
	v_mov_b32_e32 v0, 0
	s_and_saveexec_b64 s[20:21], s[18:19]
	s_cbranch_execz .LBB2_2606
; %bb.2601:                             ;   in Loop: Header=BB2_2439 Depth=2
	v_cmp_ne_u16_sdwa vcc, v23, s68 src0_sel:BYTE_0 src1_sel:DWORD
	v_bfrev_b32_e32 v0, 1
	s_and_saveexec_b64 s[56:57], vcc
	s_cbranch_execz .LBB2_2605
; %bb.2602:                             ;   in Loop: Header=BB2_2439 Depth=2
	v_and_b32_e32 v4, 0x7f, v23
	v_cmp_ne_u32_e32 vcc, s69, v4
	v_mov_b32_e32 v0, 0x7f800001
	s_and_saveexec_b64 s[58:59], vcc
	s_cbranch_execz .LBB2_2604
; %bb.2603:                             ;   in Loop: Header=BB2_2439 Depth=2
	v_and_b32_e32 v0, 7, v23
	v_ffbh_u32_e32 v0, v0
	v_min_u32_e32 v0, 32, v0
	v_subrev_u32_e32 v26, 28, v0
	v_cmp_gt_u32_e32 vcc, 8, v4
	v_lshrrev_b32_e32 v5, 3, v4
	v_sub_u32_e32 v0, 29, v0
	v_cndmask_b32_e32 v4, 0, v26, vcc
	v_cndmask_b32_e32 v0, v5, v0, vcc
	v_lshlrev_b64 v[4:5], v4, v[52:53]
	v_lshlrev_b32_e32 v4, 20, v4
	v_lshlrev_b32_e32 v5, 24, v52
	v_and_b32_e32 v4, 0x700000, v4
	v_and_b32_e32 v5, 0x80000000, v5
	v_lshl_add_u32 v0, v0, 23, v49
	v_or3_b32 v0, v5, v0, v4
.LBB2_2604:                             ;   in Loop: Header=BB2_2439 Depth=2
	s_or_b64 exec, exec, s[58:59]
.LBB2_2605:                             ;   in Loop: Header=BB2_2439 Depth=2
	s_or_b64 exec, exec, s[56:57]
.LBB2_2606:                             ;   in Loop: Header=BB2_2439 Depth=2
	s_or_b64 exec, exec, s[20:21]
	v_cmp_ne_u16_sdwa vcc, v19, v53 src0_sel:BYTE_0 src1_sel:DWORD
	s_and_saveexec_b64 s[20:21], vcc
	s_cbranch_execz .LBB2_2612
; %bb.2607:                             ;   in Loop: Header=BB2_2439 Depth=2
	v_cmp_ne_u16_sdwa vcc, v19, s68 src0_sel:BYTE_0 src1_sel:DWORD
	v_bfrev_b32_e32 v1, 1
	s_and_saveexec_b64 s[56:57], vcc
	s_cbranch_execz .LBB2_2611
; %bb.2608:                             ;   in Loop: Header=BB2_2439 Depth=2
	v_and_b32_e32 v4, 0x7f, v19
	v_cmp_ne_u32_e32 vcc, s69, v4
	v_mov_b32_e32 v1, 0x7f800001
	s_and_saveexec_b64 s[58:59], vcc
	s_cbranch_execz .LBB2_2610
; %bb.2609:                             ;   in Loop: Header=BB2_2439 Depth=2
	v_and_b32_e32 v1, 7, v19
	v_ffbh_u32_e32 v1, v1
	v_min_u32_e32 v1, 32, v1
	v_subrev_u32_e32 v26, 28, v1
	v_cmp_gt_u32_e32 vcc, 8, v4
	v_lshrrev_b32_e32 v5, 3, v4
	v_sub_u32_e32 v1, 29, v1
	v_cndmask_b32_e32 v4, 0, v26, vcc
	v_cndmask_b32_e32 v1, v5, v1, vcc
	v_lshlrev_b64 v[4:5], v4, v[2:3]
	v_lshlrev_b32_e32 v4, 20, v4
	v_lshlrev_b32_e32 v5, 24, v2
	v_and_b32_e32 v4, 0x700000, v4
	v_and_b32_e32 v5, 0x80000000, v5
	v_lshl_add_u32 v1, v1, 23, v49
	v_or3_b32 v1, v5, v1, v4
.LBB2_2610:                             ;   in Loop: Header=BB2_2439 Depth=2
	s_or_b64 exec, exec, s[58:59]
.LBB2_2611:                             ;   in Loop: Header=BB2_2439 Depth=2
	s_or_b64 exec, exec, s[56:57]
.LBB2_2612:                             ;   in Loop: Header=BB2_2439 Depth=2
	s_or_b64 exec, exec, s[20:21]
	v_max_f32_e32 v1, v1, v1
	v_max_f32_e32 v0, v0, v0
	;; [unrolled: 1-line block ×3, first 2 shown]
	s_branch .LBB2_2627
.LBB2_2613:                             ;   in Loop: Header=BB2_2439 Depth=2
                                        ; implicit-def: $vgpr1
	s_cbranch_execz .LBB2_2627
; %bb.2614:                             ;   in Loop: Header=BB2_2439 Depth=2
	v_mov_b32_e32 v1, 0
	v_mov_b32_e32 v0, 0
	s_and_saveexec_b64 s[20:21], s[18:19]
	s_cbranch_execz .LBB2_2620
; %bb.2615:                             ;   in Loop: Header=BB2_2439 Depth=2
	v_cmp_ne_u16_sdwa vcc, v23, s68 src0_sel:BYTE_0 src1_sel:DWORD
	v_bfrev_b32_e32 v0, 1
	s_and_saveexec_b64 s[18:19], vcc
	s_cbranch_execz .LBB2_2619
; %bb.2616:                             ;   in Loop: Header=BB2_2439 Depth=2
	v_and_b32_e32 v4, 0x7f, v23
	v_cmp_ne_u32_e32 vcc, s69, v4
	v_mov_b32_e32 v0, 0x7f800001
	s_and_saveexec_b64 s[56:57], vcc
	s_cbranch_execz .LBB2_2618
; %bb.2617:                             ;   in Loop: Header=BB2_2439 Depth=2
	v_and_b32_e32 v0, 7, v23
	v_ffbh_u32_e32 v0, v0
	v_min_u32_e32 v0, 32, v0
	v_subrev_u32_e32 v26, 28, v0
	v_cmp_gt_u32_e32 vcc, 8, v4
	v_lshrrev_b32_e32 v5, 3, v4
	v_sub_u32_e32 v0, 29, v0
	v_cndmask_b32_e32 v4, 0, v26, vcc
	v_cndmask_b32_e32 v0, v5, v0, vcc
	v_lshlrev_b64 v[4:5], v4, v[52:53]
	v_lshlrev_b32_e32 v4, 20, v4
	v_lshlrev_b32_e32 v5, 24, v52
	v_and_b32_e32 v4, 0x700000, v4
	v_and_b32_e32 v5, 0x80000000, v5
	v_lshl_add_u32 v0, v0, 23, v49
	v_or3_b32 v0, v5, v0, v4
.LBB2_2618:                             ;   in Loop: Header=BB2_2439 Depth=2
	s_or_b64 exec, exec, s[56:57]
.LBB2_2619:                             ;   in Loop: Header=BB2_2439 Depth=2
	s_or_b64 exec, exec, s[18:19]
.LBB2_2620:                             ;   in Loop: Header=BB2_2439 Depth=2
	s_or_b64 exec, exec, s[20:21]
	v_cmp_ne_u16_sdwa s[20:21], v19, v53 src0_sel:BYTE_0 src1_sel:DWORD
	s_and_saveexec_b64 s[18:19], s[20:21]
	s_cbranch_execz .LBB2_2626
; %bb.2621:                             ;   in Loop: Header=BB2_2439 Depth=2
	v_cmp_ne_u16_sdwa vcc, v19, s68 src0_sel:BYTE_0 src1_sel:DWORD
	v_bfrev_b32_e32 v1, 1
	s_and_saveexec_b64 s[20:21], vcc
	s_cbranch_execz .LBB2_2625
; %bb.2622:                             ;   in Loop: Header=BB2_2439 Depth=2
	v_and_b32_e32 v4, 0x7f, v19
	v_cmp_ne_u32_e32 vcc, s69, v4
	v_mov_b32_e32 v1, 0x7f800001
	s_and_saveexec_b64 s[56:57], vcc
	s_cbranch_execz .LBB2_2624
; %bb.2623:                             ;   in Loop: Header=BB2_2439 Depth=2
	v_and_b32_e32 v1, 7, v19
	v_ffbh_u32_e32 v1, v1
	v_min_u32_e32 v1, 32, v1
	v_subrev_u32_e32 v26, 28, v1
	v_cmp_gt_u32_e32 vcc, 8, v4
	v_lshrrev_b32_e32 v5, 3, v4
	v_sub_u32_e32 v1, 29, v1
	v_cndmask_b32_e32 v4, 0, v26, vcc
	v_cndmask_b32_e32 v1, v5, v1, vcc
	v_lshlrev_b64 v[4:5], v4, v[2:3]
	v_lshlrev_b32_e32 v3, 20, v4
	v_lshlrev_b32_e32 v4, 24, v2
	v_and_b32_e32 v3, 0x700000, v3
	v_and_b32_e32 v4, 0x80000000, v4
	v_lshl_add_u32 v1, v1, 23, v49
	v_or3_b32 v1, v4, v1, v3
.LBB2_2624:                             ;   in Loop: Header=BB2_2439 Depth=2
	s_or_b64 exec, exec, s[56:57]
.LBB2_2625:                             ;   in Loop: Header=BB2_2439 Depth=2
	s_or_b64 exec, exec, s[20:21]
.LBB2_2626:                             ;   in Loop: Header=BB2_2439 Depth=2
	s_or_b64 exec, exec, s[18:19]
	v_max_f32_e32 v1, v1, v1
	v_max_f32_e32 v0, v0, v0
	v_min_f32_e32 v1, v0, v1
.LBB2_2627:                             ;   in Loop: Header=BB2_2439 Depth=2
	v_and_b32_sdwa v0, v1, s68 dst_sel:DWORD dst_unused:UNUSED_PAD src0_sel:BYTE_3 src1_sel:DWORD
	v_and_b32_e32 v4, 0x7f800000, v1
	v_mov_b32_e32 v5, v53
	v_accvgpr_write_b32 a36, v30
	v_and_b32_e32 v30, 0x7fffff, v1
	v_mov_b32_e32 v31, v53
	v_or_b32_e32 v41, 0x7e, v0
	v_cmp_ne_u64_e32 vcc, s[40:41], v[4:5]
	s_and_saveexec_b64 s[18:19], vcc
	s_xor_b64 s[20:21], exec, s[18:19]
	s_cbranch_execz .LBB2_2637
; %bb.2628:                             ;   in Loop: Header=BB2_2439 Depth=2
	v_and_b32_e32 v4, 0x7fffffff, v1
	v_mov_b32_e32 v5, v53
	v_cmp_gt_u64_e32 vcc, s[42:43], v[4:5]
	s_and_saveexec_b64 s[56:57], vcc
	s_cbranch_execz .LBB2_2636
; %bb.2629:                             ;   in Loop: Header=BB2_2439 Depth=2
	v_cmp_ne_u32_e32 vcc, 0, v1
	v_mov_b32_e32 v41, 0
	s_and_saveexec_b64 s[58:59], vcc
	s_cbranch_execz .LBB2_2635
; %bb.2630:                             ;   in Loop: Header=BB2_2439 Depth=2
	v_bfe_u32 v1, v1, 23, 8
	v_sub_u32_e32 v4, 0x79, v1
	v_cmp_gt_u32_e32 vcc, s72, v1
	v_add_u32_e32 v3, 0xffffff81, v1
	v_cndmask_b32_e32 v4, 0, v4, vcc
	v_cmp_eq_u32_e32 vcc, 0, v1
	v_mov_b32_e32 v1, 0xffffff82
	v_cndmask_b32_e32 v1, v3, v1, vcc
	v_mov_b32_e32 v3, 0x78
	v_cndmask_b32_e32 v3, v4, v3, vcc
	v_or_b32_e32 v5, 0x800000, v30
	v_add_u32_e32 v4, 20, v3
	v_cndmask_b32_e32 v30, v5, v30, vcc
	v_lshlrev_b64 v[4:5], v4, -1
	v_not_b32_e32 v4, v4
	v_and_b32_e32 v26, v30, v4
	v_add_u32_e32 v4, 19, v3
	v_lshrrev_b64 v[30:31], v3, v[30:31]
	v_not_b32_e32 v5, v5
	v_lshlrev_b64 v[28:29], v4, 1
	v_lshrrev_b32_e32 v4, 23, v30
	v_and_b32_e32 v27, 0, v5
	v_add3_u32 v4, v3, v1, v4
	v_bfe_u32 v1, v30, 20, 1
	v_add_u32_e32 v1, -1, v1
	v_cmp_eq_u64_e32 vcc, v[26:27], v[28:29]
	v_cndmask_b32_e32 v1, 0, v1, vcc
	v_add_u32_e32 v1, v1, v30
	v_and_b32_e32 v1, 0xfffff, v1
	v_add_co_u32_e32 v30, vcc, v1, v30
	v_add_u32_e32 v3, 6, v4
	v_addc_co_u32_e32 v31, vcc, 0, v31, vcc
	v_cmp_ne_u32_e32 vcc, 0, v3
                                        ; implicit-def: $vgpr1
	s_and_saveexec_b64 s[18:19], vcc
	s_xor_b64 s[18:19], exec, s[18:19]
; %bb.2631:                             ;   in Loop: Header=BB2_2439 Depth=2
	v_add_u32_e32 v1, 7, v4
	v_cmp_lt_u64_e32 vcc, s[46:47], v[30:31]
	v_cndmask_b32_e32 v1, v3, v1, vcc
	v_cndmask_b32_e64 v3, 0, 1, vcc
	v_lshrrev_b64 v[30:31], v3, v[30:31]
; %bb.2632:                             ;   in Loop: Header=BB2_2439 Depth=2
	s_andn2_saveexec_b64 s[18:19], s[18:19]
; %bb.2633:                             ;   in Loop: Header=BB2_2439 Depth=2
	v_bfe_u32 v1, v30, 23, 1
; %bb.2634:                             ;   in Loop: Header=BB2_2439 Depth=2
	s_or_b64 exec, exec, s[18:19]
	v_lshrrev_b64 v[4:5], 20, v[30:31]
	v_cmp_gt_i32_e32 vcc, 16, v1
	v_cndmask_b32_e32 v5, 0, v5, vcc
	v_cndmask_b32_e32 v4, 7, v4, vcc
	v_cmp_eq_u32_e32 vcc, 0, v1
	v_min_i32_e32 v1, 15, v1
	v_cmp_eq_u64_e64 s[18:19], 0, v[4:5]
	v_lshlrev_b32_e32 v1, 3, v1
	v_and_or_b32 v1, v4, 7, v1
	s_and_b64 s[18:19], vcc, s[18:19]
	v_cndmask_b32_e64 v1, v1, 0, s[18:19]
	v_or_b32_e32 v41, v1, v0
.LBB2_2635:                             ;   in Loop: Header=BB2_2439 Depth=2
	s_or_b64 exec, exec, s[58:59]
.LBB2_2636:                             ;   in Loop: Header=BB2_2439 Depth=2
	s_or_b64 exec, exec, s[56:57]
                                        ; implicit-def: $vgpr1
                                        ; implicit-def: $vgpr30_vgpr31
.LBB2_2637:                             ;   in Loop: Header=BB2_2439 Depth=2
	s_andn2_saveexec_b64 s[18:19], s[20:21]
; %bb.2638:                             ;   in Loop: Header=BB2_2439 Depth=2
	v_or_b32_sdwa v0, v1, s69 dst_sel:DWORD dst_unused:UNUSED_PAD src0_sel:BYTE_3 src1_sel:DWORD
	v_cmp_eq_u64_e32 vcc, 0, v[30:31]
	v_cndmask_b32_e32 v41, v0, v41, vcc
; %bb.2639:                             ;   in Loop: Header=BB2_2439 Depth=2
	s_or_b64 exec, exec, s[18:19]
	v_lshrrev_b16_e32 v30, 8, v52
	v_lshrrev_b16_e32 v28, 8, v2
	v_cmp_ne_u16_e64 s[18:19], 0, v30
	s_and_b64 vcc, exec, s[54:55]
	s_cbranch_vccz .LBB2_2653
; %bb.2640:                             ;   in Loop: Header=BB2_2439 Depth=2
	v_mov_b32_e32 v1, 0
	v_mov_b32_e32 v0, 0
	s_and_saveexec_b64 s[20:21], s[18:19]
	s_cbranch_execz .LBB2_2646
; %bb.2641:                             ;   in Loop: Header=BB2_2439 Depth=2
	v_cmp_ne_u16_e32 vcc, s68, v30
	v_bfrev_b32_e32 v0, 1
	s_and_saveexec_b64 s[56:57], vcc
	s_cbranch_execz .LBB2_2645
; %bb.2642:                             ;   in Loop: Header=BB2_2439 Depth=2
	v_and_b32_e32 v3, 0x7f, v30
	v_cmp_ne_u32_e32 vcc, s69, v3
	v_mov_b32_e32 v0, 0x7f800001
	s_and_saveexec_b64 s[58:59], vcc
	s_cbranch_execz .LBB2_2644
; %bb.2643:                             ;   in Loop: Header=BB2_2439 Depth=2
	v_and_b32_e32 v0, 7, v30
	v_ffbh_u32_e32 v4, v0
	v_min_u32_e32 v27, 32, v4
	v_subrev_u32_e32 v4, 28, v27
	v_lshlrev_b64 v[4:5], v4, v[30:31]
	v_lshrrev_b32_e32 v26, 3, v3
	v_sub_u32_e32 v5, 29, v27
	v_and_b32_e32 v4, 7, v4
	v_cmp_gt_u32_e32 vcc, 8, v3
	v_cndmask_b32_e32 v3, v26, v5, vcc
	v_cndmask_b32_e32 v0, v0, v4, vcc
	v_lshlrev_b32_e32 v4, 16, v52
	v_lshlrev_b32_e32 v0, 20, v0
	v_and_b32_e32 v4, 0x80000000, v4
	v_lshl_add_u32 v3, v3, 23, v49
	v_or3_b32 v0, v4, v3, v0
.LBB2_2644:                             ;   in Loop: Header=BB2_2439 Depth=2
	s_or_b64 exec, exec, s[58:59]
.LBB2_2645:                             ;   in Loop: Header=BB2_2439 Depth=2
	s_or_b64 exec, exec, s[56:57]
.LBB2_2646:                             ;   in Loop: Header=BB2_2439 Depth=2
	s_or_b64 exec, exec, s[20:21]
	v_cmp_ne_u16_e32 vcc, 0, v28
	s_and_saveexec_b64 s[20:21], vcc
	s_cbranch_execz .LBB2_2652
; %bb.2647:                             ;   in Loop: Header=BB2_2439 Depth=2
	v_cmp_ne_u16_e32 vcc, s68, v28
	v_bfrev_b32_e32 v1, 1
	s_and_saveexec_b64 s[56:57], vcc
	s_cbranch_execz .LBB2_2651
; %bb.2648:                             ;   in Loop: Header=BB2_2439 Depth=2
	v_and_b32_e32 v3, 0x7f, v28
	v_cmp_ne_u32_e32 vcc, s69, v3
	v_mov_b32_e32 v1, 0x7f800001
	s_and_saveexec_b64 s[58:59], vcc
	s_cbranch_execz .LBB2_2650
; %bb.2649:                             ;   in Loop: Header=BB2_2439 Depth=2
	v_and_b32_e32 v1, 7, v28
	v_ffbh_u32_e32 v4, v1
	v_min_u32_e32 v27, 32, v4
	v_subrev_u32_e32 v4, 28, v27
	v_lshlrev_b64 v[4:5], v4, v[28:29]
	v_lshrrev_b32_e32 v26, 3, v3
	v_sub_u32_e32 v5, 29, v27
	v_and_b32_e32 v4, 7, v4
	v_cmp_gt_u32_e32 vcc, 8, v3
	v_cndmask_b32_e32 v3, v26, v5, vcc
	v_cndmask_b32_e32 v1, v1, v4, vcc
	v_lshlrev_b32_e32 v4, 16, v2
	v_lshlrev_b32_e32 v1, 20, v1
	v_and_b32_e32 v4, 0x80000000, v4
	v_lshl_add_u32 v3, v3, 23, v49
	v_or3_b32 v1, v4, v3, v1
.LBB2_2650:                             ;   in Loop: Header=BB2_2439 Depth=2
	s_or_b64 exec, exec, s[58:59]
.LBB2_2651:                             ;   in Loop: Header=BB2_2439 Depth=2
	s_or_b64 exec, exec, s[56:57]
.LBB2_2652:                             ;   in Loop: Header=BB2_2439 Depth=2
	s_or_b64 exec, exec, s[20:21]
	v_max_f32_e32 v1, v1, v1
	v_max_f32_e32 v0, v0, v0
	;; [unrolled: 1-line block ×3, first 2 shown]
	s_branch .LBB2_2667
.LBB2_2653:                             ;   in Loop: Header=BB2_2439 Depth=2
                                        ; implicit-def: $vgpr1
	s_cbranch_execz .LBB2_2667
; %bb.2654:                             ;   in Loop: Header=BB2_2439 Depth=2
	v_mov_b32_e32 v1, 0
	v_mov_b32_e32 v0, 0
	s_and_saveexec_b64 s[20:21], s[18:19]
	s_cbranch_execz .LBB2_2660
; %bb.2655:                             ;   in Loop: Header=BB2_2439 Depth=2
	v_cmp_ne_u16_e32 vcc, s68, v30
	v_bfrev_b32_e32 v0, 1
	s_and_saveexec_b64 s[18:19], vcc
	s_cbranch_execz .LBB2_2659
; %bb.2656:                             ;   in Loop: Header=BB2_2439 Depth=2
	v_and_b32_e32 v3, 0x7f, v30
	v_cmp_ne_u32_e32 vcc, s69, v3
	v_mov_b32_e32 v0, 0x7f800001
	s_and_saveexec_b64 s[56:57], vcc
	s_cbranch_execz .LBB2_2658
; %bb.2657:                             ;   in Loop: Header=BB2_2439 Depth=2
	v_and_b32_e32 v0, 7, v30
	v_ffbh_u32_e32 v4, v0
	v_min_u32_e32 v27, 32, v4
	v_subrev_u32_e32 v4, 28, v27
	v_lshlrev_b64 v[4:5], v4, v[30:31]
	v_lshrrev_b32_e32 v26, 3, v3
	v_sub_u32_e32 v5, 29, v27
	v_and_b32_e32 v4, 7, v4
	v_cmp_gt_u32_e32 vcc, 8, v3
	v_cndmask_b32_e32 v3, v26, v5, vcc
	v_cndmask_b32_e32 v0, v0, v4, vcc
	v_lshlrev_b32_e32 v4, 16, v52
	v_lshlrev_b32_e32 v0, 20, v0
	v_and_b32_e32 v4, 0x80000000, v4
	v_lshl_add_u32 v3, v3, 23, v49
	v_or3_b32 v0, v4, v3, v0
.LBB2_2658:                             ;   in Loop: Header=BB2_2439 Depth=2
	s_or_b64 exec, exec, s[56:57]
.LBB2_2659:                             ;   in Loop: Header=BB2_2439 Depth=2
	s_or_b64 exec, exec, s[18:19]
.LBB2_2660:                             ;   in Loop: Header=BB2_2439 Depth=2
	s_or_b64 exec, exec, s[20:21]
	v_cmp_ne_u16_e32 vcc, 0, v28
	s_and_saveexec_b64 s[18:19], vcc
	s_cbranch_execz .LBB2_2666
; %bb.2661:                             ;   in Loop: Header=BB2_2439 Depth=2
	v_cmp_ne_u16_e32 vcc, s68, v28
	v_bfrev_b32_e32 v1, 1
	s_and_saveexec_b64 s[20:21], vcc
	s_cbranch_execz .LBB2_2665
; %bb.2662:                             ;   in Loop: Header=BB2_2439 Depth=2
	v_and_b32_e32 v3, 0x7f, v28
	v_cmp_ne_u32_e32 vcc, s69, v3
	v_mov_b32_e32 v1, 0x7f800001
	s_and_saveexec_b64 s[56:57], vcc
	s_cbranch_execz .LBB2_2664
; %bb.2663:                             ;   in Loop: Header=BB2_2439 Depth=2
	v_and_b32_e32 v1, 7, v28
	v_ffbh_u32_e32 v4, v1
	v_min_u32_e32 v27, 32, v4
	v_subrev_u32_e32 v4, 28, v27
	v_lshlrev_b64 v[4:5], v4, v[28:29]
	v_lshrrev_b32_e32 v26, 3, v3
	v_sub_u32_e32 v5, 29, v27
	v_and_b32_e32 v4, 7, v4
	v_cmp_gt_u32_e32 vcc, 8, v3
	v_cndmask_b32_e32 v3, v26, v5, vcc
	v_cndmask_b32_e32 v1, v1, v4, vcc
	v_lshlrev_b32_e32 v2, 16, v2
	v_lshlrev_b32_e32 v1, 20, v1
	v_and_b32_e32 v2, 0x80000000, v2
	v_lshl_add_u32 v3, v3, 23, v49
	v_or3_b32 v1, v2, v3, v1
.LBB2_2664:                             ;   in Loop: Header=BB2_2439 Depth=2
	s_or_b64 exec, exec, s[56:57]
.LBB2_2665:                             ;   in Loop: Header=BB2_2439 Depth=2
	s_or_b64 exec, exec, s[20:21]
.LBB2_2666:                             ;   in Loop: Header=BB2_2439 Depth=2
	s_or_b64 exec, exec, s[18:19]
	v_max_f32_e32 v1, v1, v1
	v_max_f32_e32 v0, v0, v0
	v_min_f32_e32 v1, v0, v1
.LBB2_2667:                             ;   in Loop: Header=BB2_2439 Depth=2
	v_and_b32_sdwa v0, v1, s68 dst_sel:DWORD dst_unused:UNUSED_PAD src0_sel:BYTE_3 src1_sel:DWORD
	v_and_b32_e32 v2, 0x7f800000, v1
	v_mov_b32_e32 v3, v53
	v_and_b32_e32 v52, 0x7fffff, v1
	v_or_b32_e32 v30, 0x7e, v0
	v_cmp_ne_u64_e32 vcc, s[40:41], v[2:3]
	s_and_saveexec_b64 s[18:19], vcc
	s_xor_b64 s[20:21], exec, s[18:19]
	s_cbranch_execz .LBB2_2677
; %bb.2668:                             ;   in Loop: Header=BB2_2439 Depth=2
	v_and_b32_e32 v2, 0x7fffffff, v1
	v_mov_b32_e32 v3, v53
	v_cmp_gt_u64_e32 vcc, s[42:43], v[2:3]
	s_and_saveexec_b64 s[56:57], vcc
	s_cbranch_execz .LBB2_2676
; %bb.2669:                             ;   in Loop: Header=BB2_2439 Depth=2
	v_cmp_ne_u32_e32 vcc, 0, v1
	v_mov_b32_e32 v30, 0
	s_and_saveexec_b64 s[58:59], vcc
	s_cbranch_execz .LBB2_2675
; %bb.2670:                             ;   in Loop: Header=BB2_2439 Depth=2
	v_bfe_u32 v1, v1, 23, 8
	v_sub_u32_e32 v3, 0x79, v1
	v_cmp_gt_u32_e32 vcc, s72, v1
	v_add_u32_e32 v2, 0xffffff81, v1
	v_cndmask_b32_e32 v3, 0, v3, vcc
	v_cmp_eq_u32_e32 vcc, 0, v1
	v_mov_b32_e32 v1, 0xffffff82
	v_cndmask_b32_e32 v1, v2, v1, vcc
	v_mov_b32_e32 v2, 0x78
	v_or_b32_e32 v4, 0x800000, v52
	v_cndmask_b32_e32 v5, v3, v2, vcc
	v_cndmask_b32_e32 v52, v4, v52, vcc
	v_add_u32_e32 v2, 20, v5
	v_lshlrev_b64 v[2:3], v2, -1
	v_add_u32_e32 v4, 19, v5
	v_lshrrev_b64 v[28:29], v5, v[52:53]
	v_not_b32_e32 v3, v3
	v_not_b32_e32 v2, v2
	v_lshlrev_b64 v[26:27], v4, 1
	v_lshrrev_b32_e32 v4, 23, v28
	v_and_b32_e32 v3, 0, v3
	v_and_b32_e32 v2, v52, v2
	v_add3_u32 v5, v5, v1, v4
	v_bfe_u32 v1, v28, 20, 1
	v_add_u32_e32 v1, -1, v1
	v_cmp_eq_u64_e32 vcc, v[2:3], v[26:27]
	v_cndmask_b32_e32 v1, 0, v1, vcc
	v_add_u32_e32 v1, v1, v28
	v_and_b32_e32 v1, 0xfffff, v1
	v_add_co_u32_e32 v2, vcc, v1, v28
	v_add_u32_e32 v4, 6, v5
	v_addc_co_u32_e32 v3, vcc, 0, v29, vcc
	v_cmp_ne_u32_e32 vcc, 0, v4
                                        ; implicit-def: $vgpr1
	s_and_saveexec_b64 s[18:19], vcc
	s_xor_b64 s[18:19], exec, s[18:19]
; %bb.2671:                             ;   in Loop: Header=BB2_2439 Depth=2
	v_add_u32_e32 v1, 7, v5
	v_cmp_lt_u64_e32 vcc, s[46:47], v[2:3]
	v_cndmask_b32_e32 v1, v4, v1, vcc
	v_cndmask_b32_e64 v4, 0, 1, vcc
	v_lshrrev_b64 v[2:3], v4, v[2:3]
; %bb.2672:                             ;   in Loop: Header=BB2_2439 Depth=2
	s_andn2_saveexec_b64 s[18:19], s[18:19]
; %bb.2673:                             ;   in Loop: Header=BB2_2439 Depth=2
	v_bfe_u32 v1, v2, 23, 1
; %bb.2674:                             ;   in Loop: Header=BB2_2439 Depth=2
	s_or_b64 exec, exec, s[18:19]
	v_lshrrev_b64 v[2:3], 20, v[2:3]
	v_cmp_gt_i32_e32 vcc, 16, v1
	v_cndmask_b32_e32 v3, 0, v3, vcc
	v_cndmask_b32_e32 v2, 7, v2, vcc
	v_cmp_eq_u32_e32 vcc, 0, v1
	v_min_i32_e32 v1, 15, v1
	v_cmp_eq_u64_e64 s[18:19], 0, v[2:3]
	v_lshlrev_b32_e32 v1, 3, v1
	v_and_or_b32 v1, v2, 7, v1
	s_and_b64 s[18:19], vcc, s[18:19]
	v_cndmask_b32_e64 v1, v1, 0, s[18:19]
	v_or_b32_e32 v30, v1, v0
.LBB2_2675:                             ;   in Loop: Header=BB2_2439 Depth=2
	s_or_b64 exec, exec, s[58:59]
.LBB2_2676:                             ;   in Loop: Header=BB2_2439 Depth=2
	s_or_b64 exec, exec, s[56:57]
                                        ; implicit-def: $vgpr1
.LBB2_2677:                             ;   in Loop: Header=BB2_2439 Depth=2
	s_andn2_saveexec_b64 s[18:19], s[20:21]
; %bb.2678:                             ;   in Loop: Header=BB2_2439 Depth=2
	v_or_b32_sdwa v0, v1, s69 dst_sel:DWORD dst_unused:UNUSED_PAD src0_sel:BYTE_3 src1_sel:DWORD
	v_cmp_eq_u64_e32 vcc, 0, v[52:53]
	v_cndmask_b32_e32 v30, v0, v30, vcc
; %bb.2679:                             ;   in Loop: Header=BB2_2439 Depth=2
	s_or_b64 exec, exec, s[18:19]
	v_lshrrev_b32_e32 v28, 16, v23
	v_lshrrev_b32_e32 v2, 16, v19
	v_cmp_ne_u16_sdwa s[18:19], v28, v53 src0_sel:BYTE_0 src1_sel:DWORD
	s_and_b64 vcc, exec, s[54:55]
	s_cbranch_vccz .LBB2_2693
; %bb.2680:                             ;   in Loop: Header=BB2_2439 Depth=2
	v_mov_b32_e32 v1, 0
	v_mov_b32_e32 v0, 0
	s_and_saveexec_b64 s[20:21], s[18:19]
	s_cbranch_execz .LBB2_2686
; %bb.2681:                             ;   in Loop: Header=BB2_2439 Depth=2
	v_cmp_ne_u16_sdwa vcc, v28, s68 src0_sel:BYTE_0 src1_sel:DWORD
	v_bfrev_b32_e32 v0, 1
	s_and_saveexec_b64 s[56:57], vcc
	s_cbranch_execz .LBB2_2685
; %bb.2682:                             ;   in Loop: Header=BB2_2439 Depth=2
	v_bfe_u32 v3, v23, 16, 7
	v_cmp_ne_u32_e32 vcc, s69, v3
	v_mov_b32_e32 v0, 0x7f800001
	s_and_saveexec_b64 s[58:59], vcc
	s_cbranch_execz .LBB2_2684
; %bb.2683:                             ;   in Loop: Header=BB2_2439 Depth=2
	v_and_b32_e32 v0, 7, v28
	v_ffbh_u32_e32 v4, v0
	v_min_u32_e32 v27, 32, v4
	v_subrev_u32_e32 v4, 28, v27
	v_lshlrev_b64 v[4:5], v4, v[28:29]
	v_lshrrev_b32_e32 v26, 3, v3
	v_sub_u32_e32 v5, 29, v27
	v_and_b32_e32 v4, 7, v4
	v_cmp_gt_u32_e32 vcc, 8, v3
	v_cndmask_b32_e32 v3, v26, v5, vcc
	v_cndmask_b32_e32 v0, v0, v4, vcc
	v_lshlrev_b32_e32 v4, 24, v28
	v_lshlrev_b32_e32 v0, 20, v0
	v_and_b32_e32 v4, 0x80000000, v4
	v_lshl_add_u32 v3, v3, 23, v49
	v_or3_b32 v0, v4, v3, v0
.LBB2_2684:                             ;   in Loop: Header=BB2_2439 Depth=2
	s_or_b64 exec, exec, s[58:59]
.LBB2_2685:                             ;   in Loop: Header=BB2_2439 Depth=2
	s_or_b64 exec, exec, s[56:57]
.LBB2_2686:                             ;   in Loop: Header=BB2_2439 Depth=2
	s_or_b64 exec, exec, s[20:21]
	v_cmp_ne_u16_sdwa vcc, v2, v53 src0_sel:BYTE_0 src1_sel:DWORD
	s_and_saveexec_b64 s[20:21], vcc
	s_cbranch_execz .LBB2_2692
; %bb.2687:                             ;   in Loop: Header=BB2_2439 Depth=2
	v_cmp_ne_u16_sdwa vcc, v2, s68 src0_sel:BYTE_0 src1_sel:DWORD
	v_bfrev_b32_e32 v1, 1
	s_and_saveexec_b64 s[56:57], vcc
	s_cbranch_execz .LBB2_2691
; %bb.2688:                             ;   in Loop: Header=BB2_2439 Depth=2
	v_bfe_u32 v3, v19, 16, 7
	v_cmp_ne_u32_e32 vcc, s69, v3
	v_mov_b32_e32 v1, 0x7f800001
	s_and_saveexec_b64 s[58:59], vcc
	s_cbranch_execz .LBB2_2690
; %bb.2689:                             ;   in Loop: Header=BB2_2439 Depth=2
	v_and_b32_e32 v1, 7, v2
	v_ffbh_u32_e32 v4, v1
	v_min_u32_e32 v27, 32, v4
	v_subrev_u32_e32 v4, 28, v27
	v_lshlrev_b64 v[4:5], v4, v[2:3]
	v_lshrrev_b32_e32 v26, 3, v3
	v_sub_u32_e32 v5, 29, v27
	v_and_b32_e32 v4, 7, v4
	v_cmp_gt_u32_e32 vcc, 8, v3
	v_cndmask_b32_e32 v3, v26, v5, vcc
	v_cndmask_b32_e32 v1, v1, v4, vcc
	v_lshlrev_b32_e32 v4, 24, v2
	v_lshlrev_b32_e32 v1, 20, v1
	v_and_b32_e32 v4, 0x80000000, v4
	v_lshl_add_u32 v3, v3, 23, v49
	v_or3_b32 v1, v4, v3, v1
.LBB2_2690:                             ;   in Loop: Header=BB2_2439 Depth=2
	s_or_b64 exec, exec, s[58:59]
.LBB2_2691:                             ;   in Loop: Header=BB2_2439 Depth=2
	s_or_b64 exec, exec, s[56:57]
.LBB2_2692:                             ;   in Loop: Header=BB2_2439 Depth=2
	s_or_b64 exec, exec, s[20:21]
	v_max_f32_e32 v1, v1, v1
	v_max_f32_e32 v0, v0, v0
	;; [unrolled: 1-line block ×3, first 2 shown]
	s_branch .LBB2_2707
.LBB2_2693:                             ;   in Loop: Header=BB2_2439 Depth=2
                                        ; implicit-def: $vgpr1
	s_cbranch_execz .LBB2_2707
; %bb.2694:                             ;   in Loop: Header=BB2_2439 Depth=2
	v_mov_b32_e32 v1, 0
	v_mov_b32_e32 v0, 0
	s_and_saveexec_b64 s[20:21], s[18:19]
	s_cbranch_execz .LBB2_2700
; %bb.2695:                             ;   in Loop: Header=BB2_2439 Depth=2
	v_cmp_ne_u16_sdwa vcc, v28, s68 src0_sel:BYTE_0 src1_sel:DWORD
	v_bfrev_b32_e32 v0, 1
	s_and_saveexec_b64 s[18:19], vcc
	s_cbranch_execz .LBB2_2699
; %bb.2696:                             ;   in Loop: Header=BB2_2439 Depth=2
	v_bfe_u32 v3, v23, 16, 7
	v_cmp_ne_u32_e32 vcc, s69, v3
	v_mov_b32_e32 v0, 0x7f800001
	s_and_saveexec_b64 s[56:57], vcc
	s_cbranch_execz .LBB2_2698
; %bb.2697:                             ;   in Loop: Header=BB2_2439 Depth=2
	v_and_b32_e32 v0, 7, v28
	v_ffbh_u32_e32 v4, v0
	v_min_u32_e32 v27, 32, v4
	v_subrev_u32_e32 v4, 28, v27
	v_lshlrev_b64 v[4:5], v4, v[28:29]
	v_lshrrev_b32_e32 v26, 3, v3
	v_sub_u32_e32 v5, 29, v27
	v_and_b32_e32 v4, 7, v4
	v_cmp_gt_u32_e32 vcc, 8, v3
	v_cndmask_b32_e32 v3, v26, v5, vcc
	v_cndmask_b32_e32 v0, v0, v4, vcc
	v_lshlrev_b32_e32 v4, 24, v28
	v_lshlrev_b32_e32 v0, 20, v0
	v_and_b32_e32 v4, 0x80000000, v4
	v_lshl_add_u32 v3, v3, 23, v49
	v_or3_b32 v0, v4, v3, v0
.LBB2_2698:                             ;   in Loop: Header=BB2_2439 Depth=2
	s_or_b64 exec, exec, s[56:57]
.LBB2_2699:                             ;   in Loop: Header=BB2_2439 Depth=2
	s_or_b64 exec, exec, s[18:19]
.LBB2_2700:                             ;   in Loop: Header=BB2_2439 Depth=2
	s_or_b64 exec, exec, s[20:21]
	v_cmp_ne_u16_sdwa s[20:21], v2, v53 src0_sel:BYTE_0 src1_sel:DWORD
	s_and_saveexec_b64 s[18:19], s[20:21]
	s_cbranch_execz .LBB2_2706
; %bb.2701:                             ;   in Loop: Header=BB2_2439 Depth=2
	v_cmp_ne_u16_sdwa vcc, v2, s68 src0_sel:BYTE_0 src1_sel:DWORD
	v_bfrev_b32_e32 v1, 1
	s_and_saveexec_b64 s[20:21], vcc
	s_cbranch_execz .LBB2_2705
; %bb.2702:                             ;   in Loop: Header=BB2_2439 Depth=2
	v_bfe_u32 v3, v19, 16, 7
	v_cmp_ne_u32_e32 vcc, s69, v3
	v_mov_b32_e32 v1, 0x7f800001
	s_and_saveexec_b64 s[56:57], vcc
	s_cbranch_execz .LBB2_2704
; %bb.2703:                             ;   in Loop: Header=BB2_2439 Depth=2
	v_and_b32_e32 v1, 7, v2
	v_ffbh_u32_e32 v4, v1
	v_min_u32_e32 v27, 32, v4
	v_subrev_u32_e32 v4, 28, v27
	v_lshlrev_b64 v[4:5], v4, v[2:3]
	v_lshrrev_b32_e32 v26, 3, v3
	v_sub_u32_e32 v5, 29, v27
	v_and_b32_e32 v4, 7, v4
	v_cmp_gt_u32_e32 vcc, 8, v3
	v_cndmask_b32_e32 v3, v26, v5, vcc
	v_cndmask_b32_e32 v1, v1, v4, vcc
	v_lshlrev_b32_e32 v2, 24, v2
	v_lshlrev_b32_e32 v1, 20, v1
	v_and_b32_e32 v2, 0x80000000, v2
	v_lshl_add_u32 v3, v3, 23, v49
	v_or3_b32 v1, v2, v3, v1
.LBB2_2704:                             ;   in Loop: Header=BB2_2439 Depth=2
	s_or_b64 exec, exec, s[56:57]
.LBB2_2705:                             ;   in Loop: Header=BB2_2439 Depth=2
	s_or_b64 exec, exec, s[20:21]
.LBB2_2706:                             ;   in Loop: Header=BB2_2439 Depth=2
	s_or_b64 exec, exec, s[18:19]
	v_max_f32_e32 v1, v1, v1
	v_max_f32_e32 v0, v0, v0
	v_min_f32_e32 v1, v0, v1
.LBB2_2707:                             ;   in Loop: Header=BB2_2439 Depth=2
	v_and_b32_sdwa v0, v1, s68 dst_sel:DWORD dst_unused:UNUSED_PAD src0_sel:BYTE_3 src1_sel:DWORD
	v_and_b32_e32 v2, 0x7f800000, v1
	v_mov_b32_e32 v3, v53
	v_and_b32_e32 v52, 0x7fffff, v1
	v_or_b32_e32 v31, 0x7e, v0
	v_cmp_ne_u64_e32 vcc, s[40:41], v[2:3]
	s_and_saveexec_b64 s[18:19], vcc
	s_xor_b64 s[20:21], exec, s[18:19]
	s_cbranch_execz .LBB2_2717
; %bb.2708:                             ;   in Loop: Header=BB2_2439 Depth=2
	v_and_b32_e32 v2, 0x7fffffff, v1
	v_mov_b32_e32 v3, v53
	v_cmp_gt_u64_e32 vcc, s[42:43], v[2:3]
	s_and_saveexec_b64 s[56:57], vcc
	s_cbranch_execz .LBB2_2716
; %bb.2709:                             ;   in Loop: Header=BB2_2439 Depth=2
	v_cmp_ne_u32_e32 vcc, 0, v1
	v_mov_b32_e32 v31, 0
	s_and_saveexec_b64 s[58:59], vcc
	s_cbranch_execz .LBB2_2715
; %bb.2710:                             ;   in Loop: Header=BB2_2439 Depth=2
	v_bfe_u32 v1, v1, 23, 8
	v_sub_u32_e32 v3, 0x79, v1
	v_cmp_gt_u32_e32 vcc, s72, v1
	v_add_u32_e32 v2, 0xffffff81, v1
	v_cndmask_b32_e32 v3, 0, v3, vcc
	v_cmp_eq_u32_e32 vcc, 0, v1
	v_mov_b32_e32 v1, 0xffffff82
	v_cndmask_b32_e32 v1, v2, v1, vcc
	v_mov_b32_e32 v2, 0x78
	v_or_b32_e32 v4, 0x800000, v52
	v_cndmask_b32_e32 v5, v3, v2, vcc
	v_cndmask_b32_e32 v52, v4, v52, vcc
	v_add_u32_e32 v2, 20, v5
	v_lshlrev_b64 v[2:3], v2, -1
	v_add_u32_e32 v4, 19, v5
	v_lshrrev_b64 v[28:29], v5, v[52:53]
	v_not_b32_e32 v3, v3
	v_not_b32_e32 v2, v2
	v_lshlrev_b64 v[26:27], v4, 1
	v_lshrrev_b32_e32 v4, 23, v28
	v_and_b32_e32 v3, 0, v3
	v_and_b32_e32 v2, v52, v2
	v_add3_u32 v5, v5, v1, v4
	v_bfe_u32 v1, v28, 20, 1
	v_add_u32_e32 v1, -1, v1
	v_cmp_eq_u64_e32 vcc, v[2:3], v[26:27]
	v_cndmask_b32_e32 v1, 0, v1, vcc
	v_add_u32_e32 v1, v1, v28
	v_and_b32_e32 v1, 0xfffff, v1
	v_add_co_u32_e32 v2, vcc, v1, v28
	v_add_u32_e32 v4, 6, v5
	v_addc_co_u32_e32 v3, vcc, 0, v29, vcc
	v_cmp_ne_u32_e32 vcc, 0, v4
                                        ; implicit-def: $vgpr1
	s_and_saveexec_b64 s[18:19], vcc
	s_xor_b64 s[18:19], exec, s[18:19]
; %bb.2711:                             ;   in Loop: Header=BB2_2439 Depth=2
	v_add_u32_e32 v1, 7, v5
	v_cmp_lt_u64_e32 vcc, s[46:47], v[2:3]
	v_cndmask_b32_e32 v1, v4, v1, vcc
	v_cndmask_b32_e64 v4, 0, 1, vcc
	v_lshrrev_b64 v[2:3], v4, v[2:3]
; %bb.2712:                             ;   in Loop: Header=BB2_2439 Depth=2
	s_andn2_saveexec_b64 s[18:19], s[18:19]
; %bb.2713:                             ;   in Loop: Header=BB2_2439 Depth=2
	v_bfe_u32 v1, v2, 23, 1
; %bb.2714:                             ;   in Loop: Header=BB2_2439 Depth=2
	s_or_b64 exec, exec, s[18:19]
	v_lshrrev_b64 v[2:3], 20, v[2:3]
	v_cmp_gt_i32_e32 vcc, 16, v1
	v_cndmask_b32_e32 v3, 0, v3, vcc
	v_cndmask_b32_e32 v2, 7, v2, vcc
	v_cmp_eq_u32_e32 vcc, 0, v1
	v_min_i32_e32 v1, 15, v1
	v_lshlrev_b32_e32 v1, 3, v1
	v_cmp_eq_u64_e64 s[18:19], 0, v[2:3]
	v_and_b32_e32 v1, 0xf8, v1
	v_and_or_b32 v1, v2, 7, v1
	s_and_b64 s[18:19], vcc, s[18:19]
	v_cndmask_b32_e64 v1, v1, 0, s[18:19]
	v_or_b32_e32 v31, v1, v0
.LBB2_2715:                             ;   in Loop: Header=BB2_2439 Depth=2
	s_or_b64 exec, exec, s[58:59]
.LBB2_2716:                             ;   in Loop: Header=BB2_2439 Depth=2
	s_or_b64 exec, exec, s[56:57]
                                        ; implicit-def: $vgpr1
.LBB2_2717:                             ;   in Loop: Header=BB2_2439 Depth=2
	s_andn2_saveexec_b64 s[18:19], s[20:21]
; %bb.2718:                             ;   in Loop: Header=BB2_2439 Depth=2
	v_or_b32_sdwa v0, v1, s69 dst_sel:DWORD dst_unused:UNUSED_PAD src0_sel:BYTE_3 src1_sel:DWORD
	v_cmp_eq_u64_e32 vcc, 0, v[52:53]
	v_cndmask_b32_e32 v31, v0, v31, vcc
; %bb.2719:                             ;   in Loop: Header=BB2_2439 Depth=2
	s_or_b64 exec, exec, s[18:19]
	v_lshrrev_b32_e32 v28, 24, v23
	v_lshrrev_b32_e32 v2, 24, v19
	v_cmp_lt_u64_e64 s[18:19], s[44:45], v[22:23]
	s_and_b64 vcc, exec, s[54:55]
	s_cbranch_vccz .LBB2_2733
; %bb.2720:                             ;   in Loop: Header=BB2_2439 Depth=2
	v_mov_b32_e32 v1, 0
	v_mov_b32_e32 v0, 0
	s_and_saveexec_b64 s[20:21], s[18:19]
	s_cbranch_execz .LBB2_2726
; %bb.2721:                             ;   in Loop: Header=BB2_2439 Depth=2
	v_cmp_ne_u32_e32 vcc, s68, v28
	v_bfrev_b32_e32 v0, 1
	s_and_saveexec_b64 s[56:57], vcc
	s_cbranch_execz .LBB2_2725
; %bb.2722:                             ;   in Loop: Header=BB2_2439 Depth=2
	v_bfe_u32 v3, v23, 24, 7
	v_cmp_ne_u32_e32 vcc, s69, v3
	v_mov_b32_e32 v0, 0x7f800001
	s_and_saveexec_b64 s[58:59], vcc
	s_cbranch_execz .LBB2_2724
; %bb.2723:                             ;   in Loop: Header=BB2_2439 Depth=2
	v_and_b32_e32 v0, 7, v28
	v_ffbh_u32_e32 v4, v0
	v_min_u32_e32 v26, 32, v4
	v_subrev_u32_e32 v4, 28, v26
	v_lshlrev_b64 v[4:5], v4, v[28:29]
	v_lshrrev_b32_e32 v22, 3, v3
	v_sub_u32_e32 v5, 29, v26
	v_and_b32_e32 v4, 7, v4
	v_cmp_gt_u32_e32 vcc, 8, v3
	v_cndmask_b32_e32 v3, v22, v5, vcc
	v_cndmask_b32_e32 v0, v0, v4, vcc
	v_lshlrev_b32_e32 v4, 24, v28
	v_lshlrev_b32_e32 v0, 20, v0
	v_and_b32_e32 v4, 0x80000000, v4
	v_lshl_add_u32 v3, v3, 23, v49
	v_or3_b32 v0, v4, v3, v0
.LBB2_2724:                             ;   in Loop: Header=BB2_2439 Depth=2
	s_or_b64 exec, exec, s[58:59]
.LBB2_2725:                             ;   in Loop: Header=BB2_2439 Depth=2
	s_or_b64 exec, exec, s[56:57]
.LBB2_2726:                             ;   in Loop: Header=BB2_2439 Depth=2
	s_or_b64 exec, exec, s[20:21]
	v_cmp_lt_u64_e32 vcc, s[44:45], v[18:19]
	s_and_saveexec_b64 s[20:21], vcc
	s_cbranch_execz .LBB2_2732
; %bb.2727:                             ;   in Loop: Header=BB2_2439 Depth=2
	v_cmp_ne_u32_e32 vcc, s68, v2
	v_bfrev_b32_e32 v1, 1
	s_and_saveexec_b64 s[56:57], vcc
	s_cbranch_execz .LBB2_2731
; %bb.2728:                             ;   in Loop: Header=BB2_2439 Depth=2
	v_bfe_u32 v3, v19, 24, 7
	v_cmp_ne_u32_e32 vcc, s69, v3
	v_mov_b32_e32 v1, 0x7f800001
	s_and_saveexec_b64 s[58:59], vcc
	s_cbranch_execz .LBB2_2730
; %bb.2729:                             ;   in Loop: Header=BB2_2439 Depth=2
	v_and_b32_e32 v1, 7, v2
	v_ffbh_u32_e32 v4, v1
	v_min_u32_e32 v26, 32, v4
	v_subrev_u32_e32 v4, 28, v26
	v_lshlrev_b64 v[4:5], v4, v[2:3]
	v_lshrrev_b32_e32 v22, 3, v3
	v_sub_u32_e32 v5, 29, v26
	v_and_b32_e32 v4, 7, v4
	v_cmp_gt_u32_e32 vcc, 8, v3
	v_cndmask_b32_e32 v3, v22, v5, vcc
	v_cndmask_b32_e32 v1, v1, v4, vcc
	v_lshlrev_b32_e32 v4, 24, v2
	v_lshlrev_b32_e32 v1, 20, v1
	v_and_b32_e32 v4, 0x80000000, v4
	v_lshl_add_u32 v3, v3, 23, v49
	v_or3_b32 v1, v4, v3, v1
.LBB2_2730:                             ;   in Loop: Header=BB2_2439 Depth=2
	s_or_b64 exec, exec, s[58:59]
.LBB2_2731:                             ;   in Loop: Header=BB2_2439 Depth=2
	s_or_b64 exec, exec, s[56:57]
.LBB2_2732:                             ;   in Loop: Header=BB2_2439 Depth=2
	s_or_b64 exec, exec, s[20:21]
	v_max_f32_e32 v1, v1, v1
	v_max_f32_e32 v0, v0, v0
	;; [unrolled: 1-line block ×3, first 2 shown]
	s_branch .LBB2_2747
.LBB2_2733:                             ;   in Loop: Header=BB2_2439 Depth=2
                                        ; implicit-def: $vgpr1
	s_cbranch_execz .LBB2_2747
; %bb.2734:                             ;   in Loop: Header=BB2_2439 Depth=2
	v_mov_b32_e32 v1, 0
	v_mov_b32_e32 v0, 0
	s_and_saveexec_b64 s[20:21], s[18:19]
	s_cbranch_execz .LBB2_2740
; %bb.2735:                             ;   in Loop: Header=BB2_2439 Depth=2
	v_cmp_ne_u32_e32 vcc, s68, v28
	v_bfrev_b32_e32 v0, 1
	s_and_saveexec_b64 s[18:19], vcc
	s_cbranch_execz .LBB2_2739
; %bb.2736:                             ;   in Loop: Header=BB2_2439 Depth=2
	v_bfe_u32 v3, v23, 24, 7
	v_cmp_ne_u32_e32 vcc, s69, v3
	v_mov_b32_e32 v0, 0x7f800001
	s_and_saveexec_b64 s[56:57], vcc
	s_cbranch_execz .LBB2_2738
; %bb.2737:                             ;   in Loop: Header=BB2_2439 Depth=2
	v_and_b32_e32 v0, 7, v28
	v_ffbh_u32_e32 v4, v0
	v_min_u32_e32 v23, 32, v4
	v_subrev_u32_e32 v4, 28, v23
	v_lshlrev_b64 v[4:5], v4, v[28:29]
	v_lshrrev_b32_e32 v22, 3, v3
	v_sub_u32_e32 v5, 29, v23
	v_and_b32_e32 v4, 7, v4
	v_cmp_gt_u32_e32 vcc, 8, v3
	v_cndmask_b32_e32 v3, v22, v5, vcc
	v_cndmask_b32_e32 v0, v0, v4, vcc
	v_lshlrev_b32_e32 v4, 24, v28
	v_lshlrev_b32_e32 v0, 20, v0
	v_and_b32_e32 v4, 0x80000000, v4
	v_lshl_add_u32 v3, v3, 23, v49
	v_or3_b32 v0, v4, v3, v0
.LBB2_2738:                             ;   in Loop: Header=BB2_2439 Depth=2
	s_or_b64 exec, exec, s[56:57]
.LBB2_2739:                             ;   in Loop: Header=BB2_2439 Depth=2
	s_or_b64 exec, exec, s[18:19]
.LBB2_2740:                             ;   in Loop: Header=BB2_2439 Depth=2
	s_or_b64 exec, exec, s[20:21]
	v_cmp_lt_u64_e32 vcc, s[44:45], v[18:19]
	s_and_saveexec_b64 s[18:19], vcc
	s_cbranch_execz .LBB2_2746
; %bb.2741:                             ;   in Loop: Header=BB2_2439 Depth=2
	v_cmp_ne_u32_e32 vcc, s68, v2
	v_bfrev_b32_e32 v1, 1
	s_and_saveexec_b64 s[20:21], vcc
	s_cbranch_execz .LBB2_2745
; %bb.2742:                             ;   in Loop: Header=BB2_2439 Depth=2
	v_bfe_u32 v3, v19, 24, 7
	v_cmp_ne_u32_e32 vcc, s69, v3
	v_mov_b32_e32 v1, 0x7f800001
	s_and_saveexec_b64 s[56:57], vcc
	s_cbranch_execz .LBB2_2744
; %bb.2743:                             ;   in Loop: Header=BB2_2439 Depth=2
	v_and_b32_e32 v1, 7, v2
	v_ffbh_u32_e32 v4, v1
	v_min_u32_e32 v19, 32, v4
	v_subrev_u32_e32 v4, 28, v19
	v_lshlrev_b64 v[4:5], v4, v[2:3]
	v_lshrrev_b32_e32 v18, 3, v3
	v_sub_u32_e32 v5, 29, v19
	v_and_b32_e32 v4, 7, v4
	v_cmp_gt_u32_e32 vcc, 8, v3
	v_cndmask_b32_e32 v3, v18, v5, vcc
	v_cndmask_b32_e32 v1, v1, v4, vcc
	v_lshlrev_b32_e32 v2, 24, v2
	v_lshlrev_b32_e32 v1, 20, v1
	v_and_b32_e32 v2, 0x80000000, v2
	v_lshl_add_u32 v3, v3, 23, v49
	v_or3_b32 v1, v2, v3, v1
.LBB2_2744:                             ;   in Loop: Header=BB2_2439 Depth=2
	s_or_b64 exec, exec, s[56:57]
.LBB2_2745:                             ;   in Loop: Header=BB2_2439 Depth=2
	s_or_b64 exec, exec, s[20:21]
.LBB2_2746:                             ;   in Loop: Header=BB2_2439 Depth=2
	s_or_b64 exec, exec, s[18:19]
	v_max_f32_e32 v1, v1, v1
	v_max_f32_e32 v0, v0, v0
	v_min_f32_e32 v1, v0, v1
.LBB2_2747:                             ;   in Loop: Header=BB2_2439 Depth=2
	v_and_b32_sdwa v0, v1, s68 dst_sel:DWORD dst_unused:UNUSED_PAD src0_sel:BYTE_3 src1_sel:DWORD
	v_and_b32_e32 v2, 0x7f800000, v1
	v_mov_b32_e32 v3, v53
	v_and_b32_e32 v52, 0x7fffff, v1
	v_or_b32_e32 v23, 0x7e, v0
	v_cmp_ne_u64_e32 vcc, s[40:41], v[2:3]
	s_and_saveexec_b64 s[18:19], vcc
	s_xor_b64 s[20:21], exec, s[18:19]
	s_cbranch_execnz .LBB2_2763
; %bb.2748:                             ;   in Loop: Header=BB2_2439 Depth=2
	s_andn2_saveexec_b64 s[18:19], s[20:21]
	s_cbranch_execnz .LBB2_2772
.LBB2_2749:                             ;   in Loop: Header=BB2_2439 Depth=2
	s_or_b64 exec, exec, s[18:19]
	v_cmp_ne_u16_sdwa s[18:19], v24, v53 src0_sel:BYTE_0 src1_sel:DWORD
	s_and_b64 vcc, exec, s[54:55]
	s_cbranch_vccz .LBB2_2773
.LBB2_2750:                             ;   in Loop: Header=BB2_2439 Depth=2
	v_mov_b32_e32 v1, 0
	v_mov_b32_e32 v0, 0
	s_and_saveexec_b64 s[20:21], s[18:19]
	s_cbranch_execz .LBB2_2756
; %bb.2751:                             ;   in Loop: Header=BB2_2439 Depth=2
	v_cmp_ne_u16_sdwa vcc, v24, s68 src0_sel:BYTE_0 src1_sel:DWORD
	v_bfrev_b32_e32 v0, 1
	s_and_saveexec_b64 s[56:57], vcc
	s_cbranch_execz .LBB2_2755
; %bb.2752:                             ;   in Loop: Header=BB2_2439 Depth=2
	v_and_b32_e32 v2, 0x7f, v24
	v_cmp_ne_u32_e32 vcc, s69, v2
	v_mov_b32_e32 v0, 0x7f800001
	s_and_saveexec_b64 s[58:59], vcc
	s_cbranch_execz .LBB2_2754
; %bb.2753:                             ;   in Loop: Header=BB2_2439 Depth=2
	v_and_b32_e32 v0, 7, v24
	v_ffbh_u32_e32 v0, v0
	v_min_u32_e32 v0, 32, v0
	v_subrev_u32_e32 v4, 28, v0
	v_cmp_gt_u32_e32 vcc, 8, v2
	v_lshrrev_b32_e32 v3, 3, v2
	v_sub_u32_e32 v0, 29, v0
	v_cndmask_b32_e32 v2, 0, v4, vcc
	v_cndmask_b32_e32 v0, v3, v0, vcc
	v_lshlrev_b64 v[2:3], v2, v[24:25]
	v_lshlrev_b32_e32 v2, 20, v2
	v_lshlrev_b32_e32 v3, 24, v24
	v_and_b32_e32 v2, 0x700000, v2
	v_and_b32_e32 v3, 0x80000000, v3
	v_lshl_add_u32 v0, v0, 23, v49
	v_or3_b32 v0, v3, v0, v2
.LBB2_2754:                             ;   in Loop: Header=BB2_2439 Depth=2
	s_or_b64 exec, exec, s[58:59]
.LBB2_2755:                             ;   in Loop: Header=BB2_2439 Depth=2
	s_or_b64 exec, exec, s[56:57]
.LBB2_2756:                             ;   in Loop: Header=BB2_2439 Depth=2
	s_or_b64 exec, exec, s[20:21]
	v_cmp_ne_u16_sdwa vcc, v20, v53 src0_sel:BYTE_0 src1_sel:DWORD
	s_and_saveexec_b64 s[20:21], vcc
	s_cbranch_execz .LBB2_2762
; %bb.2757:                             ;   in Loop: Header=BB2_2439 Depth=2
	v_cmp_ne_u16_sdwa vcc, v20, s68 src0_sel:BYTE_0 src1_sel:DWORD
	v_bfrev_b32_e32 v1, 1
	s_and_saveexec_b64 s[56:57], vcc
	s_cbranch_execz .LBB2_2761
; %bb.2758:                             ;   in Loop: Header=BB2_2439 Depth=2
	v_and_b32_e32 v2, 0x7f, v20
	v_cmp_ne_u32_e32 vcc, s69, v2
	v_mov_b32_e32 v1, 0x7f800001
	s_and_saveexec_b64 s[58:59], vcc
	s_cbranch_execz .LBB2_2760
; %bb.2759:                             ;   in Loop: Header=BB2_2439 Depth=2
	v_and_b32_e32 v1, 7, v20
	v_ffbh_u32_e32 v1, v1
	v_min_u32_e32 v1, 32, v1
	v_subrev_u32_e32 v4, 28, v1
	v_cmp_gt_u32_e32 vcc, 8, v2
	v_lshrrev_b32_e32 v3, 3, v2
	v_sub_u32_e32 v1, 29, v1
	v_cndmask_b32_e32 v2, 0, v4, vcc
	v_cndmask_b32_e32 v1, v3, v1, vcc
	v_lshlrev_b64 v[2:3], v2, v[20:21]
	v_lshlrev_b32_e32 v2, 20, v2
	v_lshlrev_b32_e32 v3, 24, v20
	v_and_b32_e32 v2, 0x700000, v2
	v_and_b32_e32 v3, 0x80000000, v3
	v_lshl_add_u32 v1, v1, 23, v49
	v_or3_b32 v1, v3, v1, v2
.LBB2_2760:                             ;   in Loop: Header=BB2_2439 Depth=2
	s_or_b64 exec, exec, s[58:59]
.LBB2_2761:                             ;   in Loop: Header=BB2_2439 Depth=2
	s_or_b64 exec, exec, s[56:57]
.LBB2_2762:                             ;   in Loop: Header=BB2_2439 Depth=2
	s_or_b64 exec, exec, s[20:21]
	v_max_f32_e32 v1, v1, v1
	v_max_f32_e32 v0, v0, v0
	;; [unrolled: 1-line block ×3, first 2 shown]
	s_branch .LBB2_2787
.LBB2_2763:                             ;   in Loop: Header=BB2_2439 Depth=2
	v_and_b32_e32 v2, 0x7fffffff, v1
	v_mov_b32_e32 v3, v53
	v_cmp_gt_u64_e32 vcc, s[42:43], v[2:3]
	s_and_saveexec_b64 s[56:57], vcc
	s_cbranch_execz .LBB2_2771
; %bb.2764:                             ;   in Loop: Header=BB2_2439 Depth=2
	v_cmp_ne_u32_e32 vcc, 0, v1
	v_mov_b32_e32 v23, 0
	s_and_saveexec_b64 s[58:59], vcc
	s_cbranch_execz .LBB2_2770
; %bb.2765:                             ;   in Loop: Header=BB2_2439 Depth=2
	v_bfe_u32 v1, v1, 23, 8
	v_sub_u32_e32 v3, 0x79, v1
	v_cmp_gt_u32_e32 vcc, s72, v1
	v_add_u32_e32 v2, 0xffffff81, v1
	v_cndmask_b32_e32 v3, 0, v3, vcc
	v_cmp_eq_u32_e32 vcc, 0, v1
	v_mov_b32_e32 v1, 0xffffff82
	v_cndmask_b32_e32 v1, v2, v1, vcc
	v_mov_b32_e32 v2, 0x78
	v_or_b32_e32 v4, 0x800000, v52
	v_cndmask_b32_e32 v5, v3, v2, vcc
	v_cndmask_b32_e32 v52, v4, v52, vcc
	v_add_u32_e32 v2, 20, v5
	v_lshlrev_b64 v[2:3], v2, -1
	v_add_u32_e32 v4, 19, v5
	v_lshrrev_b64 v[22:23], v5, v[52:53]
	v_not_b32_e32 v3, v3
	v_not_b32_e32 v2, v2
	v_lshlrev_b64 v[18:19], v4, 1
	v_lshrrev_b32_e32 v4, 23, v22
	v_and_b32_e32 v3, 0, v3
	v_and_b32_e32 v2, v52, v2
	v_add3_u32 v5, v5, v1, v4
	v_bfe_u32 v1, v22, 20, 1
	v_add_u32_e32 v1, -1, v1
	v_cmp_eq_u64_e32 vcc, v[2:3], v[18:19]
	v_cndmask_b32_e32 v1, 0, v1, vcc
	v_add_u32_e32 v1, v1, v22
	v_and_b32_e32 v1, 0xfffff, v1
	v_add_co_u32_e32 v2, vcc, v1, v22
	v_add_u32_e32 v4, 6, v5
	v_addc_co_u32_e32 v3, vcc, 0, v23, vcc
	v_cmp_ne_u32_e32 vcc, 0, v4
                                        ; implicit-def: $vgpr1
	s_and_saveexec_b64 s[18:19], vcc
	s_xor_b64 s[18:19], exec, s[18:19]
; %bb.2766:                             ;   in Loop: Header=BB2_2439 Depth=2
	v_add_u32_e32 v1, 7, v5
	v_cmp_lt_u64_e32 vcc, s[46:47], v[2:3]
	v_cndmask_b32_e32 v1, v4, v1, vcc
	v_cndmask_b32_e64 v4, 0, 1, vcc
	v_lshrrev_b64 v[2:3], v4, v[2:3]
; %bb.2767:                             ;   in Loop: Header=BB2_2439 Depth=2
	s_andn2_saveexec_b64 s[18:19], s[18:19]
; %bb.2768:                             ;   in Loop: Header=BB2_2439 Depth=2
	v_bfe_u32 v1, v2, 23, 1
; %bb.2769:                             ;   in Loop: Header=BB2_2439 Depth=2
	s_or_b64 exec, exec, s[18:19]
	v_lshrrev_b64 v[2:3], 20, v[2:3]
	v_cmp_gt_i32_e32 vcc, 16, v1
	v_cndmask_b32_e32 v3, 0, v3, vcc
	v_cndmask_b32_e32 v2, 7, v2, vcc
	v_cmp_eq_u32_e32 vcc, 0, v1
	v_min_i32_e32 v1, 15, v1
	v_lshlrev_b32_e32 v1, 3, v1
	v_cmp_eq_u64_e64 s[18:19], 0, v[2:3]
	v_and_b32_e32 v1, 0xf8, v1
	v_and_or_b32 v1, v2, 7, v1
	s_and_b64 s[18:19], vcc, s[18:19]
	v_cndmask_b32_e64 v1, v1, 0, s[18:19]
	v_or_b32_e32 v23, v1, v0
.LBB2_2770:                             ;   in Loop: Header=BB2_2439 Depth=2
	s_or_b64 exec, exec, s[58:59]
.LBB2_2771:                             ;   in Loop: Header=BB2_2439 Depth=2
	s_or_b64 exec, exec, s[56:57]
                                        ; implicit-def: $vgpr1
	s_andn2_saveexec_b64 s[18:19], s[20:21]
	s_cbranch_execz .LBB2_2749
.LBB2_2772:                             ;   in Loop: Header=BB2_2439 Depth=2
	v_or_b32_sdwa v0, v1, s69 dst_sel:DWORD dst_unused:UNUSED_PAD src0_sel:BYTE_3 src1_sel:DWORD
	v_cmp_eq_u64_e32 vcc, 0, v[52:53]
	v_cndmask_b32_e32 v23, v0, v23, vcc
	s_or_b64 exec, exec, s[18:19]
	v_cmp_ne_u16_sdwa s[18:19], v24, v53 src0_sel:BYTE_0 src1_sel:DWORD
	s_and_b64 vcc, exec, s[54:55]
	s_cbranch_vccnz .LBB2_2750
.LBB2_2773:                             ;   in Loop: Header=BB2_2439 Depth=2
                                        ; implicit-def: $vgpr1
	s_cbranch_execz .LBB2_2787
; %bb.2774:                             ;   in Loop: Header=BB2_2439 Depth=2
	v_mov_b32_e32 v1, 0
	v_mov_b32_e32 v0, 0
	s_and_saveexec_b64 s[20:21], s[18:19]
	s_cbranch_execz .LBB2_2780
; %bb.2775:                             ;   in Loop: Header=BB2_2439 Depth=2
	v_cmp_ne_u16_sdwa vcc, v24, s68 src0_sel:BYTE_0 src1_sel:DWORD
	v_bfrev_b32_e32 v0, 1
	s_and_saveexec_b64 s[18:19], vcc
	s_cbranch_execz .LBB2_2779
; %bb.2776:                             ;   in Loop: Header=BB2_2439 Depth=2
	v_and_b32_e32 v2, 0x7f, v24
	v_cmp_ne_u32_e32 vcc, s69, v2
	v_mov_b32_e32 v0, 0x7f800001
	s_and_saveexec_b64 s[56:57], vcc
	s_cbranch_execz .LBB2_2778
; %bb.2777:                             ;   in Loop: Header=BB2_2439 Depth=2
	v_and_b32_e32 v0, 7, v24
	v_ffbh_u32_e32 v0, v0
	v_min_u32_e32 v0, 32, v0
	v_subrev_u32_e32 v4, 28, v0
	v_cmp_gt_u32_e32 vcc, 8, v2
	v_lshrrev_b32_e32 v3, 3, v2
	v_sub_u32_e32 v0, 29, v0
	v_cndmask_b32_e32 v2, 0, v4, vcc
	v_cndmask_b32_e32 v0, v3, v0, vcc
	v_lshlrev_b64 v[2:3], v2, v[24:25]
	v_lshlrev_b32_e32 v2, 20, v2
	v_lshlrev_b32_e32 v3, 24, v24
	v_and_b32_e32 v2, 0x700000, v2
	v_and_b32_e32 v3, 0x80000000, v3
	v_lshl_add_u32 v0, v0, 23, v49
	v_or3_b32 v0, v3, v0, v2
.LBB2_2778:                             ;   in Loop: Header=BB2_2439 Depth=2
	s_or_b64 exec, exec, s[56:57]
.LBB2_2779:                             ;   in Loop: Header=BB2_2439 Depth=2
	s_or_b64 exec, exec, s[18:19]
.LBB2_2780:                             ;   in Loop: Header=BB2_2439 Depth=2
	s_or_b64 exec, exec, s[20:21]
	v_cmp_ne_u16_sdwa s[20:21], v20, v53 src0_sel:BYTE_0 src1_sel:DWORD
	s_and_saveexec_b64 s[18:19], s[20:21]
	s_cbranch_execz .LBB2_2786
; %bb.2781:                             ;   in Loop: Header=BB2_2439 Depth=2
	v_cmp_ne_u16_sdwa vcc, v20, s68 src0_sel:BYTE_0 src1_sel:DWORD
	v_bfrev_b32_e32 v1, 1
	s_and_saveexec_b64 s[20:21], vcc
	s_cbranch_execz .LBB2_2785
; %bb.2782:                             ;   in Loop: Header=BB2_2439 Depth=2
	v_and_b32_e32 v2, 0x7f, v20
	v_cmp_ne_u32_e32 vcc, s69, v2
	v_mov_b32_e32 v1, 0x7f800001
	s_and_saveexec_b64 s[56:57], vcc
	s_cbranch_execz .LBB2_2784
; %bb.2783:                             ;   in Loop: Header=BB2_2439 Depth=2
	v_and_b32_e32 v1, 7, v20
	v_ffbh_u32_e32 v1, v1
	v_min_u32_e32 v1, 32, v1
	v_subrev_u32_e32 v4, 28, v1
	v_cmp_gt_u32_e32 vcc, 8, v2
	v_lshrrev_b32_e32 v3, 3, v2
	v_sub_u32_e32 v1, 29, v1
	v_cndmask_b32_e32 v2, 0, v4, vcc
	v_cndmask_b32_e32 v1, v3, v1, vcc
	v_lshlrev_b64 v[2:3], v2, v[20:21]
	v_lshlrev_b32_e32 v2, 20, v2
	v_lshlrev_b32_e32 v3, 24, v20
	v_and_b32_e32 v2, 0x700000, v2
	v_and_b32_e32 v3, 0x80000000, v3
	v_lshl_add_u32 v1, v1, 23, v49
	v_or3_b32 v1, v3, v1, v2
.LBB2_2784:                             ;   in Loop: Header=BB2_2439 Depth=2
	s_or_b64 exec, exec, s[56:57]
.LBB2_2785:                             ;   in Loop: Header=BB2_2439 Depth=2
	s_or_b64 exec, exec, s[20:21]
.LBB2_2786:                             ;   in Loop: Header=BB2_2439 Depth=2
	s_or_b64 exec, exec, s[18:19]
	v_max_f32_e32 v1, v1, v1
	v_max_f32_e32 v0, v0, v0
	v_min_f32_e32 v1, v0, v1
.LBB2_2787:                             ;   in Loop: Header=BB2_2439 Depth=2
	v_and_b32_sdwa v0, v1, s68 dst_sel:DWORD dst_unused:UNUSED_PAD src0_sel:BYTE_3 src1_sel:DWORD
	v_and_b32_e32 v2, 0x7f800000, v1
	v_mov_b32_e32 v3, v53
	v_and_b32_e32 v52, 0x7fffff, v1
	v_or_b32_e32 v28, 0x7e, v0
	v_cmp_ne_u64_e32 vcc, s[40:41], v[2:3]
	s_and_saveexec_b64 s[18:19], vcc
	s_xor_b64 s[20:21], exec, s[18:19]
	s_cbranch_execz .LBB2_2797
; %bb.2788:                             ;   in Loop: Header=BB2_2439 Depth=2
	v_and_b32_e32 v2, 0x7fffffff, v1
	v_mov_b32_e32 v3, v53
	v_cmp_gt_u64_e32 vcc, s[42:43], v[2:3]
	s_and_saveexec_b64 s[56:57], vcc
	s_cbranch_execz .LBB2_2796
; %bb.2789:                             ;   in Loop: Header=BB2_2439 Depth=2
	v_cmp_ne_u32_e32 vcc, 0, v1
	v_mov_b32_e32 v28, 0
	s_and_saveexec_b64 s[58:59], vcc
	s_cbranch_execz .LBB2_2795
; %bb.2790:                             ;   in Loop: Header=BB2_2439 Depth=2
	v_bfe_u32 v1, v1, 23, 8
	v_sub_u32_e32 v3, 0x79, v1
	v_cmp_gt_u32_e32 vcc, s72, v1
	v_add_u32_e32 v2, 0xffffff81, v1
	v_cndmask_b32_e32 v3, 0, v3, vcc
	v_cmp_eq_u32_e32 vcc, 0, v1
	v_mov_b32_e32 v1, 0xffffff82
	v_cndmask_b32_e32 v1, v2, v1, vcc
	v_mov_b32_e32 v2, 0x78
	v_or_b32_e32 v4, 0x800000, v52
	v_cndmask_b32_e32 v5, v3, v2, vcc
	v_cndmask_b32_e32 v52, v4, v52, vcc
	v_add_u32_e32 v2, 20, v5
	v_lshlrev_b64 v[2:3], v2, -1
	v_add_u32_e32 v4, 19, v5
	v_lshrrev_b64 v[26:27], v5, v[52:53]
	v_not_b32_e32 v3, v3
	v_not_b32_e32 v2, v2
	v_lshlrev_b64 v[18:19], v4, 1
	v_lshrrev_b32_e32 v4, 23, v26
	v_and_b32_e32 v3, 0, v3
	v_and_b32_e32 v2, v52, v2
	v_add3_u32 v5, v5, v1, v4
	v_bfe_u32 v1, v26, 20, 1
	v_add_u32_e32 v1, -1, v1
	v_cmp_eq_u64_e32 vcc, v[2:3], v[18:19]
	v_cndmask_b32_e32 v1, 0, v1, vcc
	v_add_u32_e32 v1, v1, v26
	v_and_b32_e32 v1, 0xfffff, v1
	v_add_co_u32_e32 v2, vcc, v1, v26
	v_add_u32_e32 v4, 6, v5
	v_addc_co_u32_e32 v3, vcc, 0, v27, vcc
	v_cmp_ne_u32_e32 vcc, 0, v4
                                        ; implicit-def: $vgpr1
	s_and_saveexec_b64 s[18:19], vcc
	s_xor_b64 s[18:19], exec, s[18:19]
; %bb.2791:                             ;   in Loop: Header=BB2_2439 Depth=2
	v_add_u32_e32 v1, 7, v5
	v_cmp_lt_u64_e32 vcc, s[46:47], v[2:3]
	v_cndmask_b32_e32 v1, v4, v1, vcc
	v_cndmask_b32_e64 v4, 0, 1, vcc
	v_lshrrev_b64 v[2:3], v4, v[2:3]
; %bb.2792:                             ;   in Loop: Header=BB2_2439 Depth=2
	s_andn2_saveexec_b64 s[18:19], s[18:19]
; %bb.2793:                             ;   in Loop: Header=BB2_2439 Depth=2
	v_bfe_u32 v1, v2, 23, 1
; %bb.2794:                             ;   in Loop: Header=BB2_2439 Depth=2
	s_or_b64 exec, exec, s[18:19]
	v_lshrrev_b64 v[2:3], 20, v[2:3]
	v_cmp_gt_i32_e32 vcc, 16, v1
	v_cndmask_b32_e32 v3, 0, v3, vcc
	v_cndmask_b32_e32 v2, 7, v2, vcc
	v_cmp_eq_u32_e32 vcc, 0, v1
	v_min_i32_e32 v1, 15, v1
	v_cmp_eq_u64_e64 s[18:19], 0, v[2:3]
	v_lshlrev_b32_e32 v1, 3, v1
	v_and_or_b32 v1, v2, 7, v1
	s_and_b64 s[18:19], vcc, s[18:19]
	v_cndmask_b32_e64 v1, v1, 0, s[18:19]
	v_or_b32_e32 v28, v1, v0
.LBB2_2795:                             ;   in Loop: Header=BB2_2439 Depth=2
	s_or_b64 exec, exec, s[58:59]
.LBB2_2796:                             ;   in Loop: Header=BB2_2439 Depth=2
	s_or_b64 exec, exec, s[56:57]
                                        ; implicit-def: $vgpr1
.LBB2_2797:                             ;   in Loop: Header=BB2_2439 Depth=2
	s_andn2_saveexec_b64 s[18:19], s[20:21]
; %bb.2798:                             ;   in Loop: Header=BB2_2439 Depth=2
	v_or_b32_sdwa v0, v1, s69 dst_sel:DWORD dst_unused:UNUSED_PAD src0_sel:BYTE_3 src1_sel:DWORD
	v_cmp_eq_u64_e32 vcc, 0, v[52:53]
	v_cndmask_b32_e32 v28, v0, v28, vcc
; %bb.2799:                             ;   in Loop: Header=BB2_2439 Depth=2
	s_or_b64 exec, exec, s[18:19]
	v_lshrrev_b16_e32 v18, 8, v24
	v_lshrrev_b16_e32 v2, 8, v20
	v_cmp_ne_u16_e64 s[18:19], 0, v18
	s_and_b64 vcc, exec, s[54:55]
	s_cbranch_vccz .LBB2_2813
; %bb.2800:                             ;   in Loop: Header=BB2_2439 Depth=2
	v_mov_b32_e32 v1, 0
	v_mov_b32_e32 v0, 0
	s_and_saveexec_b64 s[20:21], s[18:19]
	s_cbranch_execz .LBB2_2806
; %bb.2801:                             ;   in Loop: Header=BB2_2439 Depth=2
	v_cmp_ne_u16_e32 vcc, s68, v18
	v_bfrev_b32_e32 v0, 1
	s_and_saveexec_b64 s[56:57], vcc
	s_cbranch_execz .LBB2_2805
; %bb.2802:                             ;   in Loop: Header=BB2_2439 Depth=2
	v_and_b32_e32 v3, 0x7f, v18
	v_cmp_ne_u32_e32 vcc, s69, v3
	v_mov_b32_e32 v0, 0x7f800001
	s_and_saveexec_b64 s[58:59], vcc
	s_cbranch_execz .LBB2_2804
; %bb.2803:                             ;   in Loop: Header=BB2_2439 Depth=2
	v_and_b32_e32 v0, 7, v18
	v_ffbh_u32_e32 v4, v0
	v_min_u32_e32 v22, 32, v4
	v_lshrrev_b32_e32 v19, 3, v3
	v_subrev_u32_e32 v4, 28, v22
	v_lshlrev_b64 v[4:5], v4, v[18:19]
	v_sub_u32_e32 v5, 29, v22
	v_and_b32_e32 v4, 7, v4
	v_cmp_gt_u32_e32 vcc, 8, v3
	v_cndmask_b32_e32 v3, v19, v5, vcc
	v_cndmask_b32_e32 v0, v0, v4, vcc
	v_lshlrev_b32_e32 v4, 16, v24
	v_lshlrev_b32_e32 v0, 20, v0
	v_and_b32_e32 v4, 0x80000000, v4
	v_lshl_add_u32 v3, v3, 23, v49
	v_or3_b32 v0, v4, v3, v0
.LBB2_2804:                             ;   in Loop: Header=BB2_2439 Depth=2
	s_or_b64 exec, exec, s[58:59]
.LBB2_2805:                             ;   in Loop: Header=BB2_2439 Depth=2
	s_or_b64 exec, exec, s[56:57]
.LBB2_2806:                             ;   in Loop: Header=BB2_2439 Depth=2
	s_or_b64 exec, exec, s[20:21]
	v_cmp_ne_u16_e32 vcc, 0, v2
	s_and_saveexec_b64 s[20:21], vcc
	s_cbranch_execz .LBB2_2812
; %bb.2807:                             ;   in Loop: Header=BB2_2439 Depth=2
	v_cmp_ne_u16_e32 vcc, s68, v2
	v_bfrev_b32_e32 v1, 1
	s_and_saveexec_b64 s[56:57], vcc
	s_cbranch_execz .LBB2_2811
; %bb.2808:                             ;   in Loop: Header=BB2_2439 Depth=2
	v_and_b32_e32 v3, 0x7f, v2
	v_cmp_ne_u32_e32 vcc, s69, v3
	v_mov_b32_e32 v1, 0x7f800001
	s_and_saveexec_b64 s[58:59], vcc
	s_cbranch_execz .LBB2_2810
; %bb.2809:                             ;   in Loop: Header=BB2_2439 Depth=2
	v_and_b32_e32 v1, 7, v2
	v_ffbh_u32_e32 v4, v1
	v_min_u32_e32 v22, 32, v4
	v_subrev_u32_e32 v4, 28, v22
	v_lshlrev_b64 v[4:5], v4, v[2:3]
	v_lshrrev_b32_e32 v19, 3, v3
	v_sub_u32_e32 v5, 29, v22
	v_and_b32_e32 v4, 7, v4
	v_cmp_gt_u32_e32 vcc, 8, v3
	v_cndmask_b32_e32 v3, v19, v5, vcc
	v_cndmask_b32_e32 v1, v1, v4, vcc
	v_lshlrev_b32_e32 v4, 16, v20
	v_lshlrev_b32_e32 v1, 20, v1
	v_and_b32_e32 v4, 0x80000000, v4
	v_lshl_add_u32 v3, v3, 23, v49
	v_or3_b32 v1, v4, v3, v1
.LBB2_2810:                             ;   in Loop: Header=BB2_2439 Depth=2
	s_or_b64 exec, exec, s[58:59]
.LBB2_2811:                             ;   in Loop: Header=BB2_2439 Depth=2
	s_or_b64 exec, exec, s[56:57]
.LBB2_2812:                             ;   in Loop: Header=BB2_2439 Depth=2
	s_or_b64 exec, exec, s[20:21]
	v_max_f32_e32 v1, v1, v1
	v_max_f32_e32 v0, v0, v0
	;; [unrolled: 1-line block ×3, first 2 shown]
	s_branch .LBB2_2827
.LBB2_2813:                             ;   in Loop: Header=BB2_2439 Depth=2
                                        ; implicit-def: $vgpr1
	s_cbranch_execz .LBB2_2827
; %bb.2814:                             ;   in Loop: Header=BB2_2439 Depth=2
	v_mov_b32_e32 v1, 0
	v_mov_b32_e32 v0, 0
	s_and_saveexec_b64 s[20:21], s[18:19]
	s_cbranch_execz .LBB2_2820
; %bb.2815:                             ;   in Loop: Header=BB2_2439 Depth=2
	v_cmp_ne_u16_e32 vcc, s68, v18
	v_bfrev_b32_e32 v0, 1
	s_and_saveexec_b64 s[18:19], vcc
	s_cbranch_execz .LBB2_2819
; %bb.2816:                             ;   in Loop: Header=BB2_2439 Depth=2
	v_and_b32_e32 v3, 0x7f, v18
	v_cmp_ne_u32_e32 vcc, s69, v3
	v_mov_b32_e32 v0, 0x7f800001
	s_and_saveexec_b64 s[56:57], vcc
	s_cbranch_execz .LBB2_2818
; %bb.2817:                             ;   in Loop: Header=BB2_2439 Depth=2
	v_and_b32_e32 v0, 7, v18
	v_ffbh_u32_e32 v4, v0
	v_min_u32_e32 v22, 32, v4
	v_lshrrev_b32_e32 v19, 3, v3
	v_subrev_u32_e32 v4, 28, v22
	v_lshlrev_b64 v[4:5], v4, v[18:19]
	v_sub_u32_e32 v5, 29, v22
	v_and_b32_e32 v4, 7, v4
	v_cmp_gt_u32_e32 vcc, 8, v3
	v_cndmask_b32_e32 v3, v19, v5, vcc
	v_cndmask_b32_e32 v0, v0, v4, vcc
	v_lshlrev_b32_e32 v4, 16, v24
	v_lshlrev_b32_e32 v0, 20, v0
	v_and_b32_e32 v4, 0x80000000, v4
	v_lshl_add_u32 v3, v3, 23, v49
	v_or3_b32 v0, v4, v3, v0
.LBB2_2818:                             ;   in Loop: Header=BB2_2439 Depth=2
	s_or_b64 exec, exec, s[56:57]
.LBB2_2819:                             ;   in Loop: Header=BB2_2439 Depth=2
	s_or_b64 exec, exec, s[18:19]
.LBB2_2820:                             ;   in Loop: Header=BB2_2439 Depth=2
	s_or_b64 exec, exec, s[20:21]
	v_cmp_ne_u16_e32 vcc, 0, v2
	s_and_saveexec_b64 s[18:19], vcc
	s_cbranch_execz .LBB2_2826
; %bb.2821:                             ;   in Loop: Header=BB2_2439 Depth=2
	v_cmp_ne_u16_e32 vcc, s68, v2
	v_bfrev_b32_e32 v1, 1
	s_and_saveexec_b64 s[20:21], vcc
	s_cbranch_execz .LBB2_2825
; %bb.2822:                             ;   in Loop: Header=BB2_2439 Depth=2
	v_and_b32_e32 v3, 0x7f, v2
	v_cmp_ne_u32_e32 vcc, s69, v3
	v_mov_b32_e32 v1, 0x7f800001
	s_and_saveexec_b64 s[56:57], vcc
	s_cbranch_execz .LBB2_2824
; %bb.2823:                             ;   in Loop: Header=BB2_2439 Depth=2
	v_and_b32_e32 v1, 7, v2
	v_ffbh_u32_e32 v4, v1
	v_min_u32_e32 v19, 32, v4
	v_subrev_u32_e32 v4, 28, v19
	v_lshlrev_b64 v[4:5], v4, v[2:3]
	v_lshrrev_b32_e32 v18, 3, v3
	v_sub_u32_e32 v2, 29, v19
	v_and_b32_e32 v4, 7, v4
	v_cmp_gt_u32_e32 vcc, 8, v3
	v_cndmask_b32_e32 v2, v18, v2, vcc
	v_cndmask_b32_e32 v1, v1, v4, vcc
	v_lshlrev_b32_e32 v3, 16, v20
	v_lshlrev_b32_e32 v1, 20, v1
	v_and_b32_e32 v3, 0x80000000, v3
	v_lshl_add_u32 v2, v2, 23, v49
	v_or3_b32 v1, v3, v2, v1
.LBB2_2824:                             ;   in Loop: Header=BB2_2439 Depth=2
	s_or_b64 exec, exec, s[56:57]
.LBB2_2825:                             ;   in Loop: Header=BB2_2439 Depth=2
	s_or_b64 exec, exec, s[20:21]
.LBB2_2826:                             ;   in Loop: Header=BB2_2439 Depth=2
	s_or_b64 exec, exec, s[18:19]
	v_max_f32_e32 v1, v1, v1
	v_max_f32_e32 v0, v0, v0
	v_min_f32_e32 v1, v0, v1
.LBB2_2827:                             ;   in Loop: Header=BB2_2439 Depth=2
	v_and_b32_sdwa v0, v1, s68 dst_sel:DWORD dst_unused:UNUSED_PAD src0_sel:BYTE_3 src1_sel:DWORD
	v_and_b32_e32 v2, 0x7f800000, v1
	v_mov_b32_e32 v3, v53
	v_accvgpr_write_b32 a20, v60
	v_and_b32_e32 v52, 0x7fffff, v1
	v_or_b32_e32 v60, 0x7e, v0
	v_cmp_ne_u64_e32 vcc, s[40:41], v[2:3]
	s_and_saveexec_b64 s[18:19], vcc
	s_xor_b64 s[20:21], exec, s[18:19]
	s_cbranch_execz .LBB2_2837
; %bb.2828:                             ;   in Loop: Header=BB2_2439 Depth=2
	v_and_b32_e32 v2, 0x7fffffff, v1
	v_mov_b32_e32 v3, v53
	v_cmp_gt_u64_e32 vcc, s[42:43], v[2:3]
	s_and_saveexec_b64 s[56:57], vcc
	s_cbranch_execz .LBB2_2836
; %bb.2829:                             ;   in Loop: Header=BB2_2439 Depth=2
	v_cmp_ne_u32_e32 vcc, 0, v1
	v_mov_b32_e32 v60, 0
	s_and_saveexec_b64 s[58:59], vcc
	s_cbranch_execz .LBB2_2835
; %bb.2830:                             ;   in Loop: Header=BB2_2439 Depth=2
	v_bfe_u32 v1, v1, 23, 8
	v_sub_u32_e32 v3, 0x79, v1
	v_cmp_gt_u32_e32 vcc, s72, v1
	v_add_u32_e32 v2, 0xffffff81, v1
	v_cndmask_b32_e32 v3, 0, v3, vcc
	v_cmp_eq_u32_e32 vcc, 0, v1
	v_mov_b32_e32 v1, 0xffffff82
	v_cndmask_b32_e32 v1, v2, v1, vcc
	v_mov_b32_e32 v2, 0x78
	v_or_b32_e32 v4, 0x800000, v52
	v_cndmask_b32_e32 v5, v3, v2, vcc
	v_cndmask_b32_e32 v52, v4, v52, vcc
	v_add_u32_e32 v2, 20, v5
	v_lshlrev_b64 v[2:3], v2, -1
	v_add_u32_e32 v4, 19, v5
	v_lshrrev_b64 v[26:27], v5, v[52:53]
	v_not_b32_e32 v3, v3
	v_not_b32_e32 v2, v2
	v_lshlrev_b64 v[18:19], v4, 1
	v_lshrrev_b32_e32 v4, 23, v26
	v_and_b32_e32 v3, 0, v3
	v_and_b32_e32 v2, v52, v2
	v_add3_u32 v5, v5, v1, v4
	v_bfe_u32 v1, v26, 20, 1
	v_add_u32_e32 v1, -1, v1
	v_cmp_eq_u64_e32 vcc, v[2:3], v[18:19]
	v_cndmask_b32_e32 v1, 0, v1, vcc
	v_add_u32_e32 v1, v1, v26
	v_and_b32_e32 v1, 0xfffff, v1
	v_add_co_u32_e32 v2, vcc, v1, v26
	v_add_u32_e32 v4, 6, v5
	v_addc_co_u32_e32 v3, vcc, 0, v27, vcc
	v_cmp_ne_u32_e32 vcc, 0, v4
                                        ; implicit-def: $vgpr1
	s_and_saveexec_b64 s[18:19], vcc
	s_xor_b64 s[18:19], exec, s[18:19]
; %bb.2831:                             ;   in Loop: Header=BB2_2439 Depth=2
	v_add_u32_e32 v1, 7, v5
	v_cmp_lt_u64_e32 vcc, s[46:47], v[2:3]
	v_cndmask_b32_e32 v1, v4, v1, vcc
	v_cndmask_b32_e64 v4, 0, 1, vcc
	v_lshrrev_b64 v[2:3], v4, v[2:3]
; %bb.2832:                             ;   in Loop: Header=BB2_2439 Depth=2
	s_andn2_saveexec_b64 s[18:19], s[18:19]
; %bb.2833:                             ;   in Loop: Header=BB2_2439 Depth=2
	v_bfe_u32 v1, v2, 23, 1
; %bb.2834:                             ;   in Loop: Header=BB2_2439 Depth=2
	s_or_b64 exec, exec, s[18:19]
	v_lshrrev_b64 v[2:3], 20, v[2:3]
	v_cmp_gt_i32_e32 vcc, 16, v1
	v_cndmask_b32_e32 v3, 0, v3, vcc
	v_cndmask_b32_e32 v2, 7, v2, vcc
	v_cmp_eq_u32_e32 vcc, 0, v1
	v_min_i32_e32 v1, 15, v1
	v_cmp_eq_u64_e64 s[18:19], 0, v[2:3]
	v_lshlrev_b32_e32 v1, 3, v1
	v_and_or_b32 v1, v2, 7, v1
	s_and_b64 s[18:19], vcc, s[18:19]
	v_cndmask_b32_e64 v1, v1, 0, s[18:19]
	v_or_b32_e32 v60, v1, v0
.LBB2_2835:                             ;   in Loop: Header=BB2_2439 Depth=2
	s_or_b64 exec, exec, s[58:59]
.LBB2_2836:                             ;   in Loop: Header=BB2_2439 Depth=2
	s_or_b64 exec, exec, s[56:57]
                                        ; implicit-def: $vgpr1
.LBB2_2837:                             ;   in Loop: Header=BB2_2439 Depth=2
	s_andn2_saveexec_b64 s[18:19], s[20:21]
; %bb.2838:                             ;   in Loop: Header=BB2_2439 Depth=2
	v_or_b32_sdwa v0, v1, s69 dst_sel:DWORD dst_unused:UNUSED_PAD src0_sel:BYTE_3 src1_sel:DWORD
	v_cmp_eq_u64_e32 vcc, 0, v[52:53]
	v_cndmask_b32_e32 v60, v0, v60, vcc
; %bb.2839:                             ;   in Loop: Header=BB2_2439 Depth=2
	s_or_b64 exec, exec, s[18:19]
	v_lshrrev_b32_e32 v18, 16, v24
	v_lshrrev_b32_e32 v2, 16, v20
	v_cmp_ne_u16_sdwa s[18:19], v18, v53 src0_sel:BYTE_0 src1_sel:DWORD
	s_and_b64 vcc, exec, s[54:55]
	s_cbranch_vccz .LBB2_2853
; %bb.2840:                             ;   in Loop: Header=BB2_2439 Depth=2
	v_mov_b32_e32 v1, 0
	v_mov_b32_e32 v0, 0
	s_and_saveexec_b64 s[20:21], s[18:19]
	s_cbranch_execz .LBB2_2846
; %bb.2841:                             ;   in Loop: Header=BB2_2439 Depth=2
	v_cmp_ne_u16_sdwa vcc, v18, s68 src0_sel:BYTE_0 src1_sel:DWORD
	v_bfrev_b32_e32 v0, 1
	s_and_saveexec_b64 s[56:57], vcc
	s_cbranch_execz .LBB2_2845
; %bb.2842:                             ;   in Loop: Header=BB2_2439 Depth=2
	v_bfe_u32 v3, v24, 16, 7
	v_cmp_ne_u32_e32 vcc, s69, v3
	v_mov_b32_e32 v0, 0x7f800001
	s_and_saveexec_b64 s[58:59], vcc
	s_cbranch_execz .LBB2_2844
; %bb.2843:                             ;   in Loop: Header=BB2_2439 Depth=2
	v_and_b32_e32 v0, 7, v18
	v_ffbh_u32_e32 v4, v0
	v_min_u32_e32 v22, 32, v4
	v_lshrrev_b32_e32 v19, 3, v3
	v_subrev_u32_e32 v4, 28, v22
	v_lshlrev_b64 v[4:5], v4, v[18:19]
	v_sub_u32_e32 v5, 29, v22
	v_and_b32_e32 v4, 7, v4
	v_cmp_gt_u32_e32 vcc, 8, v3
	v_cndmask_b32_e32 v3, v19, v5, vcc
	v_cndmask_b32_e32 v0, v0, v4, vcc
	v_lshlrev_b32_e32 v4, 24, v18
	v_lshlrev_b32_e32 v0, 20, v0
	v_and_b32_e32 v4, 0x80000000, v4
	v_lshl_add_u32 v3, v3, 23, v49
	v_or3_b32 v0, v4, v3, v0
.LBB2_2844:                             ;   in Loop: Header=BB2_2439 Depth=2
	s_or_b64 exec, exec, s[58:59]
.LBB2_2845:                             ;   in Loop: Header=BB2_2439 Depth=2
	s_or_b64 exec, exec, s[56:57]
.LBB2_2846:                             ;   in Loop: Header=BB2_2439 Depth=2
	s_or_b64 exec, exec, s[20:21]
	v_cmp_ne_u16_sdwa vcc, v2, v53 src0_sel:BYTE_0 src1_sel:DWORD
	s_and_saveexec_b64 s[20:21], vcc
	s_cbranch_execz .LBB2_2852
; %bb.2847:                             ;   in Loop: Header=BB2_2439 Depth=2
	v_cmp_ne_u16_sdwa vcc, v2, s68 src0_sel:BYTE_0 src1_sel:DWORD
	v_bfrev_b32_e32 v1, 1
	s_and_saveexec_b64 s[56:57], vcc
	s_cbranch_execz .LBB2_2851
; %bb.2848:                             ;   in Loop: Header=BB2_2439 Depth=2
	v_bfe_u32 v3, v20, 16, 7
	v_cmp_ne_u32_e32 vcc, s69, v3
	v_mov_b32_e32 v1, 0x7f800001
	s_and_saveexec_b64 s[58:59], vcc
	s_cbranch_execz .LBB2_2850
; %bb.2849:                             ;   in Loop: Header=BB2_2439 Depth=2
	v_and_b32_e32 v1, 7, v2
	v_ffbh_u32_e32 v4, v1
	v_min_u32_e32 v22, 32, v4
	v_subrev_u32_e32 v4, 28, v22
	v_lshlrev_b64 v[4:5], v4, v[2:3]
	v_lshrrev_b32_e32 v19, 3, v3
	v_sub_u32_e32 v5, 29, v22
	v_and_b32_e32 v4, 7, v4
	v_cmp_gt_u32_e32 vcc, 8, v3
	v_cndmask_b32_e32 v3, v19, v5, vcc
	v_cndmask_b32_e32 v1, v1, v4, vcc
	v_lshlrev_b32_e32 v4, 24, v2
	v_lshlrev_b32_e32 v1, 20, v1
	v_and_b32_e32 v4, 0x80000000, v4
	v_lshl_add_u32 v3, v3, 23, v49
	v_or3_b32 v1, v4, v3, v1
.LBB2_2850:                             ;   in Loop: Header=BB2_2439 Depth=2
	s_or_b64 exec, exec, s[58:59]
.LBB2_2851:                             ;   in Loop: Header=BB2_2439 Depth=2
	s_or_b64 exec, exec, s[56:57]
.LBB2_2852:                             ;   in Loop: Header=BB2_2439 Depth=2
	s_or_b64 exec, exec, s[20:21]
	v_max_f32_e32 v1, v1, v1
	v_max_f32_e32 v0, v0, v0
	;; [unrolled: 1-line block ×3, first 2 shown]
	s_branch .LBB2_2867
.LBB2_2853:                             ;   in Loop: Header=BB2_2439 Depth=2
                                        ; implicit-def: $vgpr1
	s_cbranch_execz .LBB2_2867
; %bb.2854:                             ;   in Loop: Header=BB2_2439 Depth=2
	v_mov_b32_e32 v1, 0
	v_mov_b32_e32 v0, 0
	s_and_saveexec_b64 s[20:21], s[18:19]
	s_cbranch_execz .LBB2_2860
; %bb.2855:                             ;   in Loop: Header=BB2_2439 Depth=2
	v_cmp_ne_u16_sdwa vcc, v18, s68 src0_sel:BYTE_0 src1_sel:DWORD
	v_bfrev_b32_e32 v0, 1
	s_and_saveexec_b64 s[18:19], vcc
	s_cbranch_execz .LBB2_2859
; %bb.2856:                             ;   in Loop: Header=BB2_2439 Depth=2
	v_bfe_u32 v3, v24, 16, 7
	v_cmp_ne_u32_e32 vcc, s69, v3
	v_mov_b32_e32 v0, 0x7f800001
	s_and_saveexec_b64 s[56:57], vcc
	s_cbranch_execz .LBB2_2858
; %bb.2857:                             ;   in Loop: Header=BB2_2439 Depth=2
	v_and_b32_e32 v0, 7, v18
	v_ffbh_u32_e32 v4, v0
	v_min_u32_e32 v22, 32, v4
	v_lshrrev_b32_e32 v19, 3, v3
	v_subrev_u32_e32 v4, 28, v22
	v_lshlrev_b64 v[4:5], v4, v[18:19]
	v_sub_u32_e32 v5, 29, v22
	v_and_b32_e32 v4, 7, v4
	v_cmp_gt_u32_e32 vcc, 8, v3
	v_cndmask_b32_e32 v3, v19, v5, vcc
	v_cndmask_b32_e32 v0, v0, v4, vcc
	v_lshlrev_b32_e32 v4, 24, v18
	v_lshlrev_b32_e32 v0, 20, v0
	v_and_b32_e32 v4, 0x80000000, v4
	v_lshl_add_u32 v3, v3, 23, v49
	v_or3_b32 v0, v4, v3, v0
.LBB2_2858:                             ;   in Loop: Header=BB2_2439 Depth=2
	s_or_b64 exec, exec, s[56:57]
.LBB2_2859:                             ;   in Loop: Header=BB2_2439 Depth=2
	s_or_b64 exec, exec, s[18:19]
.LBB2_2860:                             ;   in Loop: Header=BB2_2439 Depth=2
	s_or_b64 exec, exec, s[20:21]
	v_cmp_ne_u16_sdwa s[20:21], v2, v53 src0_sel:BYTE_0 src1_sel:DWORD
	s_and_saveexec_b64 s[18:19], s[20:21]
	s_cbranch_execz .LBB2_2866
; %bb.2861:                             ;   in Loop: Header=BB2_2439 Depth=2
	v_cmp_ne_u16_sdwa vcc, v2, s68 src0_sel:BYTE_0 src1_sel:DWORD
	v_bfrev_b32_e32 v1, 1
	s_and_saveexec_b64 s[20:21], vcc
	s_cbranch_execz .LBB2_2865
; %bb.2862:                             ;   in Loop: Header=BB2_2439 Depth=2
	v_bfe_u32 v3, v20, 16, 7
	v_cmp_ne_u32_e32 vcc, s69, v3
	v_mov_b32_e32 v1, 0x7f800001
	s_and_saveexec_b64 s[56:57], vcc
	s_cbranch_execz .LBB2_2864
; %bb.2863:                             ;   in Loop: Header=BB2_2439 Depth=2
	v_and_b32_e32 v1, 7, v2
	v_ffbh_u32_e32 v4, v1
	v_min_u32_e32 v19, 32, v4
	v_subrev_u32_e32 v4, 28, v19
	v_lshlrev_b64 v[4:5], v4, v[2:3]
	v_lshrrev_b32_e32 v18, 3, v3
	v_sub_u32_e32 v5, 29, v19
	v_and_b32_e32 v4, 7, v4
	v_cmp_gt_u32_e32 vcc, 8, v3
	v_cndmask_b32_e32 v3, v18, v5, vcc
	v_cndmask_b32_e32 v1, v1, v4, vcc
	v_lshlrev_b32_e32 v2, 24, v2
	v_lshlrev_b32_e32 v1, 20, v1
	v_and_b32_e32 v2, 0x80000000, v2
	v_lshl_add_u32 v3, v3, 23, v49
	v_or3_b32 v1, v2, v3, v1
.LBB2_2864:                             ;   in Loop: Header=BB2_2439 Depth=2
	s_or_b64 exec, exec, s[56:57]
.LBB2_2865:                             ;   in Loop: Header=BB2_2439 Depth=2
	s_or_b64 exec, exec, s[20:21]
.LBB2_2866:                             ;   in Loop: Header=BB2_2439 Depth=2
	s_or_b64 exec, exec, s[18:19]
	v_max_f32_e32 v1, v1, v1
	v_max_f32_e32 v0, v0, v0
	v_min_f32_e32 v1, v0, v1
.LBB2_2867:                             ;   in Loop: Header=BB2_2439 Depth=2
	v_and_b32_sdwa v0, v1, s68 dst_sel:DWORD dst_unused:UNUSED_PAD src0_sel:BYTE_3 src1_sel:DWORD
	v_and_b32_e32 v2, 0x7f800000, v1
	v_mov_b32_e32 v3, v53
	v_and_b32_e32 v52, 0x7fffff, v1
	v_or_b32_e32 v50, 0x7e, v0
	v_cmp_ne_u64_e32 vcc, s[40:41], v[2:3]
	s_and_saveexec_b64 s[18:19], vcc
	s_xor_b64 s[20:21], exec, s[18:19]
	s_cbranch_execz .LBB2_2877
; %bb.2868:                             ;   in Loop: Header=BB2_2439 Depth=2
	v_and_b32_e32 v2, 0x7fffffff, v1
	v_mov_b32_e32 v3, v53
	v_cmp_gt_u64_e32 vcc, s[42:43], v[2:3]
	s_and_saveexec_b64 s[56:57], vcc
	s_cbranch_execz .LBB2_2876
; %bb.2869:                             ;   in Loop: Header=BB2_2439 Depth=2
	v_cmp_ne_u32_e32 vcc, 0, v1
	v_mov_b32_e32 v50, 0
	s_and_saveexec_b64 s[58:59], vcc
	s_cbranch_execz .LBB2_2875
; %bb.2870:                             ;   in Loop: Header=BB2_2439 Depth=2
	v_bfe_u32 v1, v1, 23, 8
	v_sub_u32_e32 v3, 0x79, v1
	v_cmp_gt_u32_e32 vcc, s72, v1
	v_add_u32_e32 v2, 0xffffff81, v1
	v_cndmask_b32_e32 v3, 0, v3, vcc
	v_cmp_eq_u32_e32 vcc, 0, v1
	v_mov_b32_e32 v1, 0xffffff82
	v_cndmask_b32_e32 v1, v2, v1, vcc
	v_mov_b32_e32 v2, 0x78
	v_or_b32_e32 v4, 0x800000, v52
	v_cndmask_b32_e32 v5, v3, v2, vcc
	v_cndmask_b32_e32 v52, v4, v52, vcc
	v_add_u32_e32 v2, 20, v5
	v_lshlrev_b64 v[2:3], v2, -1
	v_add_u32_e32 v4, 19, v5
	v_lshrrev_b64 v[26:27], v5, v[52:53]
	v_not_b32_e32 v3, v3
	v_not_b32_e32 v2, v2
	v_lshlrev_b64 v[18:19], v4, 1
	v_lshrrev_b32_e32 v4, 23, v26
	v_and_b32_e32 v3, 0, v3
	v_and_b32_e32 v2, v52, v2
	v_add3_u32 v5, v5, v1, v4
	v_bfe_u32 v1, v26, 20, 1
	v_add_u32_e32 v1, -1, v1
	v_cmp_eq_u64_e32 vcc, v[2:3], v[18:19]
	v_cndmask_b32_e32 v1, 0, v1, vcc
	v_add_u32_e32 v1, v1, v26
	v_and_b32_e32 v1, 0xfffff, v1
	v_add_co_u32_e32 v2, vcc, v1, v26
	v_add_u32_e32 v4, 6, v5
	v_addc_co_u32_e32 v3, vcc, 0, v27, vcc
	v_cmp_ne_u32_e32 vcc, 0, v4
                                        ; implicit-def: $vgpr1
	s_and_saveexec_b64 s[18:19], vcc
	s_xor_b64 s[18:19], exec, s[18:19]
; %bb.2871:                             ;   in Loop: Header=BB2_2439 Depth=2
	v_add_u32_e32 v1, 7, v5
	v_cmp_lt_u64_e32 vcc, s[46:47], v[2:3]
	v_cndmask_b32_e32 v1, v4, v1, vcc
	v_cndmask_b32_e64 v4, 0, 1, vcc
	v_lshrrev_b64 v[2:3], v4, v[2:3]
; %bb.2872:                             ;   in Loop: Header=BB2_2439 Depth=2
	s_andn2_saveexec_b64 s[18:19], s[18:19]
; %bb.2873:                             ;   in Loop: Header=BB2_2439 Depth=2
	v_bfe_u32 v1, v2, 23, 1
; %bb.2874:                             ;   in Loop: Header=BB2_2439 Depth=2
	s_or_b64 exec, exec, s[18:19]
	v_lshrrev_b64 v[2:3], 20, v[2:3]
	v_cmp_gt_i32_e32 vcc, 16, v1
	v_cndmask_b32_e32 v3, 0, v3, vcc
	v_cndmask_b32_e32 v2, 7, v2, vcc
	v_cmp_eq_u32_e32 vcc, 0, v1
	v_min_i32_e32 v1, 15, v1
	v_cmp_eq_u64_e64 s[18:19], 0, v[2:3]
	v_lshlrev_b32_e32 v1, 3, v1
	v_and_or_b32 v1, v2, 7, v1
	s_and_b64 s[18:19], vcc, s[18:19]
	v_cndmask_b32_e64 v1, v1, 0, s[18:19]
	v_or_b32_e32 v50, v1, v0
.LBB2_2875:                             ;   in Loop: Header=BB2_2439 Depth=2
	s_or_b64 exec, exec, s[58:59]
.LBB2_2876:                             ;   in Loop: Header=BB2_2439 Depth=2
	s_or_b64 exec, exec, s[56:57]
                                        ; implicit-def: $vgpr1
.LBB2_2877:                             ;   in Loop: Header=BB2_2439 Depth=2
	s_andn2_saveexec_b64 s[18:19], s[20:21]
; %bb.2878:                             ;   in Loop: Header=BB2_2439 Depth=2
	v_or_b32_sdwa v0, v1, s69 dst_sel:DWORD dst_unused:UNUSED_PAD src0_sel:BYTE_3 src1_sel:DWORD
	v_cmp_eq_u64_e32 vcc, 0, v[52:53]
	v_cndmask_b32_e32 v50, v0, v50, vcc
; %bb.2879:                             ;   in Loop: Header=BB2_2439 Depth=2
	s_or_b64 exec, exec, s[18:19]
	v_lshrrev_b32_e32 v18, 24, v24
	v_lshrrev_b32_e32 v2, 24, v20
	v_cmp_lt_u32_e64 s[18:19], s45, v24
	s_and_b64 vcc, exec, s[54:55]
	s_cbranch_vccz .LBB2_2893
; %bb.2880:                             ;   in Loop: Header=BB2_2439 Depth=2
	v_mov_b32_e32 v1, 0
	v_mov_b32_e32 v0, 0
	s_and_saveexec_b64 s[20:21], s[18:19]
	s_cbranch_execz .LBB2_2886
; %bb.2881:                             ;   in Loop: Header=BB2_2439 Depth=2
	v_cmp_ne_u32_e32 vcc, s68, v18
	v_bfrev_b32_e32 v0, 1
	s_and_saveexec_b64 s[56:57], vcc
	s_cbranch_execz .LBB2_2885
; %bb.2882:                             ;   in Loop: Header=BB2_2439 Depth=2
	v_bfe_u32 v3, v24, 24, 7
	v_cmp_ne_u32_e32 vcc, s69, v3
	v_mov_b32_e32 v0, 0x7f800001
	s_and_saveexec_b64 s[58:59], vcc
	s_cbranch_execz .LBB2_2884
; %bb.2883:                             ;   in Loop: Header=BB2_2439 Depth=2
	v_and_b32_e32 v0, 7, v18
	v_ffbh_u32_e32 v4, v0
	v_min_u32_e32 v22, 32, v4
	v_lshrrev_b32_e32 v19, 3, v3
	v_subrev_u32_e32 v4, 28, v22
	v_lshlrev_b64 v[4:5], v4, v[18:19]
	v_sub_u32_e32 v5, 29, v22
	v_and_b32_e32 v4, 7, v4
	v_cmp_gt_u32_e32 vcc, 8, v3
	v_cndmask_b32_e32 v3, v19, v5, vcc
	v_cndmask_b32_e32 v0, v0, v4, vcc
	v_lshlrev_b32_e32 v4, 24, v18
	v_lshlrev_b32_e32 v0, 20, v0
	v_and_b32_e32 v4, 0x80000000, v4
	v_lshl_add_u32 v3, v3, 23, v49
	v_or3_b32 v0, v4, v3, v0
.LBB2_2884:                             ;   in Loop: Header=BB2_2439 Depth=2
	s_or_b64 exec, exec, s[58:59]
.LBB2_2885:                             ;   in Loop: Header=BB2_2439 Depth=2
	s_or_b64 exec, exec, s[56:57]
.LBB2_2886:                             ;   in Loop: Header=BB2_2439 Depth=2
	s_or_b64 exec, exec, s[20:21]
	v_cmp_lt_u32_e32 vcc, s45, v20
	s_and_saveexec_b64 s[20:21], vcc
	s_cbranch_execz .LBB2_2892
; %bb.2887:                             ;   in Loop: Header=BB2_2439 Depth=2
	v_cmp_ne_u32_e32 vcc, s68, v2
	v_bfrev_b32_e32 v1, 1
	s_and_saveexec_b64 s[56:57], vcc
	s_cbranch_execz .LBB2_2891
; %bb.2888:                             ;   in Loop: Header=BB2_2439 Depth=2
	v_bfe_u32 v3, v20, 24, 7
	v_cmp_ne_u32_e32 vcc, s69, v3
	v_mov_b32_e32 v1, 0x7f800001
	s_and_saveexec_b64 s[58:59], vcc
	s_cbranch_execz .LBB2_2890
; %bb.2889:                             ;   in Loop: Header=BB2_2439 Depth=2
	v_and_b32_e32 v1, 7, v2
	v_ffbh_u32_e32 v4, v1
	v_min_u32_e32 v22, 32, v4
	v_subrev_u32_e32 v4, 28, v22
	v_lshlrev_b64 v[4:5], v4, v[2:3]
	v_lshrrev_b32_e32 v19, 3, v3
	v_sub_u32_e32 v5, 29, v22
	v_and_b32_e32 v4, 7, v4
	v_cmp_gt_u32_e32 vcc, 8, v3
	v_cndmask_b32_e32 v3, v19, v5, vcc
	v_cndmask_b32_e32 v1, v1, v4, vcc
	v_lshlrev_b32_e32 v4, 24, v2
	v_lshlrev_b32_e32 v1, 20, v1
	v_and_b32_e32 v4, 0x80000000, v4
	v_lshl_add_u32 v3, v3, 23, v49
	v_or3_b32 v1, v4, v3, v1
.LBB2_2890:                             ;   in Loop: Header=BB2_2439 Depth=2
	s_or_b64 exec, exec, s[58:59]
.LBB2_2891:                             ;   in Loop: Header=BB2_2439 Depth=2
	s_or_b64 exec, exec, s[56:57]
.LBB2_2892:                             ;   in Loop: Header=BB2_2439 Depth=2
	s_or_b64 exec, exec, s[20:21]
	v_max_f32_e32 v1, v1, v1
	v_max_f32_e32 v0, v0, v0
	;; [unrolled: 1-line block ×3, first 2 shown]
	s_branch .LBB2_2907
.LBB2_2893:                             ;   in Loop: Header=BB2_2439 Depth=2
                                        ; implicit-def: $vgpr1
	s_cbranch_execz .LBB2_2907
; %bb.2894:                             ;   in Loop: Header=BB2_2439 Depth=2
	v_mov_b32_e32 v1, 0
	v_mov_b32_e32 v0, 0
	s_and_saveexec_b64 s[20:21], s[18:19]
	s_cbranch_execz .LBB2_2900
; %bb.2895:                             ;   in Loop: Header=BB2_2439 Depth=2
	v_cmp_ne_u32_e32 vcc, s68, v18
	v_bfrev_b32_e32 v0, 1
	s_and_saveexec_b64 s[18:19], vcc
	s_cbranch_execz .LBB2_2899
; %bb.2896:                             ;   in Loop: Header=BB2_2439 Depth=2
	v_bfe_u32 v3, v24, 24, 7
	v_cmp_ne_u32_e32 vcc, s69, v3
	v_mov_b32_e32 v0, 0x7f800001
	s_and_saveexec_b64 s[56:57], vcc
	s_cbranch_execz .LBB2_2898
; %bb.2897:                             ;   in Loop: Header=BB2_2439 Depth=2
	v_and_b32_e32 v0, 7, v18
	v_ffbh_u32_e32 v4, v0
	v_min_u32_e32 v22, 32, v4
	v_lshrrev_b32_e32 v19, 3, v3
	v_subrev_u32_e32 v4, 28, v22
	v_lshlrev_b64 v[4:5], v4, v[18:19]
	v_sub_u32_e32 v5, 29, v22
	v_and_b32_e32 v4, 7, v4
	v_cmp_gt_u32_e32 vcc, 8, v3
	v_cndmask_b32_e32 v3, v19, v5, vcc
	v_cndmask_b32_e32 v0, v0, v4, vcc
	v_lshlrev_b32_e32 v4, 24, v18
	v_lshlrev_b32_e32 v0, 20, v0
	v_and_b32_e32 v4, 0x80000000, v4
	v_lshl_add_u32 v3, v3, 23, v49
	v_or3_b32 v0, v4, v3, v0
.LBB2_2898:                             ;   in Loop: Header=BB2_2439 Depth=2
	s_or_b64 exec, exec, s[56:57]
.LBB2_2899:                             ;   in Loop: Header=BB2_2439 Depth=2
	s_or_b64 exec, exec, s[18:19]
.LBB2_2900:                             ;   in Loop: Header=BB2_2439 Depth=2
	s_or_b64 exec, exec, s[20:21]
	v_cmp_lt_u32_e32 vcc, s45, v20
	s_and_saveexec_b64 s[18:19], vcc
	s_cbranch_execz .LBB2_2906
; %bb.2901:                             ;   in Loop: Header=BB2_2439 Depth=2
	v_cmp_ne_u32_e32 vcc, s68, v2
	v_bfrev_b32_e32 v1, 1
	s_and_saveexec_b64 s[20:21], vcc
	s_cbranch_execz .LBB2_2905
; %bb.2902:                             ;   in Loop: Header=BB2_2439 Depth=2
	v_bfe_u32 v3, v20, 24, 7
	v_cmp_ne_u32_e32 vcc, s69, v3
	v_mov_b32_e32 v1, 0x7f800001
	s_and_saveexec_b64 s[56:57], vcc
	s_cbranch_execz .LBB2_2904
; %bb.2903:                             ;   in Loop: Header=BB2_2439 Depth=2
	v_and_b32_e32 v1, 7, v2
	v_ffbh_u32_e32 v4, v1
	v_min_u32_e32 v19, 32, v4
	v_subrev_u32_e32 v4, 28, v19
	v_lshlrev_b64 v[4:5], v4, v[2:3]
	v_lshrrev_b32_e32 v18, 3, v3
	v_sub_u32_e32 v5, 29, v19
	v_and_b32_e32 v4, 7, v4
	v_cmp_gt_u32_e32 vcc, 8, v3
	v_cndmask_b32_e32 v3, v18, v5, vcc
	v_cndmask_b32_e32 v1, v1, v4, vcc
	v_lshlrev_b32_e32 v2, 24, v2
	v_lshlrev_b32_e32 v1, 20, v1
	v_and_b32_e32 v2, 0x80000000, v2
	v_lshl_add_u32 v3, v3, 23, v49
	v_or3_b32 v1, v2, v3, v1
.LBB2_2904:                             ;   in Loop: Header=BB2_2439 Depth=2
	s_or_b64 exec, exec, s[56:57]
.LBB2_2905:                             ;   in Loop: Header=BB2_2439 Depth=2
	s_or_b64 exec, exec, s[20:21]
.LBB2_2906:                             ;   in Loop: Header=BB2_2439 Depth=2
	s_or_b64 exec, exec, s[18:19]
	v_max_f32_e32 v1, v1, v1
	v_max_f32_e32 v0, v0, v0
	v_min_f32_e32 v1, v0, v1
.LBB2_2907:                             ;   in Loop: Header=BB2_2439 Depth=2
	v_and_b32_sdwa v0, v1, s68 dst_sel:DWORD dst_unused:UNUSED_PAD src0_sel:BYTE_3 src1_sel:DWORD
	v_and_b32_e32 v2, 0x7f800000, v1
	v_mov_b32_e32 v3, v53
	v_and_b32_e32 v52, 0x7fffff, v1
	v_or_b32_e32 v44, 0x7e, v0
	v_cmp_ne_u64_e32 vcc, s[40:41], v[2:3]
	s_and_saveexec_b64 s[18:19], vcc
	s_xor_b64 s[20:21], exec, s[18:19]
	s_cbranch_execz .LBB2_2917
; %bb.2908:                             ;   in Loop: Header=BB2_2439 Depth=2
	v_and_b32_e32 v2, 0x7fffffff, v1
	v_mov_b32_e32 v3, v53
	v_cmp_gt_u64_e32 vcc, s[42:43], v[2:3]
	s_and_saveexec_b64 s[56:57], vcc
	s_cbranch_execz .LBB2_2916
; %bb.2909:                             ;   in Loop: Header=BB2_2439 Depth=2
	v_cmp_ne_u32_e32 vcc, 0, v1
	v_mov_b32_e32 v44, 0
	s_and_saveexec_b64 s[58:59], vcc
	s_cbranch_execz .LBB2_2915
; %bb.2910:                             ;   in Loop: Header=BB2_2439 Depth=2
	v_bfe_u32 v1, v1, 23, 8
	v_sub_u32_e32 v3, 0x79, v1
	v_cmp_gt_u32_e32 vcc, s72, v1
	v_add_u32_e32 v2, 0xffffff81, v1
	v_cndmask_b32_e32 v3, 0, v3, vcc
	v_cmp_eq_u32_e32 vcc, 0, v1
	v_mov_b32_e32 v1, 0xffffff82
	v_cndmask_b32_e32 v1, v2, v1, vcc
	v_mov_b32_e32 v2, 0x78
	v_or_b32_e32 v4, 0x800000, v52
	v_cndmask_b32_e32 v5, v3, v2, vcc
	v_cndmask_b32_e32 v52, v4, v52, vcc
	v_add_u32_e32 v2, 20, v5
	v_lshlrev_b64 v[2:3], v2, -1
	v_add_u32_e32 v4, 19, v5
	v_lshrrev_b64 v[26:27], v5, v[52:53]
	v_not_b32_e32 v3, v3
	v_not_b32_e32 v2, v2
	v_lshlrev_b64 v[18:19], v4, 1
	v_lshrrev_b32_e32 v4, 23, v26
	v_and_b32_e32 v3, 0, v3
	v_and_b32_e32 v2, v52, v2
	v_add3_u32 v5, v5, v1, v4
	v_bfe_u32 v1, v26, 20, 1
	v_add_u32_e32 v1, -1, v1
	v_cmp_eq_u64_e32 vcc, v[2:3], v[18:19]
	v_cndmask_b32_e32 v1, 0, v1, vcc
	v_add_u32_e32 v1, v1, v26
	v_and_b32_e32 v1, 0xfffff, v1
	v_add_co_u32_e32 v2, vcc, v1, v26
	v_add_u32_e32 v4, 6, v5
	v_addc_co_u32_e32 v3, vcc, 0, v27, vcc
	v_cmp_ne_u32_e32 vcc, 0, v4
                                        ; implicit-def: $vgpr1
	s_and_saveexec_b64 s[18:19], vcc
	s_xor_b64 s[18:19], exec, s[18:19]
; %bb.2911:                             ;   in Loop: Header=BB2_2439 Depth=2
	v_add_u32_e32 v1, 7, v5
	v_cmp_lt_u64_e32 vcc, s[46:47], v[2:3]
	v_cndmask_b32_e32 v1, v4, v1, vcc
	v_cndmask_b32_e64 v4, 0, 1, vcc
	v_lshrrev_b64 v[2:3], v4, v[2:3]
; %bb.2912:                             ;   in Loop: Header=BB2_2439 Depth=2
	s_andn2_saveexec_b64 s[18:19], s[18:19]
; %bb.2913:                             ;   in Loop: Header=BB2_2439 Depth=2
	v_bfe_u32 v1, v2, 23, 1
; %bb.2914:                             ;   in Loop: Header=BB2_2439 Depth=2
	s_or_b64 exec, exec, s[18:19]
	v_lshrrev_b64 v[2:3], 20, v[2:3]
	v_cmp_gt_i32_e32 vcc, 16, v1
	v_cndmask_b32_e32 v3, 0, v3, vcc
	v_cndmask_b32_e32 v2, 7, v2, vcc
	v_cmp_eq_u32_e32 vcc, 0, v1
	v_min_i32_e32 v1, 15, v1
	v_cmp_eq_u64_e64 s[18:19], 0, v[2:3]
	v_lshlrev_b32_e32 v1, 3, v1
	v_and_or_b32 v1, v2, 7, v1
	s_and_b64 s[18:19], vcc, s[18:19]
	v_cndmask_b32_e64 v1, v1, 0, s[18:19]
	v_or_b32_e32 v44, v1, v0
.LBB2_2915:                             ;   in Loop: Header=BB2_2439 Depth=2
	s_or_b64 exec, exec, s[58:59]
.LBB2_2916:                             ;   in Loop: Header=BB2_2439 Depth=2
	s_or_b64 exec, exec, s[56:57]
                                        ; implicit-def: $vgpr1
.LBB2_2917:                             ;   in Loop: Header=BB2_2439 Depth=2
	s_andn2_saveexec_b64 s[18:19], s[20:21]
; %bb.2918:                             ;   in Loop: Header=BB2_2439 Depth=2
	v_or_b32_sdwa v0, v1, s69 dst_sel:DWORD dst_unused:UNUSED_PAD src0_sel:BYTE_3 src1_sel:DWORD
	v_cmp_eq_u64_e32 vcc, 0, v[52:53]
	v_cndmask_b32_e32 v44, v0, v44, vcc
; %bb.2919:                             ;   in Loop: Header=BB2_2439 Depth=2
	s_or_b64 exec, exec, s[18:19]
	v_mov_b32_e32 v52, v25
	v_mov_b32_e32 v2, v21
	;; [unrolled: 1-line block ×3, first 2 shown]
	v_cmp_ne_u16_sdwa s[18:19], v25, v53 src0_sel:BYTE_0 src1_sel:DWORD
	s_and_b64 vcc, exec, s[54:55]
	s_cbranch_vccz .LBB2_2933
; %bb.2920:                             ;   in Loop: Header=BB2_2439 Depth=2
	v_mov_b32_e32 v1, 0
	v_mov_b32_e32 v0, 0
	s_and_saveexec_b64 s[20:21], s[18:19]
	s_cbranch_execz .LBB2_2926
; %bb.2921:                             ;   in Loop: Header=BB2_2439 Depth=2
	v_cmp_ne_u16_sdwa vcc, v25, s68 src0_sel:BYTE_0 src1_sel:DWORD
	v_bfrev_b32_e32 v0, 1
	s_and_saveexec_b64 s[56:57], vcc
	s_cbranch_execz .LBB2_2925
; %bb.2922:                             ;   in Loop: Header=BB2_2439 Depth=2
	v_and_b32_e32 v4, 0x7f, v25
	v_cmp_ne_u32_e32 vcc, s69, v4
	v_mov_b32_e32 v0, 0x7f800001
	s_and_saveexec_b64 s[58:59], vcc
	s_cbranch_execz .LBB2_2924
; %bb.2923:                             ;   in Loop: Header=BB2_2439 Depth=2
	v_and_b32_e32 v0, 7, v25
	v_ffbh_u32_e32 v0, v0
	v_min_u32_e32 v0, 32, v0
	v_subrev_u32_e32 v18, 28, v0
	v_cmp_gt_u32_e32 vcc, 8, v4
	v_lshrrev_b32_e32 v5, 3, v4
	v_sub_u32_e32 v0, 29, v0
	v_cndmask_b32_e32 v4, 0, v18, vcc
	v_cndmask_b32_e32 v0, v5, v0, vcc
	v_lshlrev_b64 v[4:5], v4, v[52:53]
	v_lshlrev_b32_e32 v4, 20, v4
	v_lshlrev_b32_e32 v5, 24, v52
	v_and_b32_e32 v4, 0x700000, v4
	v_and_b32_e32 v5, 0x80000000, v5
	v_lshl_add_u32 v0, v0, 23, v49
	v_or3_b32 v0, v5, v0, v4
.LBB2_2924:                             ;   in Loop: Header=BB2_2439 Depth=2
	s_or_b64 exec, exec, s[58:59]
.LBB2_2925:                             ;   in Loop: Header=BB2_2439 Depth=2
	s_or_b64 exec, exec, s[56:57]
.LBB2_2926:                             ;   in Loop: Header=BB2_2439 Depth=2
	s_or_b64 exec, exec, s[20:21]
	v_cmp_ne_u16_sdwa vcc, v21, v53 src0_sel:BYTE_0 src1_sel:DWORD
	s_and_saveexec_b64 s[20:21], vcc
	s_cbranch_execz .LBB2_2932
; %bb.2927:                             ;   in Loop: Header=BB2_2439 Depth=2
	v_cmp_ne_u16_sdwa vcc, v21, s68 src0_sel:BYTE_0 src1_sel:DWORD
	v_bfrev_b32_e32 v1, 1
	s_and_saveexec_b64 s[56:57], vcc
	s_cbranch_execz .LBB2_2931
; %bb.2928:                             ;   in Loop: Header=BB2_2439 Depth=2
	v_and_b32_e32 v4, 0x7f, v21
	v_cmp_ne_u32_e32 vcc, s69, v4
	v_mov_b32_e32 v1, 0x7f800001
	s_and_saveexec_b64 s[58:59], vcc
	s_cbranch_execz .LBB2_2930
; %bb.2929:                             ;   in Loop: Header=BB2_2439 Depth=2
	v_and_b32_e32 v1, 7, v21
	v_ffbh_u32_e32 v1, v1
	v_min_u32_e32 v1, 32, v1
	v_subrev_u32_e32 v18, 28, v1
	v_cmp_gt_u32_e32 vcc, 8, v4
	v_lshrrev_b32_e32 v5, 3, v4
	v_sub_u32_e32 v1, 29, v1
	v_cndmask_b32_e32 v4, 0, v18, vcc
	v_cndmask_b32_e32 v1, v5, v1, vcc
	v_lshlrev_b64 v[4:5], v4, v[2:3]
	v_lshlrev_b32_e32 v4, 20, v4
	v_lshlrev_b32_e32 v5, 24, v2
	v_and_b32_e32 v4, 0x700000, v4
	v_and_b32_e32 v5, 0x80000000, v5
	v_lshl_add_u32 v1, v1, 23, v49
	v_or3_b32 v1, v5, v1, v4
.LBB2_2930:                             ;   in Loop: Header=BB2_2439 Depth=2
	s_or_b64 exec, exec, s[58:59]
.LBB2_2931:                             ;   in Loop: Header=BB2_2439 Depth=2
	s_or_b64 exec, exec, s[56:57]
.LBB2_2932:                             ;   in Loop: Header=BB2_2439 Depth=2
	s_or_b64 exec, exec, s[20:21]
	v_max_f32_e32 v1, v1, v1
	v_max_f32_e32 v0, v0, v0
	;; [unrolled: 1-line block ×3, first 2 shown]
	s_branch .LBB2_2947
.LBB2_2933:                             ;   in Loop: Header=BB2_2439 Depth=2
                                        ; implicit-def: $vgpr1
	s_cbranch_execz .LBB2_2947
; %bb.2934:                             ;   in Loop: Header=BB2_2439 Depth=2
	v_mov_b32_e32 v1, 0
	v_mov_b32_e32 v0, 0
	s_and_saveexec_b64 s[20:21], s[18:19]
	s_cbranch_execz .LBB2_2940
; %bb.2935:                             ;   in Loop: Header=BB2_2439 Depth=2
	v_cmp_ne_u16_sdwa vcc, v25, s68 src0_sel:BYTE_0 src1_sel:DWORD
	v_bfrev_b32_e32 v0, 1
	s_and_saveexec_b64 s[18:19], vcc
	s_cbranch_execz .LBB2_2939
; %bb.2936:                             ;   in Loop: Header=BB2_2439 Depth=2
	v_and_b32_e32 v4, 0x7f, v25
	v_cmp_ne_u32_e32 vcc, s69, v4
	v_mov_b32_e32 v0, 0x7f800001
	s_and_saveexec_b64 s[56:57], vcc
	s_cbranch_execz .LBB2_2938
; %bb.2937:                             ;   in Loop: Header=BB2_2439 Depth=2
	v_and_b32_e32 v0, 7, v25
	v_ffbh_u32_e32 v0, v0
	v_min_u32_e32 v0, 32, v0
	v_subrev_u32_e32 v18, 28, v0
	v_cmp_gt_u32_e32 vcc, 8, v4
	v_lshrrev_b32_e32 v5, 3, v4
	v_sub_u32_e32 v0, 29, v0
	v_cndmask_b32_e32 v4, 0, v18, vcc
	v_cndmask_b32_e32 v0, v5, v0, vcc
	v_lshlrev_b64 v[4:5], v4, v[52:53]
	v_lshlrev_b32_e32 v4, 20, v4
	v_lshlrev_b32_e32 v5, 24, v52
	v_and_b32_e32 v4, 0x700000, v4
	v_and_b32_e32 v5, 0x80000000, v5
	v_lshl_add_u32 v0, v0, 23, v49
	v_or3_b32 v0, v5, v0, v4
.LBB2_2938:                             ;   in Loop: Header=BB2_2439 Depth=2
	s_or_b64 exec, exec, s[56:57]
.LBB2_2939:                             ;   in Loop: Header=BB2_2439 Depth=2
	s_or_b64 exec, exec, s[18:19]
.LBB2_2940:                             ;   in Loop: Header=BB2_2439 Depth=2
	s_or_b64 exec, exec, s[20:21]
	v_cmp_ne_u16_sdwa s[20:21], v21, v53 src0_sel:BYTE_0 src1_sel:DWORD
	s_and_saveexec_b64 s[18:19], s[20:21]
	s_cbranch_execz .LBB2_2946
; %bb.2941:                             ;   in Loop: Header=BB2_2439 Depth=2
	v_cmp_ne_u16_sdwa vcc, v21, s68 src0_sel:BYTE_0 src1_sel:DWORD
	v_bfrev_b32_e32 v1, 1
	s_and_saveexec_b64 s[20:21], vcc
	s_cbranch_execz .LBB2_2945
; %bb.2942:                             ;   in Loop: Header=BB2_2439 Depth=2
	v_and_b32_e32 v4, 0x7f, v21
	v_cmp_ne_u32_e32 vcc, s69, v4
	v_mov_b32_e32 v1, 0x7f800001
	s_and_saveexec_b64 s[56:57], vcc
	s_cbranch_execz .LBB2_2944
; %bb.2943:                             ;   in Loop: Header=BB2_2439 Depth=2
	v_and_b32_e32 v1, 7, v21
	v_ffbh_u32_e32 v1, v1
	v_min_u32_e32 v1, 32, v1
	v_subrev_u32_e32 v18, 28, v1
	v_cmp_gt_u32_e32 vcc, 8, v4
	v_lshrrev_b32_e32 v5, 3, v4
	v_sub_u32_e32 v1, 29, v1
	v_cndmask_b32_e32 v4, 0, v18, vcc
	v_cndmask_b32_e32 v1, v5, v1, vcc
	v_lshlrev_b64 v[4:5], v4, v[2:3]
	v_lshlrev_b32_e32 v3, 20, v4
	v_lshlrev_b32_e32 v4, 24, v2
	v_and_b32_e32 v3, 0x700000, v3
	v_and_b32_e32 v4, 0x80000000, v4
	v_lshl_add_u32 v1, v1, 23, v49
	v_or3_b32 v1, v4, v1, v3
.LBB2_2944:                             ;   in Loop: Header=BB2_2439 Depth=2
	s_or_b64 exec, exec, s[56:57]
.LBB2_2945:                             ;   in Loop: Header=BB2_2439 Depth=2
	s_or_b64 exec, exec, s[20:21]
.LBB2_2946:                             ;   in Loop: Header=BB2_2439 Depth=2
	s_or_b64 exec, exec, s[18:19]
	v_max_f32_e32 v1, v1, v1
	v_max_f32_e32 v0, v0, v0
	v_min_f32_e32 v1, v0, v1
.LBB2_2947:                             ;   in Loop: Header=BB2_2439 Depth=2
	v_and_b32_sdwa v0, v1, s68 dst_sel:DWORD dst_unused:UNUSED_PAD src0_sel:BYTE_3 src1_sel:DWORD
	v_and_b32_e32 v4, 0x7f800000, v1
	v_mov_b32_e32 v5, v53
	v_and_b32_e32 v18, 0x7fffff, v1
	v_mov_b32_e32 v19, v53
	v_or_b32_e32 v29, 0x7e, v0
	v_cmp_ne_u64_e32 vcc, s[40:41], v[4:5]
	s_and_saveexec_b64 s[18:19], vcc
	s_xor_b64 s[20:21], exec, s[18:19]
	s_cbranch_execz .LBB2_2957
; %bb.2948:                             ;   in Loop: Header=BB2_2439 Depth=2
	v_and_b32_e32 v4, 0x7fffffff, v1
	v_mov_b32_e32 v5, v53
	v_cmp_gt_u64_e32 vcc, s[42:43], v[4:5]
	s_and_saveexec_b64 s[56:57], vcc
	s_cbranch_execz .LBB2_2956
; %bb.2949:                             ;   in Loop: Header=BB2_2439 Depth=2
	v_cmp_ne_u32_e32 vcc, 0, v1
	v_mov_b32_e32 v29, 0
	s_and_saveexec_b64 s[58:59], vcc
	s_cbranch_execz .LBB2_2955
; %bb.2950:                             ;   in Loop: Header=BB2_2439 Depth=2
	v_bfe_u32 v1, v1, 23, 8
	v_sub_u32_e32 v4, 0x79, v1
	v_cmp_gt_u32_e32 vcc, s72, v1
	v_add_u32_e32 v3, 0xffffff81, v1
	v_cndmask_b32_e32 v4, 0, v4, vcc
	v_cmp_eq_u32_e32 vcc, 0, v1
	v_mov_b32_e32 v1, 0xffffff82
	v_cndmask_b32_e32 v1, v3, v1, vcc
	v_mov_b32_e32 v3, 0x78
	v_cndmask_b32_e32 v3, v4, v3, vcc
	v_or_b32_e32 v5, 0x800000, v18
	v_add_u32_e32 v4, 20, v3
	v_cndmask_b32_e32 v18, v5, v18, vcc
	v_lshlrev_b64 v[4:5], v4, -1
	v_not_b32_e32 v4, v4
	v_and_b32_e32 v26, v18, v4
	v_add_u32_e32 v4, 19, v3
	v_lshrrev_b64 v[18:19], v3, v[18:19]
	v_not_b32_e32 v5, v5
	v_lshlrev_b64 v[48:49], v4, 1
	v_lshrrev_b32_e32 v4, 23, v18
	v_and_b32_e32 v27, 0, v5
	v_add3_u32 v4, v3, v1, v4
	v_bfe_u32 v1, v18, 20, 1
	v_add_u32_e32 v1, -1, v1
	v_cmp_eq_u64_e32 vcc, v[26:27], v[48:49]
	v_cndmask_b32_e32 v1, 0, v1, vcc
	v_add_u32_e32 v1, v1, v18
	v_and_b32_e32 v1, 0xfffff, v1
	v_add_co_u32_e32 v18, vcc, v1, v18
	v_add_u32_e32 v3, 6, v4
	v_addc_co_u32_e32 v19, vcc, 0, v19, vcc
	v_cmp_ne_u32_e32 vcc, 0, v3
                                        ; implicit-def: $vgpr1
	s_and_saveexec_b64 s[18:19], vcc
	s_xor_b64 s[18:19], exec, s[18:19]
; %bb.2951:                             ;   in Loop: Header=BB2_2439 Depth=2
	v_add_u32_e32 v1, 7, v4
	v_cmp_lt_u64_e32 vcc, s[46:47], v[18:19]
	v_cndmask_b32_e32 v1, v3, v1, vcc
	v_cndmask_b32_e64 v3, 0, 1, vcc
	v_lshrrev_b64 v[18:19], v3, v[18:19]
; %bb.2952:                             ;   in Loop: Header=BB2_2439 Depth=2
	s_andn2_saveexec_b64 s[18:19], s[18:19]
; %bb.2953:                             ;   in Loop: Header=BB2_2439 Depth=2
	v_bfe_u32 v1, v18, 23, 1
; %bb.2954:                             ;   in Loop: Header=BB2_2439 Depth=2
	s_or_b64 exec, exec, s[18:19]
	v_lshrrev_b64 v[4:5], 20, v[18:19]
	v_cmp_gt_i32_e32 vcc, 16, v1
	v_cndmask_b32_e32 v5, 0, v5, vcc
	v_cndmask_b32_e32 v4, 7, v4, vcc
	v_cmp_eq_u32_e32 vcc, 0, v1
	v_min_i32_e32 v1, 15, v1
	v_cmp_eq_u64_e64 s[18:19], 0, v[4:5]
	v_lshlrev_b32_e32 v1, 3, v1
	v_and_or_b32 v1, v4, 7, v1
	s_and_b64 s[18:19], vcc, s[18:19]
	v_cndmask_b32_e64 v1, v1, 0, s[18:19]
	v_or_b32_e32 v29, v1, v0
	v_bfrev_b32_e32 v49, 60
.LBB2_2955:                             ;   in Loop: Header=BB2_2439 Depth=2
	s_or_b64 exec, exec, s[58:59]
.LBB2_2956:                             ;   in Loop: Header=BB2_2439 Depth=2
	s_or_b64 exec, exec, s[56:57]
                                        ; implicit-def: $vgpr1
                                        ; implicit-def: $vgpr18_vgpr19
.LBB2_2957:                             ;   in Loop: Header=BB2_2439 Depth=2
	s_andn2_saveexec_b64 s[18:19], s[20:21]
; %bb.2958:                             ;   in Loop: Header=BB2_2439 Depth=2
	v_or_b32_sdwa v0, v1, s69 dst_sel:DWORD dst_unused:UNUSED_PAD src0_sel:BYTE_3 src1_sel:DWORD
	v_cmp_eq_u64_e32 vcc, 0, v[18:19]
	v_cndmask_b32_e32 v29, v0, v29, vcc
; %bb.2959:                             ;   in Loop: Header=BB2_2439 Depth=2
	s_or_b64 exec, exec, s[18:19]
	v_lshrrev_b16_e32 v22, 8, v52
	v_lshrrev_b16_e32 v18, 8, v2
	v_cmp_ne_u16_e64 s[18:19], 0, v22
	s_and_b64 vcc, exec, s[54:55]
	s_cbranch_vccz .LBB2_2973
; %bb.2960:                             ;   in Loop: Header=BB2_2439 Depth=2
	v_mov_b32_e32 v1, 0
	v_mov_b32_e32 v0, 0
	s_and_saveexec_b64 s[20:21], s[18:19]
	s_cbranch_execz .LBB2_2966
; %bb.2961:                             ;   in Loop: Header=BB2_2439 Depth=2
	v_cmp_ne_u16_e32 vcc, s68, v22
	v_bfrev_b32_e32 v0, 1
	s_and_saveexec_b64 s[56:57], vcc
	s_cbranch_execz .LBB2_2965
; %bb.2962:                             ;   in Loop: Header=BB2_2439 Depth=2
	v_and_b32_e32 v3, 0x7f, v22
	v_cmp_ne_u32_e32 vcc, s69, v3
	v_mov_b32_e32 v0, 0x7f800001
	s_and_saveexec_b64 s[58:59], vcc
	s_cbranch_execz .LBB2_2964
; %bb.2963:                             ;   in Loop: Header=BB2_2439 Depth=2
	v_and_b32_e32 v0, 7, v22
	v_ffbh_u32_e32 v4, v0
	v_min_u32_e32 v26, 32, v4
	v_subrev_u32_e32 v4, 28, v26
	v_lshlrev_b64 v[4:5], v4, v[22:23]
	v_lshrrev_b32_e32 v19, 3, v3
	v_sub_u32_e32 v5, 29, v26
	v_and_b32_e32 v4, 7, v4
	v_cmp_gt_u32_e32 vcc, 8, v3
	v_cndmask_b32_e32 v3, v19, v5, vcc
	v_cndmask_b32_e32 v0, v0, v4, vcc
	v_lshlrev_b32_e32 v4, 16, v52
	v_lshlrev_b32_e32 v0, 20, v0
	v_and_b32_e32 v4, 0x80000000, v4
	v_lshl_add_u32 v3, v3, 23, v49
	v_or3_b32 v0, v4, v3, v0
.LBB2_2964:                             ;   in Loop: Header=BB2_2439 Depth=2
	s_or_b64 exec, exec, s[58:59]
.LBB2_2965:                             ;   in Loop: Header=BB2_2439 Depth=2
	s_or_b64 exec, exec, s[56:57]
.LBB2_2966:                             ;   in Loop: Header=BB2_2439 Depth=2
	s_or_b64 exec, exec, s[20:21]
	v_cmp_ne_u16_e32 vcc, 0, v18
	s_and_saveexec_b64 s[20:21], vcc
	s_cbranch_execz .LBB2_2972
; %bb.2967:                             ;   in Loop: Header=BB2_2439 Depth=2
	v_cmp_ne_u16_e32 vcc, s68, v18
	v_bfrev_b32_e32 v1, 1
	s_and_saveexec_b64 s[56:57], vcc
	s_cbranch_execz .LBB2_2971
; %bb.2968:                             ;   in Loop: Header=BB2_2439 Depth=2
	v_and_b32_e32 v3, 0x7f, v18
	v_cmp_ne_u32_e32 vcc, s69, v3
	v_mov_b32_e32 v1, 0x7f800001
	s_and_saveexec_b64 s[58:59], vcc
	s_cbranch_execz .LBB2_2970
; %bb.2969:                             ;   in Loop: Header=BB2_2439 Depth=2
	v_and_b32_e32 v1, 7, v18
	v_ffbh_u32_e32 v4, v1
	v_min_u32_e32 v26, 32, v4
	v_lshrrev_b32_e32 v19, 3, v3
	v_subrev_u32_e32 v4, 28, v26
	v_lshlrev_b64 v[4:5], v4, v[18:19]
	v_sub_u32_e32 v5, 29, v26
	v_and_b32_e32 v4, 7, v4
	v_cmp_gt_u32_e32 vcc, 8, v3
	v_cndmask_b32_e32 v3, v19, v5, vcc
	v_cndmask_b32_e32 v1, v1, v4, vcc
	v_lshlrev_b32_e32 v4, 16, v2
	v_lshlrev_b32_e32 v1, 20, v1
	v_and_b32_e32 v4, 0x80000000, v4
	v_lshl_add_u32 v3, v3, 23, v49
	v_or3_b32 v1, v4, v3, v1
.LBB2_2970:                             ;   in Loop: Header=BB2_2439 Depth=2
	s_or_b64 exec, exec, s[58:59]
.LBB2_2971:                             ;   in Loop: Header=BB2_2439 Depth=2
	s_or_b64 exec, exec, s[56:57]
.LBB2_2972:                             ;   in Loop: Header=BB2_2439 Depth=2
	s_or_b64 exec, exec, s[20:21]
	v_max_f32_e32 v1, v1, v1
	v_max_f32_e32 v0, v0, v0
	;; [unrolled: 1-line block ×3, first 2 shown]
	s_branch .LBB2_2987
.LBB2_2973:                             ;   in Loop: Header=BB2_2439 Depth=2
                                        ; implicit-def: $vgpr1
	s_cbranch_execz .LBB2_2987
; %bb.2974:                             ;   in Loop: Header=BB2_2439 Depth=2
	v_mov_b32_e32 v1, 0
	v_mov_b32_e32 v0, 0
	s_and_saveexec_b64 s[20:21], s[18:19]
	s_cbranch_execz .LBB2_2980
; %bb.2975:                             ;   in Loop: Header=BB2_2439 Depth=2
	v_cmp_ne_u16_e32 vcc, s68, v22
	v_bfrev_b32_e32 v0, 1
	s_and_saveexec_b64 s[18:19], vcc
	s_cbranch_execz .LBB2_2979
; %bb.2976:                             ;   in Loop: Header=BB2_2439 Depth=2
	v_and_b32_e32 v3, 0x7f, v22
	v_cmp_ne_u32_e32 vcc, s69, v3
	v_mov_b32_e32 v0, 0x7f800001
	s_and_saveexec_b64 s[56:57], vcc
	s_cbranch_execz .LBB2_2978
; %bb.2977:                             ;   in Loop: Header=BB2_2439 Depth=2
	v_and_b32_e32 v0, 7, v22
	v_ffbh_u32_e32 v4, v0
	v_min_u32_e32 v26, 32, v4
	v_subrev_u32_e32 v4, 28, v26
	v_lshlrev_b64 v[4:5], v4, v[22:23]
	v_lshrrev_b32_e32 v19, 3, v3
	v_sub_u32_e32 v5, 29, v26
	v_and_b32_e32 v4, 7, v4
	v_cmp_gt_u32_e32 vcc, 8, v3
	v_cndmask_b32_e32 v3, v19, v5, vcc
	v_cndmask_b32_e32 v0, v0, v4, vcc
	v_lshlrev_b32_e32 v4, 16, v52
	v_lshlrev_b32_e32 v0, 20, v0
	v_and_b32_e32 v4, 0x80000000, v4
	v_lshl_add_u32 v3, v3, 23, v49
	v_or3_b32 v0, v4, v3, v0
.LBB2_2978:                             ;   in Loop: Header=BB2_2439 Depth=2
	s_or_b64 exec, exec, s[56:57]
.LBB2_2979:                             ;   in Loop: Header=BB2_2439 Depth=2
	s_or_b64 exec, exec, s[18:19]
.LBB2_2980:                             ;   in Loop: Header=BB2_2439 Depth=2
	s_or_b64 exec, exec, s[20:21]
	v_cmp_ne_u16_e32 vcc, 0, v18
	s_and_saveexec_b64 s[18:19], vcc
	s_cbranch_execz .LBB2_2986
; %bb.2981:                             ;   in Loop: Header=BB2_2439 Depth=2
	v_cmp_ne_u16_e32 vcc, s68, v18
	v_bfrev_b32_e32 v1, 1
	s_and_saveexec_b64 s[20:21], vcc
	s_cbranch_execz .LBB2_2985
; %bb.2982:                             ;   in Loop: Header=BB2_2439 Depth=2
	v_and_b32_e32 v3, 0x7f, v18
	v_cmp_ne_u32_e32 vcc, s69, v3
	v_mov_b32_e32 v1, 0x7f800001
	s_and_saveexec_b64 s[56:57], vcc
	s_cbranch_execz .LBB2_2984
; %bb.2983:                             ;   in Loop: Header=BB2_2439 Depth=2
	v_and_b32_e32 v1, 7, v18
	v_ffbh_u32_e32 v4, v1
	v_min_u32_e32 v22, 32, v4
	v_lshrrev_b32_e32 v19, 3, v3
	v_subrev_u32_e32 v4, 28, v22
	v_lshlrev_b64 v[4:5], v4, v[18:19]
	v_sub_u32_e32 v5, 29, v22
	v_and_b32_e32 v4, 7, v4
	v_cmp_gt_u32_e32 vcc, 8, v3
	v_cndmask_b32_e32 v3, v19, v5, vcc
	v_cndmask_b32_e32 v1, v1, v4, vcc
	v_lshlrev_b32_e32 v2, 16, v2
	v_lshlrev_b32_e32 v1, 20, v1
	v_and_b32_e32 v2, 0x80000000, v2
	v_lshl_add_u32 v3, v3, 23, v49
	v_or3_b32 v1, v2, v3, v1
.LBB2_2984:                             ;   in Loop: Header=BB2_2439 Depth=2
	s_or_b64 exec, exec, s[56:57]
.LBB2_2985:                             ;   in Loop: Header=BB2_2439 Depth=2
	s_or_b64 exec, exec, s[20:21]
.LBB2_2986:                             ;   in Loop: Header=BB2_2439 Depth=2
	s_or_b64 exec, exec, s[18:19]
	v_max_f32_e32 v1, v1, v1
	v_max_f32_e32 v0, v0, v0
	v_min_f32_e32 v1, v0, v1
.LBB2_2987:                             ;   in Loop: Header=BB2_2439 Depth=2
	v_and_b32_sdwa v0, v1, s68 dst_sel:DWORD dst_unused:UNUSED_PAD src0_sel:BYTE_3 src1_sel:DWORD
	v_and_b32_e32 v2, 0x7f800000, v1
	v_mov_b32_e32 v3, v53
	v_and_b32_e32 v52, 0x7fffff, v1
	v_or_b32_e32 v22, 0x7e, v0
	v_cmp_ne_u64_e32 vcc, s[40:41], v[2:3]
	s_and_saveexec_b64 s[18:19], vcc
	s_xor_b64 s[20:21], exec, s[18:19]
	s_cbranch_execz .LBB2_2997
; %bb.2988:                             ;   in Loop: Header=BB2_2439 Depth=2
	v_and_b32_e32 v2, 0x7fffffff, v1
	v_mov_b32_e32 v3, v53
	v_cmp_gt_u64_e32 vcc, s[42:43], v[2:3]
	s_and_saveexec_b64 s[56:57], vcc
	s_cbranch_execz .LBB2_2996
; %bb.2989:                             ;   in Loop: Header=BB2_2439 Depth=2
	v_cmp_ne_u32_e32 vcc, 0, v1
	v_mov_b32_e32 v22, 0
	s_and_saveexec_b64 s[58:59], vcc
	s_cbranch_execz .LBB2_2995
; %bb.2990:                             ;   in Loop: Header=BB2_2439 Depth=2
	v_bfe_u32 v1, v1, 23, 8
	v_sub_u32_e32 v3, 0x79, v1
	v_cmp_gt_u32_e32 vcc, s72, v1
	v_add_u32_e32 v2, 0xffffff81, v1
	v_cndmask_b32_e32 v3, 0, v3, vcc
	v_cmp_eq_u32_e32 vcc, 0, v1
	v_mov_b32_e32 v1, 0xffffff82
	v_cndmask_b32_e32 v1, v2, v1, vcc
	v_mov_b32_e32 v2, 0x78
	v_or_b32_e32 v4, 0x800000, v52
	v_cndmask_b32_e32 v5, v3, v2, vcc
	v_cndmask_b32_e32 v52, v4, v52, vcc
	v_add_u32_e32 v2, 20, v5
	v_lshlrev_b64 v[2:3], v2, -1
	v_add_u32_e32 v4, 19, v5
	v_lshrrev_b64 v[26:27], v5, v[52:53]
	v_not_b32_e32 v3, v3
	v_not_b32_e32 v2, v2
	v_lshlrev_b64 v[18:19], v4, 1
	v_lshrrev_b32_e32 v4, 23, v26
	v_and_b32_e32 v3, 0, v3
	v_and_b32_e32 v2, v52, v2
	v_add3_u32 v5, v5, v1, v4
	v_bfe_u32 v1, v26, 20, 1
	v_add_u32_e32 v1, -1, v1
	v_cmp_eq_u64_e32 vcc, v[2:3], v[18:19]
	v_cndmask_b32_e32 v1, 0, v1, vcc
	v_add_u32_e32 v1, v1, v26
	v_and_b32_e32 v1, 0xfffff, v1
	v_add_co_u32_e32 v2, vcc, v1, v26
	v_add_u32_e32 v4, 6, v5
	v_addc_co_u32_e32 v3, vcc, 0, v27, vcc
	v_cmp_ne_u32_e32 vcc, 0, v4
                                        ; implicit-def: $vgpr1
	s_and_saveexec_b64 s[18:19], vcc
	s_xor_b64 s[18:19], exec, s[18:19]
; %bb.2991:                             ;   in Loop: Header=BB2_2439 Depth=2
	v_add_u32_e32 v1, 7, v5
	v_cmp_lt_u64_e32 vcc, s[46:47], v[2:3]
	v_cndmask_b32_e32 v1, v4, v1, vcc
	v_cndmask_b32_e64 v4, 0, 1, vcc
	v_lshrrev_b64 v[2:3], v4, v[2:3]
; %bb.2992:                             ;   in Loop: Header=BB2_2439 Depth=2
	s_andn2_saveexec_b64 s[18:19], s[18:19]
; %bb.2993:                             ;   in Loop: Header=BB2_2439 Depth=2
	v_bfe_u32 v1, v2, 23, 1
; %bb.2994:                             ;   in Loop: Header=BB2_2439 Depth=2
	s_or_b64 exec, exec, s[18:19]
	v_lshrrev_b64 v[2:3], 20, v[2:3]
	v_cmp_gt_i32_e32 vcc, 16, v1
	v_cndmask_b32_e32 v3, 0, v3, vcc
	v_cndmask_b32_e32 v2, 7, v2, vcc
	v_cmp_eq_u32_e32 vcc, 0, v1
	v_min_i32_e32 v1, 15, v1
	v_cmp_eq_u64_e64 s[18:19], 0, v[2:3]
	v_lshlrev_b32_e32 v1, 3, v1
	v_and_or_b32 v1, v2, 7, v1
	s_and_b64 s[18:19], vcc, s[18:19]
	v_cndmask_b32_e64 v1, v1, 0, s[18:19]
	v_or_b32_e32 v22, v1, v0
.LBB2_2995:                             ;   in Loop: Header=BB2_2439 Depth=2
	s_or_b64 exec, exec, s[58:59]
.LBB2_2996:                             ;   in Loop: Header=BB2_2439 Depth=2
	s_or_b64 exec, exec, s[56:57]
                                        ; implicit-def: $vgpr1
.LBB2_2997:                             ;   in Loop: Header=BB2_2439 Depth=2
	s_andn2_saveexec_b64 s[18:19], s[20:21]
; %bb.2998:                             ;   in Loop: Header=BB2_2439 Depth=2
	v_or_b32_sdwa v0, v1, s69 dst_sel:DWORD dst_unused:UNUSED_PAD src0_sel:BYTE_3 src1_sel:DWORD
	v_cmp_eq_u64_e32 vcc, 0, v[52:53]
	v_cndmask_b32_e32 v22, v0, v22, vcc
; %bb.2999:                             ;   in Loop: Header=BB2_2439 Depth=2
	s_or_b64 exec, exec, s[18:19]
	v_lshrrev_b32_e32 v18, 16, v25
	v_lshrrev_b32_e32 v2, 16, v21
	v_cmp_ne_u16_sdwa s[18:19], v18, v53 src0_sel:BYTE_0 src1_sel:DWORD
	s_and_b64 vcc, exec, s[54:55]
	s_cbranch_vccz .LBB2_3013
; %bb.3000:                             ;   in Loop: Header=BB2_2439 Depth=2
	v_mov_b32_e32 v1, 0
	v_mov_b32_e32 v0, 0
	s_and_saveexec_b64 s[20:21], s[18:19]
	s_cbranch_execz .LBB2_3006
; %bb.3001:                             ;   in Loop: Header=BB2_2439 Depth=2
	v_cmp_ne_u16_sdwa vcc, v18, s68 src0_sel:BYTE_0 src1_sel:DWORD
	v_bfrev_b32_e32 v0, 1
	s_and_saveexec_b64 s[56:57], vcc
	s_cbranch_execz .LBB2_3005
; %bb.3002:                             ;   in Loop: Header=BB2_2439 Depth=2
	v_bfe_u32 v3, v25, 16, 7
	v_cmp_ne_u32_e32 vcc, s69, v3
	v_mov_b32_e32 v0, 0x7f800001
	s_and_saveexec_b64 s[58:59], vcc
	s_cbranch_execz .LBB2_3004
; %bb.3003:                             ;   in Loop: Header=BB2_2439 Depth=2
	v_and_b32_e32 v0, 7, v18
	v_ffbh_u32_e32 v4, v0
	v_min_u32_e32 v26, 32, v4
	v_lshrrev_b32_e32 v19, 3, v3
	v_subrev_u32_e32 v4, 28, v26
	v_lshlrev_b64 v[4:5], v4, v[18:19]
	v_sub_u32_e32 v5, 29, v26
	v_and_b32_e32 v4, 7, v4
	v_cmp_gt_u32_e32 vcc, 8, v3
	v_cndmask_b32_e32 v3, v19, v5, vcc
	v_cndmask_b32_e32 v0, v0, v4, vcc
	v_lshlrev_b32_e32 v4, 24, v18
	v_lshlrev_b32_e32 v0, 20, v0
	v_and_b32_e32 v4, 0x80000000, v4
	v_lshl_add_u32 v3, v3, 23, v49
	v_or3_b32 v0, v4, v3, v0
.LBB2_3004:                             ;   in Loop: Header=BB2_2439 Depth=2
	s_or_b64 exec, exec, s[58:59]
.LBB2_3005:                             ;   in Loop: Header=BB2_2439 Depth=2
	s_or_b64 exec, exec, s[56:57]
.LBB2_3006:                             ;   in Loop: Header=BB2_2439 Depth=2
	s_or_b64 exec, exec, s[20:21]
	v_cmp_ne_u16_sdwa vcc, v2, v53 src0_sel:BYTE_0 src1_sel:DWORD
	s_and_saveexec_b64 s[20:21], vcc
	s_cbranch_execz .LBB2_3012
; %bb.3007:                             ;   in Loop: Header=BB2_2439 Depth=2
	v_cmp_ne_u16_sdwa vcc, v2, s68 src0_sel:BYTE_0 src1_sel:DWORD
	v_bfrev_b32_e32 v1, 1
	s_and_saveexec_b64 s[56:57], vcc
	s_cbranch_execz .LBB2_3011
; %bb.3008:                             ;   in Loop: Header=BB2_2439 Depth=2
	v_bfe_u32 v3, v21, 16, 7
	v_cmp_ne_u32_e32 vcc, s69, v3
	v_mov_b32_e32 v1, 0x7f800001
	s_and_saveexec_b64 s[58:59], vcc
	s_cbranch_execz .LBB2_3010
; %bb.3009:                             ;   in Loop: Header=BB2_2439 Depth=2
	v_and_b32_e32 v1, 7, v2
	v_ffbh_u32_e32 v4, v1
	v_min_u32_e32 v26, 32, v4
	v_subrev_u32_e32 v4, 28, v26
	v_lshlrev_b64 v[4:5], v4, v[2:3]
	v_lshrrev_b32_e32 v19, 3, v3
	v_sub_u32_e32 v5, 29, v26
	v_and_b32_e32 v4, 7, v4
	v_cmp_gt_u32_e32 vcc, 8, v3
	v_cndmask_b32_e32 v3, v19, v5, vcc
	v_cndmask_b32_e32 v1, v1, v4, vcc
	v_lshlrev_b32_e32 v4, 24, v2
	v_lshlrev_b32_e32 v1, 20, v1
	v_and_b32_e32 v4, 0x80000000, v4
	v_lshl_add_u32 v3, v3, 23, v49
	v_or3_b32 v1, v4, v3, v1
.LBB2_3010:                             ;   in Loop: Header=BB2_2439 Depth=2
	s_or_b64 exec, exec, s[58:59]
.LBB2_3011:                             ;   in Loop: Header=BB2_2439 Depth=2
	s_or_b64 exec, exec, s[56:57]
.LBB2_3012:                             ;   in Loop: Header=BB2_2439 Depth=2
	s_or_b64 exec, exec, s[20:21]
	v_max_f32_e32 v1, v1, v1
	v_max_f32_e32 v0, v0, v0
	v_max_f32_e32 v1, v0, v1
	s_branch .LBB2_3027
.LBB2_3013:                             ;   in Loop: Header=BB2_2439 Depth=2
                                        ; implicit-def: $vgpr1
	s_cbranch_execz .LBB2_3027
; %bb.3014:                             ;   in Loop: Header=BB2_2439 Depth=2
	v_mov_b32_e32 v1, 0
	v_mov_b32_e32 v0, 0
	s_and_saveexec_b64 s[20:21], s[18:19]
	s_cbranch_execz .LBB2_3020
; %bb.3015:                             ;   in Loop: Header=BB2_2439 Depth=2
	v_cmp_ne_u16_sdwa vcc, v18, s68 src0_sel:BYTE_0 src1_sel:DWORD
	v_bfrev_b32_e32 v0, 1
	s_and_saveexec_b64 s[18:19], vcc
	s_cbranch_execz .LBB2_3019
; %bb.3016:                             ;   in Loop: Header=BB2_2439 Depth=2
	v_bfe_u32 v3, v25, 16, 7
	v_cmp_ne_u32_e32 vcc, s69, v3
	v_mov_b32_e32 v0, 0x7f800001
	s_and_saveexec_b64 s[56:57], vcc
	s_cbranch_execz .LBB2_3018
; %bb.3017:                             ;   in Loop: Header=BB2_2439 Depth=2
	v_and_b32_e32 v0, 7, v18
	v_ffbh_u32_e32 v4, v0
	v_min_u32_e32 v26, 32, v4
	v_lshrrev_b32_e32 v19, 3, v3
	v_subrev_u32_e32 v4, 28, v26
	v_lshlrev_b64 v[4:5], v4, v[18:19]
	v_sub_u32_e32 v5, 29, v26
	v_and_b32_e32 v4, 7, v4
	v_cmp_gt_u32_e32 vcc, 8, v3
	v_cndmask_b32_e32 v3, v19, v5, vcc
	v_cndmask_b32_e32 v0, v0, v4, vcc
	v_lshlrev_b32_e32 v4, 24, v18
	v_lshlrev_b32_e32 v0, 20, v0
	v_and_b32_e32 v4, 0x80000000, v4
	v_lshl_add_u32 v3, v3, 23, v49
	v_or3_b32 v0, v4, v3, v0
.LBB2_3018:                             ;   in Loop: Header=BB2_2439 Depth=2
	s_or_b64 exec, exec, s[56:57]
.LBB2_3019:                             ;   in Loop: Header=BB2_2439 Depth=2
	s_or_b64 exec, exec, s[18:19]
.LBB2_3020:                             ;   in Loop: Header=BB2_2439 Depth=2
	s_or_b64 exec, exec, s[20:21]
	v_cmp_ne_u16_sdwa s[20:21], v2, v53 src0_sel:BYTE_0 src1_sel:DWORD
	s_and_saveexec_b64 s[18:19], s[20:21]
	s_cbranch_execz .LBB2_3026
; %bb.3021:                             ;   in Loop: Header=BB2_2439 Depth=2
	v_cmp_ne_u16_sdwa vcc, v2, s68 src0_sel:BYTE_0 src1_sel:DWORD
	v_bfrev_b32_e32 v1, 1
	s_and_saveexec_b64 s[20:21], vcc
	s_cbranch_execz .LBB2_3025
; %bb.3022:                             ;   in Loop: Header=BB2_2439 Depth=2
	v_bfe_u32 v3, v21, 16, 7
	v_cmp_ne_u32_e32 vcc, s69, v3
	v_mov_b32_e32 v1, 0x7f800001
	s_and_saveexec_b64 s[56:57], vcc
	s_cbranch_execz .LBB2_3024
; %bb.3023:                             ;   in Loop: Header=BB2_2439 Depth=2
	v_and_b32_e32 v1, 7, v2
	v_ffbh_u32_e32 v4, v1
	v_min_u32_e32 v19, 32, v4
	v_subrev_u32_e32 v4, 28, v19
	v_lshlrev_b64 v[4:5], v4, v[2:3]
	v_lshrrev_b32_e32 v18, 3, v3
	v_sub_u32_e32 v5, 29, v19
	v_and_b32_e32 v4, 7, v4
	v_cmp_gt_u32_e32 vcc, 8, v3
	v_cndmask_b32_e32 v3, v18, v5, vcc
	v_cndmask_b32_e32 v1, v1, v4, vcc
	v_lshlrev_b32_e32 v2, 24, v2
	v_lshlrev_b32_e32 v1, 20, v1
	v_and_b32_e32 v2, 0x80000000, v2
	v_lshl_add_u32 v3, v3, 23, v49
	v_or3_b32 v1, v2, v3, v1
.LBB2_3024:                             ;   in Loop: Header=BB2_2439 Depth=2
	s_or_b64 exec, exec, s[56:57]
.LBB2_3025:                             ;   in Loop: Header=BB2_2439 Depth=2
	s_or_b64 exec, exec, s[20:21]
.LBB2_3026:                             ;   in Loop: Header=BB2_2439 Depth=2
	s_or_b64 exec, exec, s[18:19]
	v_max_f32_e32 v1, v1, v1
	v_max_f32_e32 v0, v0, v0
	v_min_f32_e32 v1, v0, v1
.LBB2_3027:                             ;   in Loop: Header=BB2_2439 Depth=2
	v_and_b32_sdwa v0, v1, s68 dst_sel:DWORD dst_unused:UNUSED_PAD src0_sel:BYTE_3 src1_sel:DWORD
	v_and_b32_e32 v2, 0x7f800000, v1
	v_mov_b32_e32 v3, v53
	v_and_b32_e32 v52, 0x7fffff, v1
	v_or_b32_e32 v54, 0x7e, v0
	v_cmp_ne_u64_e32 vcc, s[40:41], v[2:3]
	s_and_saveexec_b64 s[18:19], vcc
	s_xor_b64 s[20:21], exec, s[18:19]
	s_cbranch_execz .LBB2_3037
; %bb.3028:                             ;   in Loop: Header=BB2_2439 Depth=2
	v_and_b32_e32 v2, 0x7fffffff, v1
	v_mov_b32_e32 v3, v53
	v_cmp_gt_u64_e32 vcc, s[42:43], v[2:3]
	s_and_saveexec_b64 s[56:57], vcc
	s_cbranch_execz .LBB2_3036
; %bb.3029:                             ;   in Loop: Header=BB2_2439 Depth=2
	v_cmp_ne_u32_e32 vcc, 0, v1
	v_mov_b32_e32 v54, 0
	s_and_saveexec_b64 s[58:59], vcc
	s_cbranch_execz .LBB2_3035
; %bb.3030:                             ;   in Loop: Header=BB2_2439 Depth=2
	v_bfe_u32 v1, v1, 23, 8
	v_sub_u32_e32 v3, 0x79, v1
	v_cmp_gt_u32_e32 vcc, s72, v1
	v_add_u32_e32 v2, 0xffffff81, v1
	v_cndmask_b32_e32 v3, 0, v3, vcc
	v_cmp_eq_u32_e32 vcc, 0, v1
	v_mov_b32_e32 v1, 0xffffff82
	v_cndmask_b32_e32 v1, v2, v1, vcc
	v_mov_b32_e32 v2, 0x78
	v_or_b32_e32 v4, 0x800000, v52
	v_cndmask_b32_e32 v5, v3, v2, vcc
	v_cndmask_b32_e32 v52, v4, v52, vcc
	v_add_u32_e32 v2, 20, v5
	v_lshlrev_b64 v[2:3], v2, -1
	v_add_u32_e32 v4, 19, v5
	v_lshrrev_b64 v[26:27], v5, v[52:53]
	v_not_b32_e32 v3, v3
	v_not_b32_e32 v2, v2
	v_lshlrev_b64 v[18:19], v4, 1
	v_lshrrev_b32_e32 v4, 23, v26
	v_and_b32_e32 v3, 0, v3
	v_and_b32_e32 v2, v52, v2
	v_add3_u32 v5, v5, v1, v4
	v_bfe_u32 v1, v26, 20, 1
	v_add_u32_e32 v1, -1, v1
	v_cmp_eq_u64_e32 vcc, v[2:3], v[18:19]
	v_cndmask_b32_e32 v1, 0, v1, vcc
	v_add_u32_e32 v1, v1, v26
	v_and_b32_e32 v1, 0xfffff, v1
	v_add_co_u32_e32 v2, vcc, v1, v26
	v_add_u32_e32 v4, 6, v5
	v_addc_co_u32_e32 v3, vcc, 0, v27, vcc
	v_cmp_ne_u32_e32 vcc, 0, v4
                                        ; implicit-def: $vgpr1
	s_and_saveexec_b64 s[18:19], vcc
	s_xor_b64 s[18:19], exec, s[18:19]
; %bb.3031:                             ;   in Loop: Header=BB2_2439 Depth=2
	v_add_u32_e32 v1, 7, v5
	v_cmp_lt_u64_e32 vcc, s[46:47], v[2:3]
	v_cndmask_b32_e32 v1, v4, v1, vcc
	v_cndmask_b32_e64 v4, 0, 1, vcc
	v_lshrrev_b64 v[2:3], v4, v[2:3]
; %bb.3032:                             ;   in Loop: Header=BB2_2439 Depth=2
	s_andn2_saveexec_b64 s[18:19], s[18:19]
; %bb.3033:                             ;   in Loop: Header=BB2_2439 Depth=2
	v_bfe_u32 v1, v2, 23, 1
; %bb.3034:                             ;   in Loop: Header=BB2_2439 Depth=2
	s_or_b64 exec, exec, s[18:19]
	v_lshrrev_b64 v[2:3], 20, v[2:3]
	v_cmp_gt_i32_e32 vcc, 16, v1
	v_cndmask_b32_e32 v3, 0, v3, vcc
	v_cndmask_b32_e32 v2, 7, v2, vcc
	v_cmp_eq_u32_e32 vcc, 0, v1
	v_min_i32_e32 v1, 15, v1
	v_lshlrev_b32_e32 v1, 3, v1
	v_cmp_eq_u64_e64 s[18:19], 0, v[2:3]
	v_and_b32_e32 v1, 0xf8, v1
	v_and_or_b32 v1, v2, 7, v1
	s_and_b64 s[18:19], vcc, s[18:19]
	v_cndmask_b32_e64 v1, v1, 0, s[18:19]
	v_or_b32_e32 v54, v1, v0
.LBB2_3035:                             ;   in Loop: Header=BB2_2439 Depth=2
	s_or_b64 exec, exec, s[58:59]
.LBB2_3036:                             ;   in Loop: Header=BB2_2439 Depth=2
	s_or_b64 exec, exec, s[56:57]
                                        ; implicit-def: $vgpr1
.LBB2_3037:                             ;   in Loop: Header=BB2_2439 Depth=2
	s_andn2_saveexec_b64 s[18:19], s[20:21]
; %bb.3038:                             ;   in Loop: Header=BB2_2439 Depth=2
	v_or_b32_sdwa v0, v1, s69 dst_sel:DWORD dst_unused:UNUSED_PAD src0_sel:BYTE_3 src1_sel:DWORD
	v_cmp_eq_u64_e32 vcc, 0, v[52:53]
	v_cndmask_b32_e32 v54, v0, v54, vcc
; %bb.3039:                             ;   in Loop: Header=BB2_2439 Depth=2
	s_or_b64 exec, exec, s[18:19]
	v_lshrrev_b32_e32 v18, 24, v25
	v_lshrrev_b32_e32 v2, 24, v21
	v_cmp_lt_u64_e64 s[18:19], s[44:45], v[24:25]
	s_and_b64 vcc, exec, s[54:55]
	s_cbranch_vccz .LBB2_3053
; %bb.3040:                             ;   in Loop: Header=BB2_2439 Depth=2
	v_mov_b32_e32 v1, 0
	v_mov_b32_e32 v0, 0
	s_and_saveexec_b64 s[20:21], s[18:19]
	s_cbranch_execz .LBB2_3046
; %bb.3041:                             ;   in Loop: Header=BB2_2439 Depth=2
	v_cmp_ne_u32_e32 vcc, s68, v18
	v_bfrev_b32_e32 v0, 1
	s_and_saveexec_b64 s[56:57], vcc
	s_cbranch_execz .LBB2_3045
; %bb.3042:                             ;   in Loop: Header=BB2_2439 Depth=2
	v_bfe_u32 v3, v25, 24, 7
	v_cmp_ne_u32_e32 vcc, s69, v3
	v_mov_b32_e32 v0, 0x7f800001
	s_and_saveexec_b64 s[58:59], vcc
	s_cbranch_execz .LBB2_3044
; %bb.3043:                             ;   in Loop: Header=BB2_2439 Depth=2
	v_and_b32_e32 v0, 7, v18
	v_ffbh_u32_e32 v4, v0
	v_min_u32_e32 v24, 32, v4
	v_lshrrev_b32_e32 v19, 3, v3
	v_subrev_u32_e32 v4, 28, v24
	v_lshlrev_b64 v[4:5], v4, v[18:19]
	v_sub_u32_e32 v5, 29, v24
	v_and_b32_e32 v4, 7, v4
	v_cmp_gt_u32_e32 vcc, 8, v3
	v_cndmask_b32_e32 v3, v19, v5, vcc
	v_cndmask_b32_e32 v0, v0, v4, vcc
	v_lshlrev_b32_e32 v4, 24, v18
	v_lshlrev_b32_e32 v0, 20, v0
	v_and_b32_e32 v4, 0x80000000, v4
	v_lshl_add_u32 v3, v3, 23, v49
	v_or3_b32 v0, v4, v3, v0
.LBB2_3044:                             ;   in Loop: Header=BB2_2439 Depth=2
	s_or_b64 exec, exec, s[58:59]
.LBB2_3045:                             ;   in Loop: Header=BB2_2439 Depth=2
	s_or_b64 exec, exec, s[56:57]
.LBB2_3046:                             ;   in Loop: Header=BB2_2439 Depth=2
	s_or_b64 exec, exec, s[20:21]
	v_cmp_lt_u64_e32 vcc, s[44:45], v[20:21]
	s_and_saveexec_b64 s[20:21], vcc
	s_cbranch_execz .LBB2_3052
; %bb.3047:                             ;   in Loop: Header=BB2_2439 Depth=2
	v_cmp_ne_u32_e32 vcc, s68, v2
	v_bfrev_b32_e32 v1, 1
	s_and_saveexec_b64 s[56:57], vcc
	s_cbranch_execz .LBB2_3051
; %bb.3048:                             ;   in Loop: Header=BB2_2439 Depth=2
	v_bfe_u32 v3, v21, 24, 7
	v_cmp_ne_u32_e32 vcc, s69, v3
	v_mov_b32_e32 v1, 0x7f800001
	s_and_saveexec_b64 s[58:59], vcc
	s_cbranch_execz .LBB2_3050
; %bb.3049:                             ;   in Loop: Header=BB2_2439 Depth=2
	v_and_b32_e32 v1, 7, v2
	v_ffbh_u32_e32 v4, v1
	v_min_u32_e32 v24, 32, v4
	v_subrev_u32_e32 v4, 28, v24
	v_lshlrev_b64 v[4:5], v4, v[2:3]
	v_lshrrev_b32_e32 v19, 3, v3
	v_sub_u32_e32 v5, 29, v24
	v_and_b32_e32 v4, 7, v4
	v_cmp_gt_u32_e32 vcc, 8, v3
	v_cndmask_b32_e32 v3, v19, v5, vcc
	v_cndmask_b32_e32 v1, v1, v4, vcc
	v_lshlrev_b32_e32 v4, 24, v2
	v_lshlrev_b32_e32 v1, 20, v1
	v_and_b32_e32 v4, 0x80000000, v4
	v_lshl_add_u32 v3, v3, 23, v49
	v_or3_b32 v1, v4, v3, v1
.LBB2_3050:                             ;   in Loop: Header=BB2_2439 Depth=2
	s_or_b64 exec, exec, s[58:59]
.LBB2_3051:                             ;   in Loop: Header=BB2_2439 Depth=2
	s_or_b64 exec, exec, s[56:57]
.LBB2_3052:                             ;   in Loop: Header=BB2_2439 Depth=2
	s_or_b64 exec, exec, s[20:21]
	v_max_f32_e32 v1, v1, v1
	v_max_f32_e32 v0, v0, v0
	;; [unrolled: 1-line block ×3, first 2 shown]
	s_branch .LBB2_3067
.LBB2_3053:                             ;   in Loop: Header=BB2_2439 Depth=2
                                        ; implicit-def: $vgpr1
	s_cbranch_execz .LBB2_3067
; %bb.3054:                             ;   in Loop: Header=BB2_2439 Depth=2
	v_mov_b32_e32 v1, 0
	v_mov_b32_e32 v0, 0
	s_and_saveexec_b64 s[20:21], s[18:19]
	s_cbranch_execz .LBB2_3060
; %bb.3055:                             ;   in Loop: Header=BB2_2439 Depth=2
	v_cmp_ne_u32_e32 vcc, s68, v18
	v_bfrev_b32_e32 v0, 1
	s_and_saveexec_b64 s[18:19], vcc
	s_cbranch_execz .LBB2_3059
; %bb.3056:                             ;   in Loop: Header=BB2_2439 Depth=2
	v_bfe_u32 v3, v25, 24, 7
	v_cmp_ne_u32_e32 vcc, s69, v3
	v_mov_b32_e32 v0, 0x7f800001
	s_and_saveexec_b64 s[56:57], vcc
	s_cbranch_execz .LBB2_3058
; %bb.3057:                             ;   in Loop: Header=BB2_2439 Depth=2
	v_and_b32_e32 v0, 7, v18
	v_ffbh_u32_e32 v4, v0
	v_min_u32_e32 v24, 32, v4
	v_lshrrev_b32_e32 v19, 3, v3
	v_subrev_u32_e32 v4, 28, v24
	v_lshlrev_b64 v[4:5], v4, v[18:19]
	v_sub_u32_e32 v5, 29, v24
	v_and_b32_e32 v4, 7, v4
	v_cmp_gt_u32_e32 vcc, 8, v3
	v_cndmask_b32_e32 v3, v19, v5, vcc
	v_cndmask_b32_e32 v0, v0, v4, vcc
	v_lshlrev_b32_e32 v4, 24, v18
	v_lshlrev_b32_e32 v0, 20, v0
	v_and_b32_e32 v4, 0x80000000, v4
	v_lshl_add_u32 v3, v3, 23, v49
	v_or3_b32 v0, v4, v3, v0
.LBB2_3058:                             ;   in Loop: Header=BB2_2439 Depth=2
	s_or_b64 exec, exec, s[56:57]
.LBB2_3059:                             ;   in Loop: Header=BB2_2439 Depth=2
	s_or_b64 exec, exec, s[18:19]
.LBB2_3060:                             ;   in Loop: Header=BB2_2439 Depth=2
	s_or_b64 exec, exec, s[20:21]
	v_cmp_lt_u64_e32 vcc, s[44:45], v[20:21]
	s_and_saveexec_b64 s[18:19], vcc
	s_cbranch_execz .LBB2_3066
; %bb.3061:                             ;   in Loop: Header=BB2_2439 Depth=2
	v_cmp_ne_u32_e32 vcc, s68, v2
	v_bfrev_b32_e32 v1, 1
	s_and_saveexec_b64 s[20:21], vcc
	s_cbranch_execz .LBB2_3065
; %bb.3062:                             ;   in Loop: Header=BB2_2439 Depth=2
	v_bfe_u32 v3, v21, 24, 7
	v_cmp_ne_u32_e32 vcc, s69, v3
	v_mov_b32_e32 v1, 0x7f800001
	s_and_saveexec_b64 s[56:57], vcc
	s_cbranch_execz .LBB2_3064
; %bb.3063:                             ;   in Loop: Header=BB2_2439 Depth=2
	v_and_b32_e32 v1, 7, v2
	v_ffbh_u32_e32 v4, v1
	v_min_u32_e32 v19, 32, v4
	v_subrev_u32_e32 v4, 28, v19
	v_lshlrev_b64 v[4:5], v4, v[2:3]
	v_lshrrev_b32_e32 v18, 3, v3
	v_sub_u32_e32 v5, 29, v19
	v_and_b32_e32 v4, 7, v4
	v_cmp_gt_u32_e32 vcc, 8, v3
	v_cndmask_b32_e32 v3, v18, v5, vcc
	v_cndmask_b32_e32 v1, v1, v4, vcc
	v_lshlrev_b32_e32 v2, 24, v2
	v_lshlrev_b32_e32 v1, 20, v1
	v_and_b32_e32 v2, 0x80000000, v2
	v_lshl_add_u32 v3, v3, 23, v49
	v_or3_b32 v1, v2, v3, v1
.LBB2_3064:                             ;   in Loop: Header=BB2_2439 Depth=2
	s_or_b64 exec, exec, s[56:57]
.LBB2_3065:                             ;   in Loop: Header=BB2_2439 Depth=2
	s_or_b64 exec, exec, s[20:21]
.LBB2_3066:                             ;   in Loop: Header=BB2_2439 Depth=2
	s_or_b64 exec, exec, s[18:19]
	v_max_f32_e32 v1, v1, v1
	v_max_f32_e32 v0, v0, v0
	v_min_f32_e32 v1, v0, v1
.LBB2_3067:                             ;   in Loop: Header=BB2_2439 Depth=2
	v_and_b32_sdwa v0, v1, s68 dst_sel:DWORD dst_unused:UNUSED_PAD src0_sel:BYTE_3 src1_sel:DWORD
	v_and_b32_e32 v2, 0x7f800000, v1
	v_mov_b32_e32 v3, v53
	v_and_b32_e32 v52, 0x7fffff, v1
	v_or_b32_e32 v21, 0x7e, v0
	v_cmp_ne_u64_e32 vcc, s[40:41], v[2:3]
	s_and_saveexec_b64 s[18:19], vcc
	s_xor_b64 s[20:21], exec, s[18:19]
	s_cbranch_execz .LBB2_3077
; %bb.3068:                             ;   in Loop: Header=BB2_2439 Depth=2
	v_and_b32_e32 v2, 0x7fffffff, v1
	v_mov_b32_e32 v3, v53
	v_cmp_gt_u64_e32 vcc, s[42:43], v[2:3]
	s_and_saveexec_b64 s[56:57], vcc
	s_cbranch_execz .LBB2_3076
; %bb.3069:                             ;   in Loop: Header=BB2_2439 Depth=2
	v_cmp_ne_u32_e32 vcc, 0, v1
	v_mov_b32_e32 v21, 0
	s_and_saveexec_b64 s[58:59], vcc
	s_cbranch_execz .LBB2_3075
; %bb.3070:                             ;   in Loop: Header=BB2_2439 Depth=2
	v_bfe_u32 v1, v1, 23, 8
	v_sub_u32_e32 v3, 0x79, v1
	v_cmp_gt_u32_e32 vcc, s72, v1
	v_add_u32_e32 v2, 0xffffff81, v1
	v_cndmask_b32_e32 v3, 0, v3, vcc
	v_cmp_eq_u32_e32 vcc, 0, v1
	v_mov_b32_e32 v1, 0xffffff82
	v_cndmask_b32_e32 v1, v2, v1, vcc
	v_mov_b32_e32 v2, 0x78
	v_or_b32_e32 v4, 0x800000, v52
	v_cndmask_b32_e32 v5, v3, v2, vcc
	v_cndmask_b32_e32 v52, v4, v52, vcc
	v_add_u32_e32 v2, 20, v5
	v_lshlrev_b64 v[2:3], v2, -1
	v_add_u32_e32 v4, 19, v5
	v_lshrrev_b64 v[20:21], v5, v[52:53]
	v_not_b32_e32 v3, v3
	v_not_b32_e32 v2, v2
	v_lshlrev_b64 v[18:19], v4, 1
	v_lshrrev_b32_e32 v4, 23, v20
	v_and_b32_e32 v3, 0, v3
	v_and_b32_e32 v2, v52, v2
	v_add3_u32 v5, v5, v1, v4
	v_bfe_u32 v1, v20, 20, 1
	v_add_u32_e32 v1, -1, v1
	v_cmp_eq_u64_e32 vcc, v[2:3], v[18:19]
	v_cndmask_b32_e32 v1, 0, v1, vcc
	v_add_u32_e32 v1, v1, v20
	v_and_b32_e32 v1, 0xfffff, v1
	v_add_co_u32_e32 v2, vcc, v1, v20
	v_add_u32_e32 v4, 6, v5
	v_addc_co_u32_e32 v3, vcc, 0, v21, vcc
	v_cmp_ne_u32_e32 vcc, 0, v4
                                        ; implicit-def: $vgpr1
	s_and_saveexec_b64 s[18:19], vcc
	s_xor_b64 s[18:19], exec, s[18:19]
; %bb.3071:                             ;   in Loop: Header=BB2_2439 Depth=2
	v_add_u32_e32 v1, 7, v5
	v_cmp_lt_u64_e32 vcc, s[46:47], v[2:3]
	v_cndmask_b32_e32 v1, v4, v1, vcc
	v_cndmask_b32_e64 v4, 0, 1, vcc
	v_lshrrev_b64 v[2:3], v4, v[2:3]
; %bb.3072:                             ;   in Loop: Header=BB2_2439 Depth=2
	s_andn2_saveexec_b64 s[18:19], s[18:19]
; %bb.3073:                             ;   in Loop: Header=BB2_2439 Depth=2
	v_bfe_u32 v1, v2, 23, 1
; %bb.3074:                             ;   in Loop: Header=BB2_2439 Depth=2
	s_or_b64 exec, exec, s[18:19]
	v_lshrrev_b64 v[2:3], 20, v[2:3]
	v_cmp_gt_i32_e32 vcc, 16, v1
	v_cndmask_b32_e32 v3, 0, v3, vcc
	v_cndmask_b32_e32 v2, 7, v2, vcc
	v_cmp_eq_u32_e32 vcc, 0, v1
	v_min_i32_e32 v1, 15, v1
	v_lshlrev_b32_e32 v1, 3, v1
	v_cmp_eq_u64_e64 s[18:19], 0, v[2:3]
	v_and_b32_e32 v1, 0xf8, v1
	v_and_or_b32 v1, v2, 7, v1
	s_and_b64 s[18:19], vcc, s[18:19]
	v_cndmask_b32_e64 v1, v1, 0, s[18:19]
	v_or_b32_e32 v21, v1, v0
.LBB2_3075:                             ;   in Loop: Header=BB2_2439 Depth=2
	s_or_b64 exec, exec, s[58:59]
.LBB2_3076:                             ;   in Loop: Header=BB2_2439 Depth=2
	s_or_b64 exec, exec, s[56:57]
                                        ; implicit-def: $vgpr1
.LBB2_3077:                             ;   in Loop: Header=BB2_2439 Depth=2
	s_andn2_saveexec_b64 s[18:19], s[20:21]
; %bb.3078:                             ;   in Loop: Header=BB2_2439 Depth=2
	v_or_b32_sdwa v0, v1, s69 dst_sel:DWORD dst_unused:UNUSED_PAD src0_sel:BYTE_3 src1_sel:DWORD
	v_cmp_eq_u64_e32 vcc, 0, v[52:53]
	v_cndmask_b32_e32 v21, v0, v21, vcc
; %bb.3079:                             ;   in Loop: Header=BB2_2439 Depth=2
	s_or_b64 exec, exec, s[18:19]
	v_cndmask_b32_e64 v0, 0, 1, s[54:55]
	v_cmp_ne_u32_e64 s[18:19], 1, v0
	s_andn2_b64 vcc, exec, s[54:55]
	v_cmp_ne_u16_sdwa s[20:21], v14, v53 src0_sel:BYTE_0 src1_sel:DWORD
	s_cbranch_vccnz .LBB2_3093
; %bb.3080:                             ;   in Loop: Header=BB2_2439 Depth=2
	v_mov_b32_e32 v1, 0
	v_mov_b32_e32 v0, 0
	s_and_saveexec_b64 s[56:57], s[20:21]
	s_cbranch_execz .LBB2_3086
; %bb.3081:                             ;   in Loop: Header=BB2_2439 Depth=2
	v_cmp_ne_u16_sdwa vcc, v14, s68 src0_sel:BYTE_0 src1_sel:DWORD
	v_bfrev_b32_e32 v0, 1
	s_and_saveexec_b64 s[58:59], vcc
	s_cbranch_execz .LBB2_3085
; %bb.3082:                             ;   in Loop: Header=BB2_2439 Depth=2
	v_and_b32_e32 v2, 0x7f, v14
	v_cmp_ne_u32_e32 vcc, s69, v2
	v_mov_b32_e32 v0, 0x7f800001
	s_and_saveexec_b64 s[60:61], vcc
	s_cbranch_execz .LBB2_3084
; %bb.3083:                             ;   in Loop: Header=BB2_2439 Depth=2
	v_and_b32_e32 v0, 7, v14
	v_ffbh_u32_e32 v0, v0
	v_min_u32_e32 v0, 32, v0
	v_subrev_u32_e32 v4, 28, v0
	v_cmp_gt_u32_e32 vcc, 8, v2
	v_lshrrev_b32_e32 v3, 3, v2
	v_sub_u32_e32 v0, 29, v0
	v_cndmask_b32_e32 v2, 0, v4, vcc
	v_cndmask_b32_e32 v0, v3, v0, vcc
	v_lshlrev_b64 v[2:3], v2, v[14:15]
	v_lshlrev_b32_e32 v2, 20, v2
	v_lshlrev_b32_e32 v3, 24, v14
	v_and_b32_e32 v2, 0x700000, v2
	v_and_b32_e32 v3, 0x80000000, v3
	v_lshl_add_u32 v0, v0, 23, v49
	v_or3_b32 v0, v3, v0, v2
.LBB2_3084:                             ;   in Loop: Header=BB2_2439 Depth=2
	s_or_b64 exec, exec, s[60:61]
.LBB2_3085:                             ;   in Loop: Header=BB2_2439 Depth=2
	s_or_b64 exec, exec, s[58:59]
.LBB2_3086:                             ;   in Loop: Header=BB2_2439 Depth=2
	s_or_b64 exec, exec, s[56:57]
	s_waitcnt vmcnt(0)
	v_cmp_ne_u16_sdwa vcc, v10, v53 src0_sel:BYTE_0 src1_sel:DWORD
	s_and_saveexec_b64 s[56:57], vcc
	s_cbranch_execz .LBB2_3092
; %bb.3087:                             ;   in Loop: Header=BB2_2439 Depth=2
	v_cmp_ne_u16_sdwa vcc, v10, s68 src0_sel:BYTE_0 src1_sel:DWORD
	v_bfrev_b32_e32 v1, 1
	s_and_saveexec_b64 s[58:59], vcc
	s_cbranch_execz .LBB2_3091
; %bb.3088:                             ;   in Loop: Header=BB2_2439 Depth=2
	v_and_b32_e32 v2, 0x7f, v10
	v_cmp_ne_u32_e32 vcc, s69, v2
	v_mov_b32_e32 v1, 0x7f800001
	s_and_saveexec_b64 s[60:61], vcc
	s_cbranch_execz .LBB2_3090
; %bb.3089:                             ;   in Loop: Header=BB2_2439 Depth=2
	v_and_b32_e32 v1, 7, v10
	v_ffbh_u32_e32 v1, v1
	v_min_u32_e32 v1, 32, v1
	v_subrev_u32_e32 v4, 28, v1
	v_cmp_gt_u32_e32 vcc, 8, v2
	v_lshrrev_b32_e32 v3, 3, v2
	v_sub_u32_e32 v1, 29, v1
	v_cndmask_b32_e32 v2, 0, v4, vcc
	v_cndmask_b32_e32 v1, v3, v1, vcc
	v_lshlrev_b64 v[2:3], v2, v[10:11]
	v_lshlrev_b32_e32 v2, 20, v2
	v_lshlrev_b32_e32 v3, 24, v10
	v_and_b32_e32 v2, 0x700000, v2
	v_and_b32_e32 v3, 0x80000000, v3
	v_lshl_add_u32 v1, v1, 23, v49
	v_or3_b32 v1, v3, v1, v2
.LBB2_3090:                             ;   in Loop: Header=BB2_2439 Depth=2
	s_or_b64 exec, exec, s[60:61]
.LBB2_3091:                             ;   in Loop: Header=BB2_2439 Depth=2
	s_or_b64 exec, exec, s[58:59]
.LBB2_3092:                             ;   in Loop: Header=BB2_2439 Depth=2
	s_or_b64 exec, exec, s[56:57]
	v_max_f32_e32 v1, v1, v1
	v_max_f32_e32 v0, v0, v0
	;; [unrolled: 1-line block ×3, first 2 shown]
	s_branch .LBB2_3107
.LBB2_3093:                             ;   in Loop: Header=BB2_2439 Depth=2
                                        ; implicit-def: $vgpr1
	s_cbranch_execz .LBB2_3107
; %bb.3094:                             ;   in Loop: Header=BB2_2439 Depth=2
	v_mov_b32_e32 v1, 0
	v_mov_b32_e32 v0, 0
	s_and_saveexec_b64 s[56:57], s[20:21]
	s_cbranch_execz .LBB2_3100
; %bb.3095:                             ;   in Loop: Header=BB2_2439 Depth=2
	v_cmp_ne_u16_sdwa vcc, v14, s68 src0_sel:BYTE_0 src1_sel:DWORD
	v_bfrev_b32_e32 v0, 1
	s_and_saveexec_b64 s[20:21], vcc
	s_cbranch_execz .LBB2_3099
; %bb.3096:                             ;   in Loop: Header=BB2_2439 Depth=2
	v_and_b32_e32 v2, 0x7f, v14
	v_cmp_ne_u32_e32 vcc, s69, v2
	v_mov_b32_e32 v0, 0x7f800001
	s_and_saveexec_b64 s[58:59], vcc
	s_cbranch_execz .LBB2_3098
; %bb.3097:                             ;   in Loop: Header=BB2_2439 Depth=2
	v_and_b32_e32 v0, 7, v14
	v_ffbh_u32_e32 v0, v0
	v_min_u32_e32 v0, 32, v0
	v_subrev_u32_e32 v4, 28, v0
	v_cmp_gt_u32_e32 vcc, 8, v2
	v_lshrrev_b32_e32 v3, 3, v2
	v_sub_u32_e32 v0, 29, v0
	v_cndmask_b32_e32 v2, 0, v4, vcc
	v_cndmask_b32_e32 v0, v3, v0, vcc
	v_lshlrev_b64 v[2:3], v2, v[14:15]
	v_lshlrev_b32_e32 v2, 20, v2
	v_lshlrev_b32_e32 v3, 24, v14
	v_and_b32_e32 v2, 0x700000, v2
	v_and_b32_e32 v3, 0x80000000, v3
	v_lshl_add_u32 v0, v0, 23, v49
	v_or3_b32 v0, v3, v0, v2
.LBB2_3098:                             ;   in Loop: Header=BB2_2439 Depth=2
	s_or_b64 exec, exec, s[58:59]
.LBB2_3099:                             ;   in Loop: Header=BB2_2439 Depth=2
	s_or_b64 exec, exec, s[20:21]
.LBB2_3100:                             ;   in Loop: Header=BB2_2439 Depth=2
	s_or_b64 exec, exec, s[56:57]
	s_waitcnt vmcnt(0)
	v_cmp_ne_u16_sdwa vcc, v10, v53 src0_sel:BYTE_0 src1_sel:DWORD
	s_and_saveexec_b64 s[20:21], vcc
	s_cbranch_execz .LBB2_3106
; %bb.3101:                             ;   in Loop: Header=BB2_2439 Depth=2
	v_cmp_ne_u16_sdwa vcc, v10, s68 src0_sel:BYTE_0 src1_sel:DWORD
	v_bfrev_b32_e32 v1, 1
	s_and_saveexec_b64 s[56:57], vcc
	s_cbranch_execz .LBB2_3105
; %bb.3102:                             ;   in Loop: Header=BB2_2439 Depth=2
	v_and_b32_e32 v2, 0x7f, v10
	v_cmp_ne_u32_e32 vcc, s69, v2
	v_mov_b32_e32 v1, 0x7f800001
	s_and_saveexec_b64 s[58:59], vcc
	s_cbranch_execz .LBB2_3104
; %bb.3103:                             ;   in Loop: Header=BB2_2439 Depth=2
	v_and_b32_e32 v1, 7, v10
	v_ffbh_u32_e32 v1, v1
	v_min_u32_e32 v1, 32, v1
	v_subrev_u32_e32 v4, 28, v1
	v_cmp_gt_u32_e32 vcc, 8, v2
	v_lshrrev_b32_e32 v3, 3, v2
	v_sub_u32_e32 v1, 29, v1
	v_cndmask_b32_e32 v2, 0, v4, vcc
	v_cndmask_b32_e32 v1, v3, v1, vcc
	v_lshlrev_b64 v[2:3], v2, v[10:11]
	v_lshlrev_b32_e32 v2, 20, v2
	v_lshlrev_b32_e32 v3, 24, v10
	v_and_b32_e32 v2, 0x700000, v2
	v_and_b32_e32 v3, 0x80000000, v3
	v_lshl_add_u32 v1, v1, 23, v49
	v_or3_b32 v1, v3, v1, v2
.LBB2_3104:                             ;   in Loop: Header=BB2_2439 Depth=2
	s_or_b64 exec, exec, s[58:59]
.LBB2_3105:                             ;   in Loop: Header=BB2_2439 Depth=2
	s_or_b64 exec, exec, s[56:57]
.LBB2_3106:                             ;   in Loop: Header=BB2_2439 Depth=2
	s_or_b64 exec, exec, s[20:21]
	v_max_f32_e32 v1, v1, v1
	v_max_f32_e32 v0, v0, v0
	v_min_f32_e32 v1, v0, v1
.LBB2_3107:                             ;   in Loop: Header=BB2_2439 Depth=2
	v_and_b32_sdwa v0, v1, s68 dst_sel:DWORD dst_unused:UNUSED_PAD src0_sel:BYTE_3 src1_sel:DWORD
	v_and_b32_e32 v2, 0x7f800000, v1
	v_mov_b32_e32 v3, v53
	v_and_b32_e32 v52, 0x7fffff, v1
	v_or_b32_e32 v24, 0x7e, v0
	v_cmp_ne_u64_e32 vcc, s[40:41], v[2:3]
	s_and_saveexec_b64 s[20:21], vcc
	s_xor_b64 s[56:57], exec, s[20:21]
	s_cbranch_execz .LBB2_3117
; %bb.3108:                             ;   in Loop: Header=BB2_2439 Depth=2
	v_and_b32_e32 v2, 0x7fffffff, v1
	v_mov_b32_e32 v3, v53
	v_cmp_gt_u64_e32 vcc, s[42:43], v[2:3]
	s_and_saveexec_b64 s[58:59], vcc
	s_cbranch_execz .LBB2_3116
; %bb.3109:                             ;   in Loop: Header=BB2_2439 Depth=2
	v_cmp_ne_u32_e32 vcc, 0, v1
	v_mov_b32_e32 v24, 0
	s_and_saveexec_b64 s[60:61], vcc
	s_cbranch_execz .LBB2_3115
; %bb.3110:                             ;   in Loop: Header=BB2_2439 Depth=2
	v_bfe_u32 v1, v1, 23, 8
	v_sub_u32_e32 v3, 0x79, v1
	v_cmp_gt_u32_e32 vcc, s72, v1
	v_add_u32_e32 v2, 0xffffff81, v1
	v_cndmask_b32_e32 v3, 0, v3, vcc
	v_cmp_eq_u32_e32 vcc, 0, v1
	v_mov_b32_e32 v1, 0xffffff82
	v_cndmask_b32_e32 v1, v2, v1, vcc
	v_mov_b32_e32 v2, 0x78
	v_or_b32_e32 v4, 0x800000, v52
	v_cndmask_b32_e32 v5, v3, v2, vcc
	v_cndmask_b32_e32 v52, v4, v52, vcc
	v_add_u32_e32 v2, 20, v5
	v_lshlrev_b64 v[2:3], v2, -1
	v_add_u32_e32 v4, 19, v5
	v_lshrrev_b64 v[24:25], v5, v[52:53]
	v_not_b32_e32 v3, v3
	v_not_b32_e32 v2, v2
	v_lshlrev_b64 v[18:19], v4, 1
	v_lshrrev_b32_e32 v4, 23, v24
	v_and_b32_e32 v3, 0, v3
	v_and_b32_e32 v2, v52, v2
	v_add3_u32 v5, v5, v1, v4
	v_bfe_u32 v1, v24, 20, 1
	v_add_u32_e32 v1, -1, v1
	v_cmp_eq_u64_e32 vcc, v[2:3], v[18:19]
	v_cndmask_b32_e32 v1, 0, v1, vcc
	v_add_u32_e32 v1, v1, v24
	v_and_b32_e32 v1, 0xfffff, v1
	v_add_co_u32_e32 v2, vcc, v1, v24
	v_add_u32_e32 v4, 6, v5
	v_addc_co_u32_e32 v3, vcc, 0, v25, vcc
	v_cmp_ne_u32_e32 vcc, 0, v4
                                        ; implicit-def: $vgpr1
	s_and_saveexec_b64 s[20:21], vcc
	s_xor_b64 s[20:21], exec, s[20:21]
; %bb.3111:                             ;   in Loop: Header=BB2_2439 Depth=2
	v_add_u32_e32 v1, 7, v5
	v_cmp_lt_u64_e32 vcc, s[46:47], v[2:3]
	v_cndmask_b32_e32 v1, v4, v1, vcc
	v_cndmask_b32_e64 v4, 0, 1, vcc
	v_lshrrev_b64 v[2:3], v4, v[2:3]
; %bb.3112:                             ;   in Loop: Header=BB2_2439 Depth=2
	s_andn2_saveexec_b64 s[20:21], s[20:21]
; %bb.3113:                             ;   in Loop: Header=BB2_2439 Depth=2
	v_bfe_u32 v1, v2, 23, 1
; %bb.3114:                             ;   in Loop: Header=BB2_2439 Depth=2
	s_or_b64 exec, exec, s[20:21]
	v_lshrrev_b64 v[2:3], 20, v[2:3]
	v_cmp_gt_i32_e32 vcc, 16, v1
	v_cndmask_b32_e32 v3, 0, v3, vcc
	v_cndmask_b32_e32 v2, 7, v2, vcc
	v_cmp_eq_u32_e32 vcc, 0, v1
	v_min_i32_e32 v1, 15, v1
	v_cmp_eq_u64_e64 s[20:21], 0, v[2:3]
	v_lshlrev_b32_e32 v1, 3, v1
	v_and_or_b32 v1, v2, 7, v1
	s_and_b64 s[20:21], vcc, s[20:21]
	v_cndmask_b32_e64 v1, v1, 0, s[20:21]
	v_or_b32_e32 v24, v1, v0
.LBB2_3115:                             ;   in Loop: Header=BB2_2439 Depth=2
	s_or_b64 exec, exec, s[60:61]
.LBB2_3116:                             ;   in Loop: Header=BB2_2439 Depth=2
	s_or_b64 exec, exec, s[58:59]
                                        ; implicit-def: $vgpr1
.LBB2_3117:                             ;   in Loop: Header=BB2_2439 Depth=2
	s_andn2_saveexec_b64 s[20:21], s[56:57]
; %bb.3118:                             ;   in Loop: Header=BB2_2439 Depth=2
	v_or_b32_sdwa v0, v1, s69 dst_sel:DWORD dst_unused:UNUSED_PAD src0_sel:BYTE_3 src1_sel:DWORD
	v_cmp_eq_u64_e32 vcc, 0, v[52:53]
	v_cndmask_b32_e32 v24, v0, v24, vcc
; %bb.3119:                             ;   in Loop: Header=BB2_2439 Depth=2
	s_or_b64 exec, exec, s[20:21]
	v_lshrrev_b16_e32 v18, 8, v14
	s_waitcnt vmcnt(0)
	v_lshrrev_b16_e32 v2, 8, v10
	s_and_b64 vcc, exec, s[18:19]
	v_cmp_ne_u16_e64 s[20:21], 0, v18
	s_cbranch_vccnz .LBB2_3133
; %bb.3120:                             ;   in Loop: Header=BB2_2439 Depth=2
	v_mov_b32_e32 v1, 0
	v_mov_b32_e32 v0, 0
	s_and_saveexec_b64 s[56:57], s[20:21]
	s_cbranch_execz .LBB2_3126
; %bb.3121:                             ;   in Loop: Header=BB2_2439 Depth=2
	v_cmp_ne_u16_e32 vcc, s68, v18
	v_bfrev_b32_e32 v0, 1
	s_and_saveexec_b64 s[58:59], vcc
	s_cbranch_execz .LBB2_3125
; %bb.3122:                             ;   in Loop: Header=BB2_2439 Depth=2
	v_and_b32_e32 v3, 0x7f, v18
	v_cmp_ne_u32_e32 vcc, s69, v3
	v_mov_b32_e32 v0, 0x7f800001
	s_and_saveexec_b64 s[60:61], vcc
	s_cbranch_execz .LBB2_3124
; %bb.3123:                             ;   in Loop: Header=BB2_2439 Depth=2
	v_and_b32_e32 v0, 7, v18
	v_ffbh_u32_e32 v4, v0
	v_min_u32_e32 v20, 32, v4
	v_lshrrev_b32_e32 v19, 3, v3
	v_subrev_u32_e32 v4, 28, v20
	v_lshlrev_b64 v[4:5], v4, v[18:19]
	v_sub_u32_e32 v5, 29, v20
	v_and_b32_e32 v4, 7, v4
	v_cmp_gt_u32_e32 vcc, 8, v3
	v_cndmask_b32_e32 v3, v19, v5, vcc
	v_cndmask_b32_e32 v0, v0, v4, vcc
	v_lshlrev_b32_e32 v4, 16, v14
	v_lshlrev_b32_e32 v0, 20, v0
	v_and_b32_e32 v4, 0x80000000, v4
	v_lshl_add_u32 v3, v3, 23, v49
	v_or3_b32 v0, v4, v3, v0
.LBB2_3124:                             ;   in Loop: Header=BB2_2439 Depth=2
	s_or_b64 exec, exec, s[60:61]
.LBB2_3125:                             ;   in Loop: Header=BB2_2439 Depth=2
	s_or_b64 exec, exec, s[58:59]
.LBB2_3126:                             ;   in Loop: Header=BB2_2439 Depth=2
	s_or_b64 exec, exec, s[56:57]
	v_cmp_ne_u16_e32 vcc, 0, v2
	s_and_saveexec_b64 s[56:57], vcc
	s_cbranch_execz .LBB2_3132
; %bb.3127:                             ;   in Loop: Header=BB2_2439 Depth=2
	v_cmp_ne_u16_e32 vcc, s68, v2
	v_bfrev_b32_e32 v1, 1
	s_and_saveexec_b64 s[58:59], vcc
	s_cbranch_execz .LBB2_3131
; %bb.3128:                             ;   in Loop: Header=BB2_2439 Depth=2
	v_and_b32_e32 v3, 0x7f, v2
	v_cmp_ne_u32_e32 vcc, s69, v3
	v_mov_b32_e32 v1, 0x7f800001
	s_and_saveexec_b64 s[60:61], vcc
	s_cbranch_execz .LBB2_3130
; %bb.3129:                             ;   in Loop: Header=BB2_2439 Depth=2
	v_and_b32_e32 v1, 7, v2
	v_ffbh_u32_e32 v4, v1
	v_min_u32_e32 v20, 32, v4
	v_subrev_u32_e32 v4, 28, v20
	v_lshlrev_b64 v[4:5], v4, v[2:3]
	v_lshrrev_b32_e32 v19, 3, v3
	v_sub_u32_e32 v5, 29, v20
	v_and_b32_e32 v4, 7, v4
	v_cmp_gt_u32_e32 vcc, 8, v3
	v_cndmask_b32_e32 v3, v19, v5, vcc
	v_cndmask_b32_e32 v1, v1, v4, vcc
	v_lshlrev_b32_e32 v4, 16, v10
	v_lshlrev_b32_e32 v1, 20, v1
	v_and_b32_e32 v4, 0x80000000, v4
	v_lshl_add_u32 v3, v3, 23, v49
	v_or3_b32 v1, v4, v3, v1
.LBB2_3130:                             ;   in Loop: Header=BB2_2439 Depth=2
	s_or_b64 exec, exec, s[60:61]
.LBB2_3131:                             ;   in Loop: Header=BB2_2439 Depth=2
	s_or_b64 exec, exec, s[58:59]
.LBB2_3132:                             ;   in Loop: Header=BB2_2439 Depth=2
	s_or_b64 exec, exec, s[56:57]
	v_max_f32_e32 v1, v1, v1
	v_max_f32_e32 v0, v0, v0
	v_max_f32_e32 v1, v0, v1
	s_branch .LBB2_3147
.LBB2_3133:                             ;   in Loop: Header=BB2_2439 Depth=2
                                        ; implicit-def: $vgpr1
	s_cbranch_execz .LBB2_3147
; %bb.3134:                             ;   in Loop: Header=BB2_2439 Depth=2
	v_mov_b32_e32 v1, 0
	v_mov_b32_e32 v0, 0
	s_and_saveexec_b64 s[56:57], s[20:21]
	s_cbranch_execz .LBB2_3140
; %bb.3135:                             ;   in Loop: Header=BB2_2439 Depth=2
	v_cmp_ne_u16_e32 vcc, s68, v18
	v_bfrev_b32_e32 v0, 1
	s_and_saveexec_b64 s[20:21], vcc
	s_cbranch_execz .LBB2_3139
; %bb.3136:                             ;   in Loop: Header=BB2_2439 Depth=2
	v_and_b32_e32 v3, 0x7f, v18
	v_cmp_ne_u32_e32 vcc, s69, v3
	v_mov_b32_e32 v0, 0x7f800001
	s_and_saveexec_b64 s[58:59], vcc
	s_cbranch_execz .LBB2_3138
; %bb.3137:                             ;   in Loop: Header=BB2_2439 Depth=2
	v_and_b32_e32 v0, 7, v18
	v_ffbh_u32_e32 v4, v0
	v_min_u32_e32 v20, 32, v4
	v_lshrrev_b32_e32 v19, 3, v3
	v_subrev_u32_e32 v4, 28, v20
	v_lshlrev_b64 v[4:5], v4, v[18:19]
	v_sub_u32_e32 v5, 29, v20
	v_and_b32_e32 v4, 7, v4
	v_cmp_gt_u32_e32 vcc, 8, v3
	v_cndmask_b32_e32 v3, v19, v5, vcc
	v_cndmask_b32_e32 v0, v0, v4, vcc
	v_lshlrev_b32_e32 v4, 16, v14
	v_lshlrev_b32_e32 v0, 20, v0
	v_and_b32_e32 v4, 0x80000000, v4
	v_lshl_add_u32 v3, v3, 23, v49
	v_or3_b32 v0, v4, v3, v0
.LBB2_3138:                             ;   in Loop: Header=BB2_2439 Depth=2
	s_or_b64 exec, exec, s[58:59]
.LBB2_3139:                             ;   in Loop: Header=BB2_2439 Depth=2
	s_or_b64 exec, exec, s[20:21]
.LBB2_3140:                             ;   in Loop: Header=BB2_2439 Depth=2
	s_or_b64 exec, exec, s[56:57]
	v_cmp_ne_u16_e32 vcc, 0, v2
	s_and_saveexec_b64 s[20:21], vcc
	s_cbranch_execz .LBB2_3146
; %bb.3141:                             ;   in Loop: Header=BB2_2439 Depth=2
	v_cmp_ne_u16_e32 vcc, s68, v2
	v_bfrev_b32_e32 v1, 1
	s_and_saveexec_b64 s[56:57], vcc
	s_cbranch_execz .LBB2_3145
; %bb.3142:                             ;   in Loop: Header=BB2_2439 Depth=2
	v_and_b32_e32 v3, 0x7f, v2
	v_cmp_ne_u32_e32 vcc, s69, v3
	v_mov_b32_e32 v1, 0x7f800001
	s_and_saveexec_b64 s[58:59], vcc
	s_cbranch_execz .LBB2_3144
; %bb.3143:                             ;   in Loop: Header=BB2_2439 Depth=2
	v_and_b32_e32 v1, 7, v2
	v_ffbh_u32_e32 v4, v1
	v_min_u32_e32 v19, 32, v4
	v_subrev_u32_e32 v4, 28, v19
	v_lshlrev_b64 v[4:5], v4, v[2:3]
	v_lshrrev_b32_e32 v18, 3, v3
	v_sub_u32_e32 v2, 29, v19
	v_and_b32_e32 v4, 7, v4
	v_cmp_gt_u32_e32 vcc, 8, v3
	v_cndmask_b32_e32 v2, v18, v2, vcc
	v_cndmask_b32_e32 v1, v1, v4, vcc
	v_lshlrev_b32_e32 v3, 16, v10
	v_lshlrev_b32_e32 v1, 20, v1
	v_and_b32_e32 v3, 0x80000000, v3
	v_lshl_add_u32 v2, v2, 23, v49
	v_or3_b32 v1, v3, v2, v1
.LBB2_3144:                             ;   in Loop: Header=BB2_2439 Depth=2
	s_or_b64 exec, exec, s[58:59]
.LBB2_3145:                             ;   in Loop: Header=BB2_2439 Depth=2
	s_or_b64 exec, exec, s[56:57]
.LBB2_3146:                             ;   in Loop: Header=BB2_2439 Depth=2
	s_or_b64 exec, exec, s[20:21]
	v_max_f32_e32 v1, v1, v1
	v_max_f32_e32 v0, v0, v0
	v_min_f32_e32 v1, v0, v1
.LBB2_3147:                             ;   in Loop: Header=BB2_2439 Depth=2
	v_and_b32_sdwa v0, v1, s68 dst_sel:DWORD dst_unused:UNUSED_PAD src0_sel:BYTE_3 src1_sel:DWORD
	v_and_b32_e32 v2, 0x7f800000, v1
	v_mov_b32_e32 v3, v53
	v_and_b32_e32 v52, 0x7fffff, v1
	v_or_b32_e32 v25, 0x7e, v0
	v_cmp_ne_u64_e32 vcc, s[40:41], v[2:3]
	s_and_saveexec_b64 s[20:21], vcc
	s_xor_b64 s[56:57], exec, s[20:21]
	s_cbranch_execz .LBB2_3157
; %bb.3148:                             ;   in Loop: Header=BB2_2439 Depth=2
	v_and_b32_e32 v2, 0x7fffffff, v1
	v_mov_b32_e32 v3, v53
	v_cmp_gt_u64_e32 vcc, s[42:43], v[2:3]
	s_and_saveexec_b64 s[58:59], vcc
	s_cbranch_execz .LBB2_3156
; %bb.3149:                             ;   in Loop: Header=BB2_2439 Depth=2
	v_cmp_ne_u32_e32 vcc, 0, v1
	v_mov_b32_e32 v25, 0
	s_and_saveexec_b64 s[60:61], vcc
	s_cbranch_execz .LBB2_3155
; %bb.3150:                             ;   in Loop: Header=BB2_2439 Depth=2
	v_bfe_u32 v1, v1, 23, 8
	v_sub_u32_e32 v3, 0x79, v1
	v_cmp_gt_u32_e32 vcc, s72, v1
	v_add_u32_e32 v2, 0xffffff81, v1
	v_cndmask_b32_e32 v3, 0, v3, vcc
	v_cmp_eq_u32_e32 vcc, 0, v1
	v_mov_b32_e32 v1, 0xffffff82
	v_cndmask_b32_e32 v1, v2, v1, vcc
	v_mov_b32_e32 v2, 0x78
	v_or_b32_e32 v4, 0x800000, v52
	v_cndmask_b32_e32 v5, v3, v2, vcc
	v_cndmask_b32_e32 v52, v4, v52, vcc
	v_add_u32_e32 v2, 20, v5
	v_lshlrev_b64 v[2:3], v2, -1
	v_add_u32_e32 v4, 19, v5
	v_lshrrev_b64 v[26:27], v5, v[52:53]
	v_not_b32_e32 v3, v3
	v_not_b32_e32 v2, v2
	v_lshlrev_b64 v[18:19], v4, 1
	v_lshrrev_b32_e32 v4, 23, v26
	v_and_b32_e32 v3, 0, v3
	v_and_b32_e32 v2, v52, v2
	v_add3_u32 v5, v5, v1, v4
	v_bfe_u32 v1, v26, 20, 1
	v_add_u32_e32 v1, -1, v1
	v_cmp_eq_u64_e32 vcc, v[2:3], v[18:19]
	v_cndmask_b32_e32 v1, 0, v1, vcc
	v_add_u32_e32 v1, v1, v26
	v_and_b32_e32 v1, 0xfffff, v1
	v_add_co_u32_e32 v2, vcc, v1, v26
	v_add_u32_e32 v4, 6, v5
	v_addc_co_u32_e32 v3, vcc, 0, v27, vcc
	v_cmp_ne_u32_e32 vcc, 0, v4
                                        ; implicit-def: $vgpr1
	s_and_saveexec_b64 s[20:21], vcc
	s_xor_b64 s[20:21], exec, s[20:21]
; %bb.3151:                             ;   in Loop: Header=BB2_2439 Depth=2
	v_add_u32_e32 v1, 7, v5
	v_cmp_lt_u64_e32 vcc, s[46:47], v[2:3]
	v_cndmask_b32_e32 v1, v4, v1, vcc
	v_cndmask_b32_e64 v4, 0, 1, vcc
	v_lshrrev_b64 v[2:3], v4, v[2:3]
; %bb.3152:                             ;   in Loop: Header=BB2_2439 Depth=2
	s_andn2_saveexec_b64 s[20:21], s[20:21]
; %bb.3153:                             ;   in Loop: Header=BB2_2439 Depth=2
	v_bfe_u32 v1, v2, 23, 1
; %bb.3154:                             ;   in Loop: Header=BB2_2439 Depth=2
	s_or_b64 exec, exec, s[20:21]
	v_lshrrev_b64 v[2:3], 20, v[2:3]
	v_cmp_gt_i32_e32 vcc, 16, v1
	v_cndmask_b32_e32 v3, 0, v3, vcc
	v_cndmask_b32_e32 v2, 7, v2, vcc
	v_cmp_eq_u32_e32 vcc, 0, v1
	v_min_i32_e32 v1, 15, v1
	v_cmp_eq_u64_e64 s[20:21], 0, v[2:3]
	v_lshlrev_b32_e32 v1, 3, v1
	v_and_or_b32 v1, v2, 7, v1
	s_and_b64 s[20:21], vcc, s[20:21]
	v_cndmask_b32_e64 v1, v1, 0, s[20:21]
	v_or_b32_e32 v25, v1, v0
.LBB2_3155:                             ;   in Loop: Header=BB2_2439 Depth=2
	s_or_b64 exec, exec, s[60:61]
.LBB2_3156:                             ;   in Loop: Header=BB2_2439 Depth=2
	s_or_b64 exec, exec, s[58:59]
                                        ; implicit-def: $vgpr1
.LBB2_3157:                             ;   in Loop: Header=BB2_2439 Depth=2
	s_andn2_saveexec_b64 s[20:21], s[56:57]
; %bb.3158:                             ;   in Loop: Header=BB2_2439 Depth=2
	v_or_b32_sdwa v0, v1, s69 dst_sel:DWORD dst_unused:UNUSED_PAD src0_sel:BYTE_3 src1_sel:DWORD
	v_cmp_eq_u64_e32 vcc, 0, v[52:53]
	v_cndmask_b32_e32 v25, v0, v25, vcc
; %bb.3159:                             ;   in Loop: Header=BB2_2439 Depth=2
	s_or_b64 exec, exec, s[20:21]
	v_lshrrev_b32_e32 v18, 16, v14
	v_lshrrev_b32_e32 v2, 16, v10
	s_and_b64 vcc, exec, s[18:19]
	v_cmp_ne_u16_sdwa s[20:21], v18, v53 src0_sel:BYTE_0 src1_sel:DWORD
	s_cbranch_vccnz .LBB2_3173
; %bb.3160:                             ;   in Loop: Header=BB2_2439 Depth=2
	v_mov_b32_e32 v1, 0
	v_mov_b32_e32 v0, 0
	s_and_saveexec_b64 s[56:57], s[20:21]
	s_cbranch_execz .LBB2_3166
; %bb.3161:                             ;   in Loop: Header=BB2_2439 Depth=2
	v_cmp_ne_u16_sdwa vcc, v18, s68 src0_sel:BYTE_0 src1_sel:DWORD
	v_bfrev_b32_e32 v0, 1
	s_and_saveexec_b64 s[58:59], vcc
	s_cbranch_execz .LBB2_3165
; %bb.3162:                             ;   in Loop: Header=BB2_2439 Depth=2
	v_bfe_u32 v3, v14, 16, 7
	v_cmp_ne_u32_e32 vcc, s69, v3
	v_mov_b32_e32 v0, 0x7f800001
	s_and_saveexec_b64 s[60:61], vcc
	s_cbranch_execz .LBB2_3164
; %bb.3163:                             ;   in Loop: Header=BB2_2439 Depth=2
	v_and_b32_e32 v0, 7, v18
	v_ffbh_u32_e32 v4, v0
	v_min_u32_e32 v20, 32, v4
	v_lshrrev_b32_e32 v19, 3, v3
	v_subrev_u32_e32 v4, 28, v20
	v_lshlrev_b64 v[4:5], v4, v[18:19]
	v_sub_u32_e32 v5, 29, v20
	v_and_b32_e32 v4, 7, v4
	v_cmp_gt_u32_e32 vcc, 8, v3
	v_cndmask_b32_e32 v3, v19, v5, vcc
	v_cndmask_b32_e32 v0, v0, v4, vcc
	v_lshlrev_b32_e32 v4, 24, v18
	v_lshlrev_b32_e32 v0, 20, v0
	v_and_b32_e32 v4, 0x80000000, v4
	v_lshl_add_u32 v3, v3, 23, v49
	v_or3_b32 v0, v4, v3, v0
.LBB2_3164:                             ;   in Loop: Header=BB2_2439 Depth=2
	s_or_b64 exec, exec, s[60:61]
.LBB2_3165:                             ;   in Loop: Header=BB2_2439 Depth=2
	s_or_b64 exec, exec, s[58:59]
.LBB2_3166:                             ;   in Loop: Header=BB2_2439 Depth=2
	s_or_b64 exec, exec, s[56:57]
	v_cmp_ne_u16_sdwa vcc, v2, v53 src0_sel:BYTE_0 src1_sel:DWORD
	s_and_saveexec_b64 s[56:57], vcc
	s_cbranch_execz .LBB2_3172
; %bb.3167:                             ;   in Loop: Header=BB2_2439 Depth=2
	v_cmp_ne_u16_sdwa vcc, v2, s68 src0_sel:BYTE_0 src1_sel:DWORD
	v_bfrev_b32_e32 v1, 1
	s_and_saveexec_b64 s[58:59], vcc
	s_cbranch_execz .LBB2_3171
; %bb.3168:                             ;   in Loop: Header=BB2_2439 Depth=2
	v_bfe_u32 v3, v10, 16, 7
	v_cmp_ne_u32_e32 vcc, s69, v3
	v_mov_b32_e32 v1, 0x7f800001
	s_and_saveexec_b64 s[60:61], vcc
	s_cbranch_execz .LBB2_3170
; %bb.3169:                             ;   in Loop: Header=BB2_2439 Depth=2
	v_and_b32_e32 v1, 7, v2
	v_ffbh_u32_e32 v4, v1
	v_min_u32_e32 v20, 32, v4
	v_subrev_u32_e32 v4, 28, v20
	v_lshlrev_b64 v[4:5], v4, v[2:3]
	v_lshrrev_b32_e32 v19, 3, v3
	v_sub_u32_e32 v5, 29, v20
	v_and_b32_e32 v4, 7, v4
	v_cmp_gt_u32_e32 vcc, 8, v3
	v_cndmask_b32_e32 v3, v19, v5, vcc
	v_cndmask_b32_e32 v1, v1, v4, vcc
	v_lshlrev_b32_e32 v4, 24, v2
	v_lshlrev_b32_e32 v1, 20, v1
	v_and_b32_e32 v4, 0x80000000, v4
	v_lshl_add_u32 v3, v3, 23, v49
	v_or3_b32 v1, v4, v3, v1
.LBB2_3170:                             ;   in Loop: Header=BB2_2439 Depth=2
	s_or_b64 exec, exec, s[60:61]
.LBB2_3171:                             ;   in Loop: Header=BB2_2439 Depth=2
	s_or_b64 exec, exec, s[58:59]
.LBB2_3172:                             ;   in Loop: Header=BB2_2439 Depth=2
	s_or_b64 exec, exec, s[56:57]
	v_max_f32_e32 v1, v1, v1
	v_max_f32_e32 v0, v0, v0
	;; [unrolled: 1-line block ×3, first 2 shown]
	s_branch .LBB2_3187
.LBB2_3173:                             ;   in Loop: Header=BB2_2439 Depth=2
                                        ; implicit-def: $vgpr3
	s_cbranch_execz .LBB2_3187
; %bb.3174:                             ;   in Loop: Header=BB2_2439 Depth=2
	v_mov_b32_e32 v1, 0
	v_mov_b32_e32 v0, 0
	s_and_saveexec_b64 s[56:57], s[20:21]
	s_cbranch_execz .LBB2_3180
; %bb.3175:                             ;   in Loop: Header=BB2_2439 Depth=2
	v_cmp_ne_u16_sdwa vcc, v18, s68 src0_sel:BYTE_0 src1_sel:DWORD
	v_bfrev_b32_e32 v0, 1
	s_and_saveexec_b64 s[20:21], vcc
	s_cbranch_execz .LBB2_3179
; %bb.3176:                             ;   in Loop: Header=BB2_2439 Depth=2
	v_bfe_u32 v3, v14, 16, 7
	v_cmp_ne_u32_e32 vcc, s69, v3
	v_mov_b32_e32 v0, 0x7f800001
	s_and_saveexec_b64 s[58:59], vcc
	s_cbranch_execz .LBB2_3178
; %bb.3177:                             ;   in Loop: Header=BB2_2439 Depth=2
	v_and_b32_e32 v0, 7, v18
	v_ffbh_u32_e32 v4, v0
	v_min_u32_e32 v20, 32, v4
	v_lshrrev_b32_e32 v19, 3, v3
	v_subrev_u32_e32 v4, 28, v20
	v_lshlrev_b64 v[4:5], v4, v[18:19]
	v_sub_u32_e32 v5, 29, v20
	v_and_b32_e32 v4, 7, v4
	v_cmp_gt_u32_e32 vcc, 8, v3
	v_cndmask_b32_e32 v3, v19, v5, vcc
	v_cndmask_b32_e32 v0, v0, v4, vcc
	v_lshlrev_b32_e32 v4, 24, v18
	v_lshlrev_b32_e32 v0, 20, v0
	v_and_b32_e32 v4, 0x80000000, v4
	v_lshl_add_u32 v3, v3, 23, v49
	v_or3_b32 v0, v4, v3, v0
.LBB2_3178:                             ;   in Loop: Header=BB2_2439 Depth=2
	s_or_b64 exec, exec, s[58:59]
.LBB2_3179:                             ;   in Loop: Header=BB2_2439 Depth=2
	s_or_b64 exec, exec, s[20:21]
.LBB2_3180:                             ;   in Loop: Header=BB2_2439 Depth=2
	s_or_b64 exec, exec, s[56:57]
	v_cmp_ne_u16_sdwa vcc, v2, v53 src0_sel:BYTE_0 src1_sel:DWORD
	s_and_saveexec_b64 s[20:21], vcc
	s_cbranch_execz .LBB2_3186
; %bb.3181:                             ;   in Loop: Header=BB2_2439 Depth=2
	v_cmp_ne_u16_sdwa vcc, v2, s68 src0_sel:BYTE_0 src1_sel:DWORD
	v_bfrev_b32_e32 v1, 1
	s_and_saveexec_b64 s[56:57], vcc
	s_cbranch_execz .LBB2_3185
; %bb.3182:                             ;   in Loop: Header=BB2_2439 Depth=2
	v_bfe_u32 v3, v10, 16, 7
	v_cmp_ne_u32_e32 vcc, s69, v3
	v_mov_b32_e32 v1, 0x7f800001
	s_and_saveexec_b64 s[58:59], vcc
	s_cbranch_execz .LBB2_3184
; %bb.3183:                             ;   in Loop: Header=BB2_2439 Depth=2
	v_and_b32_e32 v1, 7, v2
	v_ffbh_u32_e32 v4, v1
	v_min_u32_e32 v19, 32, v4
	v_subrev_u32_e32 v4, 28, v19
	v_lshlrev_b64 v[4:5], v4, v[2:3]
	v_lshrrev_b32_e32 v18, 3, v3
	v_sub_u32_e32 v5, 29, v19
	v_and_b32_e32 v4, 7, v4
	v_cmp_gt_u32_e32 vcc, 8, v3
	v_cndmask_b32_e32 v3, v18, v5, vcc
	v_cndmask_b32_e32 v1, v1, v4, vcc
	v_lshlrev_b32_e32 v2, 24, v2
	v_lshlrev_b32_e32 v1, 20, v1
	v_and_b32_e32 v2, 0x80000000, v2
	v_lshl_add_u32 v3, v3, 23, v49
	v_or3_b32 v1, v2, v3, v1
.LBB2_3184:                             ;   in Loop: Header=BB2_2439 Depth=2
	s_or_b64 exec, exec, s[58:59]
.LBB2_3185:                             ;   in Loop: Header=BB2_2439 Depth=2
	s_or_b64 exec, exec, s[56:57]
.LBB2_3186:                             ;   in Loop: Header=BB2_2439 Depth=2
	s_or_b64 exec, exec, s[20:21]
	v_max_f32_e32 v1, v1, v1
	v_max_f32_e32 v0, v0, v0
	v_min_f32_e32 v3, v0, v1
.LBB2_3187:                             ;   in Loop: Header=BB2_2439 Depth=2
	v_and_b32_sdwa v1, v3, s68 dst_sel:DWORD dst_unused:UNUSED_PAD src0_sel:BYTE_3 src1_sel:DWORD
	v_and_b32_e32 v4, 0x7f800000, v3
	v_mov_b32_e32 v5, v53
	v_and_b32_e32 v52, 0x7fffff, v3
	v_or_b32_e32 v0, 0x7e, v1
	v_cmp_ne_u64_e32 vcc, s[40:41], v[4:5]
	s_and_saveexec_b64 s[20:21], vcc
	s_xor_b64 s[56:57], exec, s[20:21]
	s_cbranch_execz .LBB2_3197
; %bb.3188:                             ;   in Loop: Header=BB2_2439 Depth=2
	v_and_b32_e32 v4, 0x7fffffff, v3
	v_mov_b32_e32 v5, v53
	v_cmp_gt_u64_e32 vcc, s[42:43], v[4:5]
	s_and_saveexec_b64 s[58:59], vcc
	s_cbranch_execz .LBB2_3196
; %bb.3189:                             ;   in Loop: Header=BB2_2439 Depth=2
	v_cmp_ne_u32_e32 vcc, 0, v3
	v_mov_b32_e32 v0, 0
	s_and_saveexec_b64 s[60:61], vcc
	s_cbranch_execz .LBB2_3195
; %bb.3190:                             ;   in Loop: Header=BB2_2439 Depth=2
	v_bfe_u32 v0, v3, 23, 8
	v_sub_u32_e32 v3, 0x79, v0
	v_cmp_gt_u32_e32 vcc, s72, v0
	v_add_u32_e32 v2, 0xffffff81, v0
	v_cndmask_b32_e32 v3, 0, v3, vcc
	v_cmp_eq_u32_e32 vcc, 0, v0
	v_mov_b32_e32 v0, 0xffffff82
	v_cndmask_b32_e32 v0, v2, v0, vcc
	v_mov_b32_e32 v2, 0x78
	v_or_b32_e32 v4, 0x800000, v52
	v_cndmask_b32_e32 v5, v3, v2, vcc
	v_cndmask_b32_e32 v52, v4, v52, vcc
	v_add_u32_e32 v2, 20, v5
	v_lshlrev_b64 v[2:3], v2, -1
	v_add_u32_e32 v4, 19, v5
	v_lshrrev_b64 v[26:27], v5, v[52:53]
	v_not_b32_e32 v3, v3
	v_not_b32_e32 v2, v2
	v_lshlrev_b64 v[18:19], v4, 1
	v_lshrrev_b32_e32 v4, 23, v26
	v_and_b32_e32 v3, 0, v3
	v_and_b32_e32 v2, v52, v2
	v_add3_u32 v5, v5, v0, v4
	v_bfe_u32 v0, v26, 20, 1
	v_add_u32_e32 v0, -1, v0
	v_cmp_eq_u64_e32 vcc, v[2:3], v[18:19]
	v_cndmask_b32_e32 v0, 0, v0, vcc
	v_add_u32_e32 v0, v0, v26
	v_and_b32_e32 v0, 0xfffff, v0
	v_add_co_u32_e32 v2, vcc, v0, v26
	v_add_u32_e32 v4, 6, v5
	v_addc_co_u32_e32 v3, vcc, 0, v27, vcc
	v_cmp_ne_u32_e32 vcc, 0, v4
                                        ; implicit-def: $vgpr0
	s_and_saveexec_b64 s[20:21], vcc
	s_xor_b64 s[20:21], exec, s[20:21]
; %bb.3191:                             ;   in Loop: Header=BB2_2439 Depth=2
	v_add_u32_e32 v0, 7, v5
	v_cmp_lt_u64_e32 vcc, s[46:47], v[2:3]
	v_cndmask_b32_e32 v0, v4, v0, vcc
	v_cndmask_b32_e64 v4, 0, 1, vcc
	v_lshrrev_b64 v[2:3], v4, v[2:3]
; %bb.3192:                             ;   in Loop: Header=BB2_2439 Depth=2
	s_andn2_saveexec_b64 s[20:21], s[20:21]
; %bb.3193:                             ;   in Loop: Header=BB2_2439 Depth=2
	v_bfe_u32 v0, v2, 23, 1
; %bb.3194:                             ;   in Loop: Header=BB2_2439 Depth=2
	s_or_b64 exec, exec, s[20:21]
	v_lshrrev_b64 v[2:3], 20, v[2:3]
	v_cmp_gt_i32_e32 vcc, 16, v0
	v_cndmask_b32_e32 v3, 0, v3, vcc
	v_cndmask_b32_e32 v2, 7, v2, vcc
	v_cmp_eq_u32_e32 vcc, 0, v0
	v_min_i32_e32 v0, 15, v0
	v_cmp_eq_u64_e64 s[20:21], 0, v[2:3]
	v_lshlrev_b32_e32 v0, 3, v0
	v_and_or_b32 v0, v2, 7, v0
	s_and_b64 s[20:21], vcc, s[20:21]
	v_cndmask_b32_e64 v0, v0, 0, s[20:21]
	v_or_b32_e32 v0, v0, v1
.LBB2_3195:                             ;   in Loop: Header=BB2_2439 Depth=2
	s_or_b64 exec, exec, s[60:61]
.LBB2_3196:                             ;   in Loop: Header=BB2_2439 Depth=2
	s_or_b64 exec, exec, s[58:59]
                                        ; implicit-def: $vgpr3
.LBB2_3197:                             ;   in Loop: Header=BB2_2439 Depth=2
	s_andn2_saveexec_b64 s[20:21], s[56:57]
; %bb.3198:                             ;   in Loop: Header=BB2_2439 Depth=2
	v_or_b32_sdwa v1, v3, s69 dst_sel:DWORD dst_unused:UNUSED_PAD src0_sel:BYTE_3 src1_sel:DWORD
	v_cmp_eq_u64_e32 vcc, 0, v[52:53]
	v_cndmask_b32_e32 v0, v1, v0, vcc
; %bb.3199:                             ;   in Loop: Header=BB2_2439 Depth=2
	s_or_b64 exec, exec, s[20:21]
	v_lshrrev_b32_e32 v18, 24, v14
	v_lshrrev_b32_e32 v2, 24, v10
	s_and_b64 vcc, exec, s[18:19]
	v_cmp_lt_u32_e64 s[20:21], s45, v14
	s_cbranch_vccnz .LBB2_3213
; %bb.3200:                             ;   in Loop: Header=BB2_2439 Depth=2
	v_mov_b32_e32 v3, 0
	v_mov_b32_e32 v1, 0
	s_and_saveexec_b64 s[56:57], s[20:21]
	s_cbranch_execz .LBB2_3206
; %bb.3201:                             ;   in Loop: Header=BB2_2439 Depth=2
	v_cmp_ne_u32_e32 vcc, s68, v18
	v_bfrev_b32_e32 v1, 1
	s_and_saveexec_b64 s[58:59], vcc
	s_cbranch_execz .LBB2_3205
; %bb.3202:                             ;   in Loop: Header=BB2_2439 Depth=2
	v_bfe_u32 v4, v14, 24, 7
	v_cmp_ne_u32_e32 vcc, s69, v4
	v_mov_b32_e32 v1, 0x7f800001
	s_and_saveexec_b64 s[60:61], vcc
	s_cbranch_execz .LBB2_3204
; %bb.3203:                             ;   in Loop: Header=BB2_2439 Depth=2
	v_and_b32_e32 v1, 7, v18
	v_ffbh_u32_e32 v19, v1
	v_min_u32_e32 v19, 32, v19
	v_subrev_u32_e32 v20, 28, v19
	v_lshlrev_b64 v[26:27], v20, v[18:19]
	v_lshrrev_b32_e32 v5, 3, v4
	v_sub_u32_e32 v19, 29, v19
	v_and_b32_e32 v20, 7, v26
	v_cmp_gt_u32_e32 vcc, 8, v4
	v_cndmask_b32_e32 v4, v5, v19, vcc
	v_cndmask_b32_e32 v1, v1, v20, vcc
	v_lshlrev_b32_e32 v5, 24, v18
	v_lshlrev_b32_e32 v1, 20, v1
	v_and_b32_e32 v5, 0x80000000, v5
	v_lshl_add_u32 v4, v4, 23, v49
	v_or3_b32 v1, v5, v4, v1
.LBB2_3204:                             ;   in Loop: Header=BB2_2439 Depth=2
	s_or_b64 exec, exec, s[60:61]
.LBB2_3205:                             ;   in Loop: Header=BB2_2439 Depth=2
	s_or_b64 exec, exec, s[58:59]
.LBB2_3206:                             ;   in Loop: Header=BB2_2439 Depth=2
	s_or_b64 exec, exec, s[56:57]
	v_cmp_lt_u32_e32 vcc, s45, v10
	s_and_saveexec_b64 s[56:57], vcc
	s_cbranch_execz .LBB2_3212
; %bb.3207:                             ;   in Loop: Header=BB2_2439 Depth=2
	v_cmp_ne_u32_e32 vcc, s68, v2
	v_bfrev_b32_e32 v3, 1
	s_and_saveexec_b64 s[58:59], vcc
	s_cbranch_execz .LBB2_3211
; %bb.3208:                             ;   in Loop: Header=BB2_2439 Depth=2
	v_bfe_u32 v4, v10, 24, 7
	v_cmp_ne_u32_e32 vcc, s69, v4
	v_mov_b32_e32 v3, 0x7f800001
	s_and_saveexec_b64 s[60:61], vcc
	s_cbranch_execz .LBB2_3210
; %bb.3209:                             ;   in Loop: Header=BB2_2439 Depth=2
	v_and_b32_e32 v3, 7, v2
	v_ffbh_u32_e32 v19, v3
	v_min_u32_e32 v19, 32, v19
	v_subrev_u32_e32 v20, 28, v19
	v_lshlrev_b64 v[26:27], v20, v[2:3]
	v_lshrrev_b32_e32 v5, 3, v4
	v_sub_u32_e32 v19, 29, v19
	v_and_b32_e32 v20, 7, v26
	v_cmp_gt_u32_e32 vcc, 8, v4
	v_cndmask_b32_e32 v4, v5, v19, vcc
	v_cndmask_b32_e32 v3, v3, v20, vcc
	v_lshlrev_b32_e32 v5, 24, v2
	v_lshlrev_b32_e32 v3, 20, v3
	v_and_b32_e32 v5, 0x80000000, v5
	v_lshl_add_u32 v4, v4, 23, v49
	v_or3_b32 v3, v5, v4, v3
.LBB2_3210:                             ;   in Loop: Header=BB2_2439 Depth=2
	s_or_b64 exec, exec, s[60:61]
.LBB2_3211:                             ;   in Loop: Header=BB2_2439 Depth=2
	s_or_b64 exec, exec, s[58:59]
.LBB2_3212:                             ;   in Loop: Header=BB2_2439 Depth=2
	s_or_b64 exec, exec, s[56:57]
	v_max_f32_e32 v3, v3, v3
	v_max_f32_e32 v1, v1, v1
	;; [unrolled: 1-line block ×3, first 2 shown]
	s_branch .LBB2_3227
.LBB2_3213:                             ;   in Loop: Header=BB2_2439 Depth=2
                                        ; implicit-def: $vgpr3
	s_cbranch_execz .LBB2_3227
; %bb.3214:                             ;   in Loop: Header=BB2_2439 Depth=2
	v_mov_b32_e32 v3, 0
	v_mov_b32_e32 v1, 0
	s_and_saveexec_b64 s[56:57], s[20:21]
	s_cbranch_execz .LBB2_3220
; %bb.3215:                             ;   in Loop: Header=BB2_2439 Depth=2
	v_cmp_ne_u32_e32 vcc, s68, v18
	v_bfrev_b32_e32 v1, 1
	s_and_saveexec_b64 s[20:21], vcc
	s_cbranch_execz .LBB2_3219
; %bb.3216:                             ;   in Loop: Header=BB2_2439 Depth=2
	v_bfe_u32 v4, v14, 24, 7
	v_cmp_ne_u32_e32 vcc, s69, v4
	v_mov_b32_e32 v1, 0x7f800001
	s_and_saveexec_b64 s[58:59], vcc
	s_cbranch_execz .LBB2_3218
; %bb.3217:                             ;   in Loop: Header=BB2_2439 Depth=2
	v_and_b32_e32 v1, 7, v18
	v_ffbh_u32_e32 v19, v1
	v_min_u32_e32 v19, 32, v19
	v_subrev_u32_e32 v20, 28, v19
	v_lshlrev_b64 v[26:27], v20, v[18:19]
	v_lshrrev_b32_e32 v5, 3, v4
	v_sub_u32_e32 v19, 29, v19
	v_and_b32_e32 v20, 7, v26
	v_cmp_gt_u32_e32 vcc, 8, v4
	v_cndmask_b32_e32 v4, v5, v19, vcc
	v_cndmask_b32_e32 v1, v1, v20, vcc
	v_lshlrev_b32_e32 v5, 24, v18
	v_lshlrev_b32_e32 v1, 20, v1
	v_and_b32_e32 v5, 0x80000000, v5
	v_lshl_add_u32 v4, v4, 23, v49
	v_or3_b32 v1, v5, v4, v1
.LBB2_3218:                             ;   in Loop: Header=BB2_2439 Depth=2
	s_or_b64 exec, exec, s[58:59]
.LBB2_3219:                             ;   in Loop: Header=BB2_2439 Depth=2
	s_or_b64 exec, exec, s[20:21]
.LBB2_3220:                             ;   in Loop: Header=BB2_2439 Depth=2
	s_or_b64 exec, exec, s[56:57]
	v_cmp_lt_u32_e32 vcc, s45, v10
	s_and_saveexec_b64 s[20:21], vcc
	s_cbranch_execz .LBB2_3226
; %bb.3221:                             ;   in Loop: Header=BB2_2439 Depth=2
	v_cmp_ne_u32_e32 vcc, s68, v2
	v_bfrev_b32_e32 v3, 1
	s_and_saveexec_b64 s[56:57], vcc
	s_cbranch_execz .LBB2_3225
; %bb.3222:                             ;   in Loop: Header=BB2_2439 Depth=2
	v_bfe_u32 v4, v10, 24, 7
	v_cmp_ne_u32_e32 vcc, s69, v4
	v_mov_b32_e32 v3, 0x7f800001
	s_and_saveexec_b64 s[58:59], vcc
	s_cbranch_execz .LBB2_3224
; %bb.3223:                             ;   in Loop: Header=BB2_2439 Depth=2
	v_and_b32_e32 v3, 7, v2
	v_ffbh_u32_e32 v18, v3
	v_min_u32_e32 v20, 32, v18
	v_subrev_u32_e32 v18, 28, v20
	v_lshlrev_b64 v[18:19], v18, v[2:3]
	v_lshrrev_b32_e32 v5, 3, v4
	v_sub_u32_e32 v19, 29, v20
	v_and_b32_e32 v18, 7, v18
	v_cmp_gt_u32_e32 vcc, 8, v4
	v_cndmask_b32_e32 v4, v5, v19, vcc
	v_cndmask_b32_e32 v3, v3, v18, vcc
	v_lshlrev_b32_e32 v2, 24, v2
	v_lshlrev_b32_e32 v3, 20, v3
	v_and_b32_e32 v2, 0x80000000, v2
	v_lshl_add_u32 v4, v4, 23, v49
	v_or3_b32 v3, v2, v4, v3
.LBB2_3224:                             ;   in Loop: Header=BB2_2439 Depth=2
	s_or_b64 exec, exec, s[58:59]
.LBB2_3225:                             ;   in Loop: Header=BB2_2439 Depth=2
	s_or_b64 exec, exec, s[56:57]
.LBB2_3226:                             ;   in Loop: Header=BB2_2439 Depth=2
	s_or_b64 exec, exec, s[20:21]
	v_max_f32_e32 v2, v3, v3
	v_max_f32_e32 v1, v1, v1
	v_min_f32_e32 v3, v1, v2
.LBB2_3227:                             ;   in Loop: Header=BB2_2439 Depth=2
	v_and_b32_sdwa v1, v3, s68 dst_sel:DWORD dst_unused:UNUSED_PAD src0_sel:BYTE_3 src1_sel:DWORD
	v_and_b32_e32 v4, 0x7f800000, v3
	v_mov_b32_e32 v5, v53
	v_and_b32_e32 v52, 0x7fffff, v3
	v_or_b32_e32 v26, 0x7e, v1
	v_cmp_ne_u64_e32 vcc, s[40:41], v[4:5]
	s_and_saveexec_b64 s[20:21], vcc
	s_xor_b64 s[56:57], exec, s[20:21]
	s_cbranch_execz .LBB2_3237
; %bb.3228:                             ;   in Loop: Header=BB2_2439 Depth=2
	v_and_b32_e32 v4, 0x7fffffff, v3
	v_mov_b32_e32 v5, v53
	v_cmp_gt_u64_e32 vcc, s[42:43], v[4:5]
	s_and_saveexec_b64 s[58:59], vcc
	s_cbranch_execz .LBB2_3236
; %bb.3229:                             ;   in Loop: Header=BB2_2439 Depth=2
	v_cmp_ne_u32_e32 vcc, 0, v3
	v_mov_b32_e32 v26, 0
	s_and_saveexec_b64 s[60:61], vcc
	s_cbranch_execz .LBB2_3235
; %bb.3230:                             ;   in Loop: Header=BB2_2439 Depth=2
	v_bfe_u32 v2, v3, 23, 8
	v_sub_u32_e32 v4, 0x79, v2
	v_cmp_gt_u32_e32 vcc, s72, v2
	v_add_u32_e32 v3, 0xffffff81, v2
	v_cndmask_b32_e32 v4, 0, v4, vcc
	v_cmp_eq_u32_e32 vcc, 0, v2
	v_mov_b32_e32 v2, 0xffffff82
	v_cndmask_b32_e32 v18, v3, v2, vcc
	v_mov_b32_e32 v2, 0x78
	v_or_b32_e32 v5, 0x800000, v52
	v_cndmask_b32_e32 v4, v4, v2, vcc
	v_cndmask_b32_e32 v52, v5, v52, vcc
	v_add_u32_e32 v2, 20, v4
	v_lshlrev_b64 v[2:3], v2, -1
	v_add_u32_e32 v5, 19, v4
	v_lshrrev_b64 v[48:49], v4, v[52:53]
	v_not_b32_e32 v3, v3
	v_not_b32_e32 v2, v2
	v_lshlrev_b64 v[26:27], v5, 1
	v_lshrrev_b32_e32 v5, 23, v48
	v_and_b32_e32 v3, 0, v3
	v_and_b32_e32 v2, v52, v2
	v_add3_u32 v18, v4, v18, v5
	v_bfe_u32 v4, v48, 20, 1
	v_add_u32_e32 v4, -1, v4
	v_cmp_eq_u64_e32 vcc, v[2:3], v[26:27]
	v_cndmask_b32_e32 v2, 0, v4, vcc
	v_add_u32_e32 v2, v2, v48
	v_and_b32_e32 v2, 0xfffff, v2
	v_add_co_u32_e32 v2, vcc, v2, v48
	v_add_u32_e32 v5, 6, v18
	v_addc_co_u32_e32 v3, vcc, 0, v49, vcc
	v_cmp_ne_u32_e32 vcc, 0, v5
                                        ; implicit-def: $vgpr4
	s_and_saveexec_b64 s[20:21], vcc
	s_xor_b64 s[20:21], exec, s[20:21]
; %bb.3231:                             ;   in Loop: Header=BB2_2439 Depth=2
	v_add_u32_e32 v4, 7, v18
	v_cmp_lt_u64_e32 vcc, s[46:47], v[2:3]
	v_cndmask_b32_e32 v4, v5, v4, vcc
	v_cndmask_b32_e64 v5, 0, 1, vcc
	v_lshrrev_b64 v[2:3], v5, v[2:3]
; %bb.3232:                             ;   in Loop: Header=BB2_2439 Depth=2
	s_andn2_saveexec_b64 s[20:21], s[20:21]
; %bb.3233:                             ;   in Loop: Header=BB2_2439 Depth=2
	v_bfe_u32 v4, v2, 23, 1
; %bb.3234:                             ;   in Loop: Header=BB2_2439 Depth=2
	s_or_b64 exec, exec, s[20:21]
	v_lshrrev_b64 v[2:3], 20, v[2:3]
	v_cmp_gt_i32_e32 vcc, 16, v4
	v_cndmask_b32_e32 v3, 0, v3, vcc
	v_cndmask_b32_e32 v2, 7, v2, vcc
	v_cmp_eq_u64_e64 s[20:21], 0, v[2:3]
	v_min_i32_e32 v3, 15, v4
	v_cmp_eq_u32_e32 vcc, 0, v4
	v_lshlrev_b32_e32 v3, 3, v3
	v_and_or_b32 v2, v2, 7, v3
	s_and_b64 s[20:21], vcc, s[20:21]
	v_cndmask_b32_e64 v2, v2, 0, s[20:21]
	v_or_b32_e32 v26, v2, v1
	v_bfrev_b32_e32 v49, 60
.LBB2_3235:                             ;   in Loop: Header=BB2_2439 Depth=2
	s_or_b64 exec, exec, s[60:61]
.LBB2_3236:                             ;   in Loop: Header=BB2_2439 Depth=2
	s_or_b64 exec, exec, s[58:59]
                                        ; implicit-def: $vgpr3
.LBB2_3237:                             ;   in Loop: Header=BB2_2439 Depth=2
	s_andn2_saveexec_b64 s[20:21], s[56:57]
; %bb.3238:                             ;   in Loop: Header=BB2_2439 Depth=2
	v_or_b32_sdwa v1, v3, s69 dst_sel:DWORD dst_unused:UNUSED_PAD src0_sel:BYTE_3 src1_sel:DWORD
	v_cmp_eq_u64_e32 vcc, 0, v[52:53]
	v_cndmask_b32_e32 v26, v1, v26, vcc
; %bb.3239:                             ;   in Loop: Header=BB2_2439 Depth=2
	s_or_b64 exec, exec, s[20:21]
	v_mov_b32_e32 v52, v15
	v_mov_b32_e32 v2, v11
	;; [unrolled: 1-line block ×3, first 2 shown]
	s_and_b64 vcc, exec, s[18:19]
	v_cmp_ne_u16_sdwa s[20:21], v15, v53 src0_sel:BYTE_0 src1_sel:DWORD
	s_cbranch_vccnz .LBB2_3253
; %bb.3240:                             ;   in Loop: Header=BB2_2439 Depth=2
	v_mov_b32_e32 v4, 0
	v_mov_b32_e32 v1, 0
	s_and_saveexec_b64 s[56:57], s[20:21]
	s_cbranch_execz .LBB2_3246
; %bb.3241:                             ;   in Loop: Header=BB2_2439 Depth=2
	v_cmp_ne_u16_sdwa vcc, v15, s68 src0_sel:BYTE_0 src1_sel:DWORD
	v_bfrev_b32_e32 v1, 1
	s_and_saveexec_b64 s[58:59], vcc
	s_cbranch_execz .LBB2_3245
; %bb.3242:                             ;   in Loop: Header=BB2_2439 Depth=2
	v_and_b32_e32 v5, 0x7f, v15
	v_cmp_ne_u32_e32 vcc, s69, v5
	v_mov_b32_e32 v1, 0x7f800001
	s_and_saveexec_b64 s[60:61], vcc
	s_cbranch_execz .LBB2_3244
; %bb.3243:                             ;   in Loop: Header=BB2_2439 Depth=2
	v_and_b32_e32 v1, 7, v15
	v_ffbh_u32_e32 v1, v1
	v_min_u32_e32 v1, 32, v1
	v_subrev_u32_e32 v19, 28, v1
	v_cmp_gt_u32_e32 vcc, 8, v5
	v_lshrrev_b32_e32 v18, 3, v5
	v_sub_u32_e32 v1, 29, v1
	v_cndmask_b32_e32 v5, 0, v19, vcc
	v_cndmask_b32_e32 v1, v18, v1, vcc
	v_lshlrev_b64 v[18:19], v5, v[52:53]
	v_lshlrev_b32_e32 v5, 20, v18
	v_lshlrev_b32_e32 v18, 24, v52
	v_and_b32_e32 v5, 0x700000, v5
	v_and_b32_e32 v18, 0x80000000, v18
	v_lshl_add_u32 v1, v1, 23, v49
	v_or3_b32 v1, v18, v1, v5
.LBB2_3244:                             ;   in Loop: Header=BB2_2439 Depth=2
	s_or_b64 exec, exec, s[60:61]
.LBB2_3245:                             ;   in Loop: Header=BB2_2439 Depth=2
	s_or_b64 exec, exec, s[58:59]
.LBB2_3246:                             ;   in Loop: Header=BB2_2439 Depth=2
	s_or_b64 exec, exec, s[56:57]
	v_cmp_ne_u16_sdwa vcc, v11, v53 src0_sel:BYTE_0 src1_sel:DWORD
	s_and_saveexec_b64 s[56:57], vcc
	s_cbranch_execz .LBB2_3252
; %bb.3247:                             ;   in Loop: Header=BB2_2439 Depth=2
	v_cmp_ne_u16_sdwa vcc, v11, s68 src0_sel:BYTE_0 src1_sel:DWORD
	v_bfrev_b32_e32 v4, 1
	s_and_saveexec_b64 s[58:59], vcc
	s_cbranch_execz .LBB2_3251
; %bb.3248:                             ;   in Loop: Header=BB2_2439 Depth=2
	v_and_b32_e32 v5, 0x7f, v11
	v_cmp_ne_u32_e32 vcc, s69, v5
	v_mov_b32_e32 v4, 0x7f800001
	s_and_saveexec_b64 s[60:61], vcc
	s_cbranch_execz .LBB2_3250
; %bb.3249:                             ;   in Loop: Header=BB2_2439 Depth=2
	v_and_b32_e32 v4, 7, v11
	v_ffbh_u32_e32 v4, v4
	v_min_u32_e32 v4, 32, v4
	v_lshrrev_b32_e32 v18, 3, v5
	v_subrev_u32_e32 v19, 28, v4
	v_sub_u32_e32 v4, 29, v4
	v_cmp_gt_u32_e32 vcc, 8, v5
	v_cndmask_b32_e32 v18, v18, v4, vcc
	v_cndmask_b32_e32 v4, 0, v19, vcc
	v_lshlrev_b64 v[4:5], v4, v[2:3]
	v_lshlrev_b32_e32 v4, 20, v4
	v_lshlrev_b32_e32 v5, 24, v2
	v_and_b32_e32 v4, 0x700000, v4
	v_and_b32_e32 v5, 0x80000000, v5
	v_lshl_add_u32 v18, v18, 23, v49
	v_or3_b32 v4, v5, v18, v4
.LBB2_3250:                             ;   in Loop: Header=BB2_2439 Depth=2
	s_or_b64 exec, exec, s[60:61]
.LBB2_3251:                             ;   in Loop: Header=BB2_2439 Depth=2
	s_or_b64 exec, exec, s[58:59]
.LBB2_3252:                             ;   in Loop: Header=BB2_2439 Depth=2
	s_or_b64 exec, exec, s[56:57]
	v_max_f32_e32 v4, v4, v4
	v_max_f32_e32 v1, v1, v1
	;; [unrolled: 1-line block ×3, first 2 shown]
	s_branch .LBB2_3267
.LBB2_3253:                             ;   in Loop: Header=BB2_2439 Depth=2
                                        ; implicit-def: $vgpr4
	s_cbranch_execz .LBB2_3267
; %bb.3254:                             ;   in Loop: Header=BB2_2439 Depth=2
	v_mov_b32_e32 v4, 0
	v_mov_b32_e32 v1, 0
	s_and_saveexec_b64 s[56:57], s[20:21]
	s_cbranch_execz .LBB2_3260
; %bb.3255:                             ;   in Loop: Header=BB2_2439 Depth=2
	v_cmp_ne_u16_sdwa vcc, v15, s68 src0_sel:BYTE_0 src1_sel:DWORD
	v_bfrev_b32_e32 v1, 1
	s_and_saveexec_b64 s[20:21], vcc
	s_cbranch_execz .LBB2_3259
; %bb.3256:                             ;   in Loop: Header=BB2_2439 Depth=2
	v_and_b32_e32 v5, 0x7f, v15
	v_cmp_ne_u32_e32 vcc, s69, v5
	v_mov_b32_e32 v1, 0x7f800001
	s_and_saveexec_b64 s[58:59], vcc
	s_cbranch_execz .LBB2_3258
; %bb.3257:                             ;   in Loop: Header=BB2_2439 Depth=2
	v_and_b32_e32 v1, 7, v15
	v_ffbh_u32_e32 v1, v1
	v_min_u32_e32 v1, 32, v1
	v_subrev_u32_e32 v19, 28, v1
	v_cmp_gt_u32_e32 vcc, 8, v5
	v_lshrrev_b32_e32 v18, 3, v5
	v_sub_u32_e32 v1, 29, v1
	v_cndmask_b32_e32 v5, 0, v19, vcc
	v_cndmask_b32_e32 v1, v18, v1, vcc
	v_lshlrev_b64 v[18:19], v5, v[52:53]
	v_lshlrev_b32_e32 v5, 20, v18
	v_lshlrev_b32_e32 v18, 24, v52
	v_and_b32_e32 v5, 0x700000, v5
	v_and_b32_e32 v18, 0x80000000, v18
	v_lshl_add_u32 v1, v1, 23, v49
	v_or3_b32 v1, v18, v1, v5
.LBB2_3258:                             ;   in Loop: Header=BB2_2439 Depth=2
	s_or_b64 exec, exec, s[58:59]
.LBB2_3259:                             ;   in Loop: Header=BB2_2439 Depth=2
	s_or_b64 exec, exec, s[20:21]
.LBB2_3260:                             ;   in Loop: Header=BB2_2439 Depth=2
	s_or_b64 exec, exec, s[56:57]
	v_cmp_ne_u16_sdwa vcc, v11, v53 src0_sel:BYTE_0 src1_sel:DWORD
	s_and_saveexec_b64 s[20:21], vcc
	s_cbranch_execz .LBB2_3266
; %bb.3261:                             ;   in Loop: Header=BB2_2439 Depth=2
	v_cmp_ne_u16_sdwa vcc, v11, s68 src0_sel:BYTE_0 src1_sel:DWORD
	v_bfrev_b32_e32 v4, 1
	s_and_saveexec_b64 s[56:57], vcc
	s_cbranch_execz .LBB2_3265
; %bb.3262:                             ;   in Loop: Header=BB2_2439 Depth=2
	v_and_b32_e32 v5, 0x7f, v11
	v_cmp_ne_u32_e32 vcc, s69, v5
	v_mov_b32_e32 v4, 0x7f800001
	s_and_saveexec_b64 s[58:59], vcc
	s_cbranch_execz .LBB2_3264
; %bb.3263:                             ;   in Loop: Header=BB2_2439 Depth=2
	v_and_b32_e32 v4, 7, v11
	v_ffbh_u32_e32 v4, v4
	v_min_u32_e32 v4, 32, v4
	v_lshrrev_b32_e32 v18, 3, v5
	v_subrev_u32_e32 v19, 28, v4
	v_sub_u32_e32 v4, 29, v4
	v_cmp_gt_u32_e32 vcc, 8, v5
	v_cndmask_b32_e32 v18, v18, v4, vcc
	v_cndmask_b32_e32 v4, 0, v19, vcc
	v_lshlrev_b64 v[4:5], v4, v[2:3]
	v_lshlrev_b32_e32 v3, 20, v4
	v_lshlrev_b32_e32 v4, 24, v2
	v_and_b32_e32 v3, 0x700000, v3
	v_and_b32_e32 v4, 0x80000000, v4
	v_lshl_add_u32 v5, v18, 23, v49
	v_or3_b32 v4, v4, v5, v3
.LBB2_3264:                             ;   in Loop: Header=BB2_2439 Depth=2
	s_or_b64 exec, exec, s[58:59]
.LBB2_3265:                             ;   in Loop: Header=BB2_2439 Depth=2
	s_or_b64 exec, exec, s[56:57]
.LBB2_3266:                             ;   in Loop: Header=BB2_2439 Depth=2
	s_or_b64 exec, exec, s[20:21]
	v_max_f32_e32 v3, v4, v4
	v_max_f32_e32 v1, v1, v1
	v_min_f32_e32 v4, v1, v3
.LBB2_3267:                             ;   in Loop: Header=BB2_2439 Depth=2
	v_and_b32_sdwa v1, v4, s68 dst_sel:DWORD dst_unused:UNUSED_PAD src0_sel:BYTE_3 src1_sel:DWORD
	v_and_b32_e32 v48, 0x7f800000, v4
	v_mov_b32_e32 v49, v53
	v_and_b32_e32 v18, 0x7fffff, v4
	v_mov_b32_e32 v19, v53
	v_or_b32_e32 v27, 0x7e, v1
	v_cmp_ne_u64_e32 vcc, s[40:41], v[48:49]
	s_and_saveexec_b64 s[20:21], vcc
	s_xor_b64 s[56:57], exec, s[20:21]
	s_cbranch_execz .LBB2_3277
; %bb.3268:                             ;   in Loop: Header=BB2_2439 Depth=2
	v_and_b32_e32 v48, 0x7fffffff, v4
	v_mov_b32_e32 v49, v53
	v_cmp_gt_u64_e32 vcc, s[42:43], v[48:49]
	s_and_saveexec_b64 s[58:59], vcc
	s_cbranch_execz .LBB2_3276
; %bb.3269:                             ;   in Loop: Header=BB2_2439 Depth=2
	v_cmp_ne_u32_e32 vcc, 0, v4
	v_mov_b32_e32 v27, 0
	s_and_saveexec_b64 s[60:61], vcc
	s_cbranch_execz .LBB2_3275
; %bb.3270:                             ;   in Loop: Header=BB2_2439 Depth=2
	v_bfe_u32 v3, v4, 23, 8
	v_sub_u32_e32 v5, 0x79, v3
	v_cmp_gt_u32_e32 vcc, s72, v3
	v_add_u32_e32 v4, 0xffffff81, v3
	v_cndmask_b32_e32 v5, 0, v5, vcc
	v_cmp_eq_u32_e32 vcc, 0, v3
	v_mov_b32_e32 v3, 0xffffff82
	v_cndmask_b32_e32 v3, v4, v3, vcc
	v_mov_b32_e32 v4, 0x78
	v_cndmask_b32_e32 v27, v5, v4, vcc
	v_add_u32_e32 v4, 20, v27
	v_or_b32_e32 v20, 0x800000, v18
	v_lshlrev_b64 v[4:5], v4, -1
	v_cndmask_b32_e32 v18, v20, v18, vcc
	v_not_b32_e32 v4, v4
	v_and_b32_e32 v48, v18, v4
	v_add_u32_e32 v4, 19, v27
	v_lshrrev_b64 v[18:19], v27, v[18:19]
	v_not_b32_e32 v5, v5
	v_lshlrev_b64 v[34:35], v4, 1
	v_lshrrev_b32_e32 v4, 23, v18
	v_and_b32_e32 v49, 0, v5
	v_add3_u32 v5, v27, v3, v4
	v_bfe_u32 v3, v18, 20, 1
	v_add_u32_e32 v3, -1, v3
	v_cmp_eq_u64_e32 vcc, v[48:49], v[34:35]
	v_cndmask_b32_e32 v3, 0, v3, vcc
	v_add_u32_e32 v3, v3, v18
	v_and_b32_e32 v3, 0xfffff, v3
	v_add_co_u32_e32 v18, vcc, v3, v18
	v_add_u32_e32 v4, 6, v5
	v_addc_co_u32_e32 v19, vcc, 0, v19, vcc
	v_cmp_ne_u32_e32 vcc, 0, v4
                                        ; implicit-def: $vgpr3
	s_and_saveexec_b64 s[20:21], vcc
	s_xor_b64 s[20:21], exec, s[20:21]
; %bb.3271:                             ;   in Loop: Header=BB2_2439 Depth=2
	v_add_u32_e32 v3, 7, v5
	v_cmp_lt_u64_e32 vcc, s[46:47], v[18:19]
	v_cndmask_b32_e32 v3, v4, v3, vcc
	v_cndmask_b32_e64 v4, 0, 1, vcc
	v_lshrrev_b64 v[18:19], v4, v[18:19]
; %bb.3272:                             ;   in Loop: Header=BB2_2439 Depth=2
	s_andn2_saveexec_b64 s[20:21], s[20:21]
; %bb.3273:                             ;   in Loop: Header=BB2_2439 Depth=2
	v_bfe_u32 v3, v18, 23, 1
; %bb.3274:                             ;   in Loop: Header=BB2_2439 Depth=2
	s_or_b64 exec, exec, s[20:21]
	v_lshrrev_b64 v[4:5], 20, v[18:19]
	v_cmp_gt_i32_e32 vcc, 16, v3
	v_cndmask_b32_e32 v5, 0, v5, vcc
	v_cndmask_b32_e32 v4, 7, v4, vcc
	v_cmp_eq_u32_e32 vcc, 0, v3
	v_min_i32_e32 v3, 15, v3
	v_cmp_eq_u64_e64 s[20:21], 0, v[4:5]
	v_lshlrev_b32_e32 v3, 3, v3
	v_and_or_b32 v3, v4, 7, v3
	s_and_b64 s[20:21], vcc, s[20:21]
	v_cndmask_b32_e64 v3, v3, 0, s[20:21]
	v_or_b32_e32 v27, v3, v1
.LBB2_3275:                             ;   in Loop: Header=BB2_2439 Depth=2
	s_or_b64 exec, exec, s[60:61]
.LBB2_3276:                             ;   in Loop: Header=BB2_2439 Depth=2
	s_or_b64 exec, exec, s[58:59]
                                        ; implicit-def: $vgpr4
                                        ; implicit-def: $vgpr18_vgpr19
.LBB2_3277:                             ;   in Loop: Header=BB2_2439 Depth=2
	s_or_saveexec_b64 s[20:21], s[56:57]
	v_bfrev_b32_e32 v49, 60
	s_xor_b64 exec, exec, s[20:21]
; %bb.3278:                             ;   in Loop: Header=BB2_2439 Depth=2
	v_or_b32_sdwa v1, v4, s69 dst_sel:DWORD dst_unused:UNUSED_PAD src0_sel:BYTE_3 src1_sel:DWORD
	v_cmp_eq_u64_e32 vcc, 0, v[18:19]
	v_cndmask_b32_e32 v27, v1, v27, vcc
; %bb.3279:                             ;   in Loop: Header=BB2_2439 Depth=2
	s_or_b64 exec, exec, s[20:21]
	v_lshrrev_b16_e32 v20, 8, v52
	v_lshrrev_b16_e32 v18, 8, v2
	s_and_b64 vcc, exec, s[18:19]
	v_cmp_ne_u16_e64 s[20:21], 0, v20
	s_cbranch_vccnz .LBB2_3293
; %bb.3280:                             ;   in Loop: Header=BB2_2439 Depth=2
	v_mov_b32_e32 v3, 0
	v_mov_b32_e32 v1, 0
	s_and_saveexec_b64 s[56:57], s[20:21]
	s_cbranch_execz .LBB2_3286
; %bb.3281:                             ;   in Loop: Header=BB2_2439 Depth=2
	v_cmp_ne_u16_e32 vcc, s68, v20
	v_bfrev_b32_e32 v1, 1
	s_and_saveexec_b64 s[58:59], vcc
	s_cbranch_execz .LBB2_3285
; %bb.3282:                             ;   in Loop: Header=BB2_2439 Depth=2
	v_and_b32_e32 v4, 0x7f, v20
	v_cmp_ne_u32_e32 vcc, s69, v4
	v_mov_b32_e32 v1, 0x7f800001
	s_and_saveexec_b64 s[60:61], vcc
	s_cbranch_execz .LBB2_3284
; %bb.3283:                             ;   in Loop: Header=BB2_2439 Depth=2
	v_and_b32_e32 v1, 7, v20
	v_ffbh_u32_e32 v19, v1
	v_min_u32_e32 v19, 32, v19
	v_subrev_u32_e32 v34, 28, v19
	v_lshlrev_b64 v[34:35], v34, v[20:21]
	v_lshrrev_b32_e32 v5, 3, v4
	v_sub_u32_e32 v19, 29, v19
	v_and_b32_e32 v34, 7, v34
	v_cmp_gt_u32_e32 vcc, 8, v4
	v_cndmask_b32_e32 v4, v5, v19, vcc
	v_cndmask_b32_e32 v1, v1, v34, vcc
	v_lshlrev_b32_e32 v5, 16, v52
	v_lshlrev_b32_e32 v1, 20, v1
	v_and_b32_e32 v5, 0x80000000, v5
	v_lshl_add_u32 v4, v4, 23, v49
	v_or3_b32 v1, v5, v4, v1
.LBB2_3284:                             ;   in Loop: Header=BB2_2439 Depth=2
	s_or_b64 exec, exec, s[60:61]
.LBB2_3285:                             ;   in Loop: Header=BB2_2439 Depth=2
	s_or_b64 exec, exec, s[58:59]
.LBB2_3286:                             ;   in Loop: Header=BB2_2439 Depth=2
	s_or_b64 exec, exec, s[56:57]
	v_cmp_ne_u16_e32 vcc, 0, v18
	s_and_saveexec_b64 s[56:57], vcc
	s_cbranch_execz .LBB2_3292
; %bb.3287:                             ;   in Loop: Header=BB2_2439 Depth=2
	v_cmp_ne_u16_e32 vcc, s68, v18
	v_bfrev_b32_e32 v3, 1
	s_and_saveexec_b64 s[58:59], vcc
	s_cbranch_execz .LBB2_3291
; %bb.3288:                             ;   in Loop: Header=BB2_2439 Depth=2
	v_and_b32_e32 v4, 0x7f, v18
	v_cmp_ne_u32_e32 vcc, s69, v4
	v_mov_b32_e32 v3, 0x7f800001
	s_and_saveexec_b64 s[60:61], vcc
	s_cbranch_execz .LBB2_3290
; %bb.3289:                             ;   in Loop: Header=BB2_2439 Depth=2
	v_and_b32_e32 v3, 7, v18
	v_ffbh_u32_e32 v19, v3
	v_min_u32_e32 v19, 32, v19
	v_subrev_u32_e32 v34, 28, v19
	v_lshlrev_b64 v[34:35], v34, v[18:19]
	v_lshrrev_b32_e32 v5, 3, v4
	v_sub_u32_e32 v19, 29, v19
	v_and_b32_e32 v34, 7, v34
	v_cmp_gt_u32_e32 vcc, 8, v4
	v_cndmask_b32_e32 v4, v5, v19, vcc
	v_cndmask_b32_e32 v3, v3, v34, vcc
	v_lshlrev_b32_e32 v5, 16, v2
	v_lshlrev_b32_e32 v3, 20, v3
	v_and_b32_e32 v5, 0x80000000, v5
	v_lshl_add_u32 v4, v4, 23, v49
	v_or3_b32 v3, v5, v4, v3
.LBB2_3290:                             ;   in Loop: Header=BB2_2439 Depth=2
	s_or_b64 exec, exec, s[60:61]
.LBB2_3291:                             ;   in Loop: Header=BB2_2439 Depth=2
	s_or_b64 exec, exec, s[58:59]
.LBB2_3292:                             ;   in Loop: Header=BB2_2439 Depth=2
	s_or_b64 exec, exec, s[56:57]
	v_max_f32_e32 v3, v3, v3
	v_max_f32_e32 v1, v1, v1
	v_max_f32_e32 v3, v1, v3
	s_branch .LBB2_3307
.LBB2_3293:                             ;   in Loop: Header=BB2_2439 Depth=2
                                        ; implicit-def: $vgpr3
	s_cbranch_execz .LBB2_3307
; %bb.3294:                             ;   in Loop: Header=BB2_2439 Depth=2
	v_mov_b32_e32 v3, 0
	v_mov_b32_e32 v1, 0
	s_and_saveexec_b64 s[56:57], s[20:21]
	s_cbranch_execz .LBB2_3300
; %bb.3295:                             ;   in Loop: Header=BB2_2439 Depth=2
	v_cmp_ne_u16_e32 vcc, s68, v20
	v_bfrev_b32_e32 v1, 1
	s_and_saveexec_b64 s[20:21], vcc
	s_cbranch_execz .LBB2_3299
; %bb.3296:                             ;   in Loop: Header=BB2_2439 Depth=2
	v_and_b32_e32 v4, 0x7f, v20
	v_cmp_ne_u32_e32 vcc, s69, v4
	v_mov_b32_e32 v1, 0x7f800001
	s_and_saveexec_b64 s[58:59], vcc
	s_cbranch_execz .LBB2_3298
; %bb.3297:                             ;   in Loop: Header=BB2_2439 Depth=2
	v_and_b32_e32 v1, 7, v20
	v_ffbh_u32_e32 v19, v1
	v_min_u32_e32 v19, 32, v19
	v_subrev_u32_e32 v34, 28, v19
	v_lshlrev_b64 v[34:35], v34, v[20:21]
	v_lshrrev_b32_e32 v5, 3, v4
	v_sub_u32_e32 v19, 29, v19
	v_and_b32_e32 v20, 7, v34
	v_cmp_gt_u32_e32 vcc, 8, v4
	v_cndmask_b32_e32 v4, v5, v19, vcc
	v_cndmask_b32_e32 v1, v1, v20, vcc
	v_lshlrev_b32_e32 v5, 16, v52
	v_lshlrev_b32_e32 v1, 20, v1
	v_and_b32_e32 v5, 0x80000000, v5
	v_lshl_add_u32 v4, v4, 23, v49
	v_or3_b32 v1, v5, v4, v1
.LBB2_3298:                             ;   in Loop: Header=BB2_2439 Depth=2
	s_or_b64 exec, exec, s[58:59]
.LBB2_3299:                             ;   in Loop: Header=BB2_2439 Depth=2
	s_or_b64 exec, exec, s[20:21]
.LBB2_3300:                             ;   in Loop: Header=BB2_2439 Depth=2
	s_or_b64 exec, exec, s[56:57]
	v_cmp_ne_u16_e32 vcc, 0, v18
	s_and_saveexec_b64 s[20:21], vcc
	s_cbranch_execz .LBB2_3306
; %bb.3301:                             ;   in Loop: Header=BB2_2439 Depth=2
	v_cmp_ne_u16_e32 vcc, s68, v18
	v_bfrev_b32_e32 v3, 1
	s_and_saveexec_b64 s[56:57], vcc
	s_cbranch_execz .LBB2_3305
; %bb.3302:                             ;   in Loop: Header=BB2_2439 Depth=2
	v_and_b32_e32 v4, 0x7f, v18
	v_cmp_ne_u32_e32 vcc, s69, v4
	v_mov_b32_e32 v3, 0x7f800001
	s_and_saveexec_b64 s[58:59], vcc
	s_cbranch_execz .LBB2_3304
; %bb.3303:                             ;   in Loop: Header=BB2_2439 Depth=2
	v_and_b32_e32 v3, 7, v18
	v_ffbh_u32_e32 v19, v3
	v_min_u32_e32 v20, 32, v19
	v_subrev_u32_e32 v19, 28, v20
	v_lshlrev_b64 v[18:19], v19, v[18:19]
	v_lshrrev_b32_e32 v5, 3, v4
	v_sub_u32_e32 v19, 29, v20
	v_and_b32_e32 v18, 7, v18
	v_cmp_gt_u32_e32 vcc, 8, v4
	v_cndmask_b32_e32 v4, v5, v19, vcc
	v_cndmask_b32_e32 v3, v3, v18, vcc
	v_lshlrev_b32_e32 v2, 16, v2
	v_lshlrev_b32_e32 v3, 20, v3
	v_and_b32_e32 v2, 0x80000000, v2
	v_lshl_add_u32 v4, v4, 23, v49
	v_or3_b32 v3, v2, v4, v3
.LBB2_3304:                             ;   in Loop: Header=BB2_2439 Depth=2
	s_or_b64 exec, exec, s[58:59]
.LBB2_3305:                             ;   in Loop: Header=BB2_2439 Depth=2
	s_or_b64 exec, exec, s[56:57]
.LBB2_3306:                             ;   in Loop: Header=BB2_2439 Depth=2
	s_or_b64 exec, exec, s[20:21]
	v_max_f32_e32 v2, v3, v3
	v_max_f32_e32 v1, v1, v1
	v_min_f32_e32 v3, v1, v2
.LBB2_3307:                             ;   in Loop: Header=BB2_2439 Depth=2
	v_and_b32_sdwa v1, v3, s68 dst_sel:DWORD dst_unused:UNUSED_PAD src0_sel:BYTE_3 src1_sel:DWORD
	v_and_b32_e32 v4, 0x7f800000, v3
	v_mov_b32_e32 v5, v53
	v_and_b32_e32 v52, 0x7fffff, v3
	v_or_b32_e32 v19, 0x7e, v1
	v_cmp_ne_u64_e32 vcc, s[40:41], v[4:5]
	s_and_saveexec_b64 s[20:21], vcc
	s_xor_b64 s[56:57], exec, s[20:21]
	s_cbranch_execz .LBB2_3317
; %bb.3308:                             ;   in Loop: Header=BB2_2439 Depth=2
	v_and_b32_e32 v4, 0x7fffffff, v3
	v_mov_b32_e32 v5, v53
	v_cmp_gt_u64_e32 vcc, s[42:43], v[4:5]
	s_and_saveexec_b64 s[58:59], vcc
	s_cbranch_execz .LBB2_3316
; %bb.3309:                             ;   in Loop: Header=BB2_2439 Depth=2
	v_cmp_ne_u32_e32 vcc, 0, v3
	v_mov_b32_e32 v19, 0
	s_and_saveexec_b64 s[60:61], vcc
	s_cbranch_execz .LBB2_3315
; %bb.3310:                             ;   in Loop: Header=BB2_2439 Depth=2
	v_bfe_u32 v2, v3, 23, 8
	v_sub_u32_e32 v4, 0x79, v2
	v_cmp_gt_u32_e32 vcc, s72, v2
	v_add_u32_e32 v3, 0xffffff81, v2
	v_cndmask_b32_e32 v4, 0, v4, vcc
	v_cmp_eq_u32_e32 vcc, 0, v2
	v_mov_b32_e32 v2, 0xffffff82
	v_cndmask_b32_e32 v18, v3, v2, vcc
	v_mov_b32_e32 v2, 0x78
	v_or_b32_e32 v5, 0x800000, v52
	v_cndmask_b32_e32 v4, v4, v2, vcc
	v_cndmask_b32_e32 v52, v5, v52, vcc
	v_add_u32_e32 v2, 20, v4
	v_lshlrev_b64 v[2:3], v2, -1
	v_add_u32_e32 v5, 19, v4
	v_lshrrev_b64 v[48:49], v4, v[52:53]
	v_not_b32_e32 v3, v3
	v_not_b32_e32 v2, v2
	v_lshlrev_b64 v[34:35], v5, 1
	v_lshrrev_b32_e32 v5, 23, v48
	v_and_b32_e32 v3, 0, v3
	v_and_b32_e32 v2, v52, v2
	v_add3_u32 v18, v4, v18, v5
	v_bfe_u32 v4, v48, 20, 1
	v_add_u32_e32 v4, -1, v4
	v_cmp_eq_u64_e32 vcc, v[2:3], v[34:35]
	v_cndmask_b32_e32 v2, 0, v4, vcc
	v_add_u32_e32 v2, v2, v48
	v_and_b32_e32 v2, 0xfffff, v2
	v_add_co_u32_e32 v2, vcc, v2, v48
	v_add_u32_e32 v5, 6, v18
	v_addc_co_u32_e32 v3, vcc, 0, v49, vcc
	v_cmp_ne_u32_e32 vcc, 0, v5
                                        ; implicit-def: $vgpr4
	s_and_saveexec_b64 s[20:21], vcc
	s_xor_b64 s[20:21], exec, s[20:21]
; %bb.3311:                             ;   in Loop: Header=BB2_2439 Depth=2
	v_add_u32_e32 v4, 7, v18
	v_cmp_lt_u64_e32 vcc, s[46:47], v[2:3]
	v_cndmask_b32_e32 v4, v5, v4, vcc
	v_cndmask_b32_e64 v5, 0, 1, vcc
	v_lshrrev_b64 v[2:3], v5, v[2:3]
; %bb.3312:                             ;   in Loop: Header=BB2_2439 Depth=2
	s_andn2_saveexec_b64 s[20:21], s[20:21]
; %bb.3313:                             ;   in Loop: Header=BB2_2439 Depth=2
	v_bfe_u32 v4, v2, 23, 1
; %bb.3314:                             ;   in Loop: Header=BB2_2439 Depth=2
	s_or_b64 exec, exec, s[20:21]
	v_lshrrev_b64 v[2:3], 20, v[2:3]
	v_cmp_gt_i32_e32 vcc, 16, v4
	v_cndmask_b32_e32 v3, 0, v3, vcc
	v_cndmask_b32_e32 v2, 7, v2, vcc
	v_cmp_eq_u64_e64 s[20:21], 0, v[2:3]
	v_min_i32_e32 v3, 15, v4
	v_cmp_eq_u32_e32 vcc, 0, v4
	v_lshlrev_b32_e32 v3, 3, v3
	v_and_or_b32 v2, v2, 7, v3
	s_and_b64 s[20:21], vcc, s[20:21]
	v_cndmask_b32_e64 v2, v2, 0, s[20:21]
	v_or_b32_e32 v19, v2, v1
	v_bfrev_b32_e32 v49, 60
.LBB2_3315:                             ;   in Loop: Header=BB2_2439 Depth=2
	s_or_b64 exec, exec, s[60:61]
.LBB2_3316:                             ;   in Loop: Header=BB2_2439 Depth=2
	s_or_b64 exec, exec, s[58:59]
                                        ; implicit-def: $vgpr3
.LBB2_3317:                             ;   in Loop: Header=BB2_2439 Depth=2
	s_andn2_saveexec_b64 s[20:21], s[56:57]
; %bb.3318:                             ;   in Loop: Header=BB2_2439 Depth=2
	v_or_b32_sdwa v1, v3, s69 dst_sel:DWORD dst_unused:UNUSED_PAD src0_sel:BYTE_3 src1_sel:DWORD
	v_cmp_eq_u64_e32 vcc, 0, v[52:53]
	v_cndmask_b32_e32 v19, v1, v19, vcc
; %bb.3319:                             ;   in Loop: Header=BB2_2439 Depth=2
	s_or_b64 exec, exec, s[20:21]
	v_lshrrev_b32_e32 v18, 16, v15
	v_lshrrev_b32_e32 v2, 16, v11
	s_and_b64 vcc, exec, s[18:19]
	v_cmp_ne_u16_sdwa s[20:21], v18, v53 src0_sel:BYTE_0 src1_sel:DWORD
	s_cbranch_vccnz .LBB2_3333
; %bb.3320:                             ;   in Loop: Header=BB2_2439 Depth=2
	v_mov_b32_e32 v3, 0
	v_mov_b32_e32 v1, 0
	s_and_saveexec_b64 s[56:57], s[20:21]
	s_cbranch_execz .LBB2_3326
; %bb.3321:                             ;   in Loop: Header=BB2_2439 Depth=2
	v_cmp_ne_u16_sdwa vcc, v18, s68 src0_sel:BYTE_0 src1_sel:DWORD
	v_bfrev_b32_e32 v1, 1
	s_and_saveexec_b64 s[58:59], vcc
	s_cbranch_execz .LBB2_3325
; %bb.3322:                             ;   in Loop: Header=BB2_2439 Depth=2
	v_bfe_u32 v4, v15, 16, 7
	v_cmp_ne_u32_e32 vcc, s69, v4
	v_mov_b32_e32 v1, 0x7f800001
	s_and_saveexec_b64 s[60:61], vcc
	s_cbranch_execz .LBB2_3324
; %bb.3323:                             ;   in Loop: Header=BB2_2439 Depth=2
	v_and_b32_e32 v1, 7, v18
	v_ffbh_u32_e32 v20, v1
	v_min_u32_e32 v20, 32, v20
	v_subrev_u32_e32 v34, 28, v20
	v_lshlrev_b64 v[34:35], v34, v[18:19]
	v_lshrrev_b32_e32 v5, 3, v4
	v_sub_u32_e32 v20, 29, v20
	v_and_b32_e32 v34, 7, v34
	v_cmp_gt_u32_e32 vcc, 8, v4
	v_cndmask_b32_e32 v4, v5, v20, vcc
	v_cndmask_b32_e32 v1, v1, v34, vcc
	v_lshlrev_b32_e32 v5, 24, v18
	v_lshlrev_b32_e32 v1, 20, v1
	v_and_b32_e32 v5, 0x80000000, v5
	v_lshl_add_u32 v4, v4, 23, v49
	v_or3_b32 v1, v5, v4, v1
.LBB2_3324:                             ;   in Loop: Header=BB2_2439 Depth=2
	s_or_b64 exec, exec, s[60:61]
.LBB2_3325:                             ;   in Loop: Header=BB2_2439 Depth=2
	s_or_b64 exec, exec, s[58:59]
.LBB2_3326:                             ;   in Loop: Header=BB2_2439 Depth=2
	s_or_b64 exec, exec, s[56:57]
	v_cmp_ne_u16_sdwa vcc, v2, v53 src0_sel:BYTE_0 src1_sel:DWORD
	s_and_saveexec_b64 s[56:57], vcc
	s_cbranch_execz .LBB2_3332
; %bb.3327:                             ;   in Loop: Header=BB2_2439 Depth=2
	v_cmp_ne_u16_sdwa vcc, v2, s68 src0_sel:BYTE_0 src1_sel:DWORD
	v_bfrev_b32_e32 v3, 1
	s_and_saveexec_b64 s[58:59], vcc
	s_cbranch_execz .LBB2_3331
; %bb.3328:                             ;   in Loop: Header=BB2_2439 Depth=2
	v_bfe_u32 v4, v11, 16, 7
	v_cmp_ne_u32_e32 vcc, s69, v4
	v_mov_b32_e32 v3, 0x7f800001
	s_and_saveexec_b64 s[60:61], vcc
	s_cbranch_execz .LBB2_3330
; %bb.3329:                             ;   in Loop: Header=BB2_2439 Depth=2
	v_and_b32_e32 v3, 7, v2
	v_ffbh_u32_e32 v20, v3
	v_min_u32_e32 v20, 32, v20
	v_subrev_u32_e32 v34, 28, v20
	v_lshlrev_b64 v[34:35], v34, v[2:3]
	v_lshrrev_b32_e32 v5, 3, v4
	v_sub_u32_e32 v20, 29, v20
	v_and_b32_e32 v34, 7, v34
	v_cmp_gt_u32_e32 vcc, 8, v4
	v_cndmask_b32_e32 v4, v5, v20, vcc
	v_cndmask_b32_e32 v3, v3, v34, vcc
	v_lshlrev_b32_e32 v5, 24, v2
	v_lshlrev_b32_e32 v3, 20, v3
	v_and_b32_e32 v5, 0x80000000, v5
	v_lshl_add_u32 v4, v4, 23, v49
	v_or3_b32 v3, v5, v4, v3
.LBB2_3330:                             ;   in Loop: Header=BB2_2439 Depth=2
	s_or_b64 exec, exec, s[60:61]
.LBB2_3331:                             ;   in Loop: Header=BB2_2439 Depth=2
	s_or_b64 exec, exec, s[58:59]
.LBB2_3332:                             ;   in Loop: Header=BB2_2439 Depth=2
	s_or_b64 exec, exec, s[56:57]
	v_max_f32_e32 v3, v3, v3
	v_max_f32_e32 v1, v1, v1
	;; [unrolled: 1-line block ×3, first 2 shown]
	s_branch .LBB2_3347
.LBB2_3333:                             ;   in Loop: Header=BB2_2439 Depth=2
                                        ; implicit-def: $vgpr3
	s_cbranch_execz .LBB2_3347
; %bb.3334:                             ;   in Loop: Header=BB2_2439 Depth=2
	v_mov_b32_e32 v3, 0
	v_mov_b32_e32 v1, 0
	s_and_saveexec_b64 s[56:57], s[20:21]
	s_cbranch_execz .LBB2_3340
; %bb.3335:                             ;   in Loop: Header=BB2_2439 Depth=2
	v_cmp_ne_u16_sdwa vcc, v18, s68 src0_sel:BYTE_0 src1_sel:DWORD
	v_bfrev_b32_e32 v1, 1
	s_and_saveexec_b64 s[20:21], vcc
	s_cbranch_execz .LBB2_3339
; %bb.3336:                             ;   in Loop: Header=BB2_2439 Depth=2
	v_bfe_u32 v4, v15, 16, 7
	v_cmp_ne_u32_e32 vcc, s69, v4
	v_mov_b32_e32 v1, 0x7f800001
	s_and_saveexec_b64 s[58:59], vcc
	s_cbranch_execz .LBB2_3338
; %bb.3337:                             ;   in Loop: Header=BB2_2439 Depth=2
	v_and_b32_e32 v1, 7, v18
	v_ffbh_u32_e32 v20, v1
	v_min_u32_e32 v20, 32, v20
	v_subrev_u32_e32 v34, 28, v20
	v_lshlrev_b64 v[34:35], v34, v[18:19]
	v_lshrrev_b32_e32 v5, 3, v4
	v_sub_u32_e32 v20, 29, v20
	v_and_b32_e32 v34, 7, v34
	v_cmp_gt_u32_e32 vcc, 8, v4
	v_cndmask_b32_e32 v4, v5, v20, vcc
	v_cndmask_b32_e32 v1, v1, v34, vcc
	v_lshlrev_b32_e32 v5, 24, v18
	v_lshlrev_b32_e32 v1, 20, v1
	v_and_b32_e32 v5, 0x80000000, v5
	v_lshl_add_u32 v4, v4, 23, v49
	v_or3_b32 v1, v5, v4, v1
.LBB2_3338:                             ;   in Loop: Header=BB2_2439 Depth=2
	s_or_b64 exec, exec, s[58:59]
.LBB2_3339:                             ;   in Loop: Header=BB2_2439 Depth=2
	s_or_b64 exec, exec, s[20:21]
.LBB2_3340:                             ;   in Loop: Header=BB2_2439 Depth=2
	s_or_b64 exec, exec, s[56:57]
	v_cmp_ne_u16_sdwa vcc, v2, v53 src0_sel:BYTE_0 src1_sel:DWORD
	s_and_saveexec_b64 s[20:21], vcc
	s_cbranch_execz .LBB2_3346
; %bb.3341:                             ;   in Loop: Header=BB2_2439 Depth=2
	v_cmp_ne_u16_sdwa vcc, v2, s68 src0_sel:BYTE_0 src1_sel:DWORD
	v_bfrev_b32_e32 v3, 1
	s_and_saveexec_b64 s[56:57], vcc
	s_cbranch_execz .LBB2_3345
; %bb.3342:                             ;   in Loop: Header=BB2_2439 Depth=2
	v_bfe_u32 v4, v11, 16, 7
	v_cmp_ne_u32_e32 vcc, s69, v4
	v_mov_b32_e32 v3, 0x7f800001
	s_and_saveexec_b64 s[58:59], vcc
	s_cbranch_execz .LBB2_3344
; %bb.3343:                             ;   in Loop: Header=BB2_2439 Depth=2
	v_and_b32_e32 v3, 7, v2
	v_ffbh_u32_e32 v18, v3
	v_min_u32_e32 v18, 32, v18
	v_subrev_u32_e32 v20, 28, v18
	v_lshlrev_b64 v[34:35], v20, v[2:3]
	v_lshrrev_b32_e32 v5, 3, v4
	v_sub_u32_e32 v18, 29, v18
	v_and_b32_e32 v20, 7, v34
	v_cmp_gt_u32_e32 vcc, 8, v4
	v_cndmask_b32_e32 v4, v5, v18, vcc
	v_cndmask_b32_e32 v3, v3, v20, vcc
	v_lshlrev_b32_e32 v2, 24, v2
	v_lshlrev_b32_e32 v3, 20, v3
	v_and_b32_e32 v2, 0x80000000, v2
	v_lshl_add_u32 v4, v4, 23, v49
	v_or3_b32 v3, v2, v4, v3
.LBB2_3344:                             ;   in Loop: Header=BB2_2439 Depth=2
	s_or_b64 exec, exec, s[58:59]
.LBB2_3345:                             ;   in Loop: Header=BB2_2439 Depth=2
	s_or_b64 exec, exec, s[56:57]
.LBB2_3346:                             ;   in Loop: Header=BB2_2439 Depth=2
	s_or_b64 exec, exec, s[20:21]
	v_max_f32_e32 v2, v3, v3
	v_max_f32_e32 v1, v1, v1
	v_min_f32_e32 v3, v1, v2
.LBB2_3347:                             ;   in Loop: Header=BB2_2439 Depth=2
	v_and_b32_sdwa v1, v3, s68 dst_sel:DWORD dst_unused:UNUSED_PAD src0_sel:BYTE_3 src1_sel:DWORD
	v_and_b32_e32 v4, 0x7f800000, v3
	v_mov_b32_e32 v5, v53
	v_and_b32_e32 v52, 0x7fffff, v3
	v_or_b32_e32 v20, 0x7e, v1
	v_cmp_ne_u64_e32 vcc, s[40:41], v[4:5]
	s_and_saveexec_b64 s[20:21], vcc
	s_xor_b64 s[56:57], exec, s[20:21]
	s_cbranch_execz .LBB2_3357
; %bb.3348:                             ;   in Loop: Header=BB2_2439 Depth=2
	v_and_b32_e32 v4, 0x7fffffff, v3
	v_mov_b32_e32 v5, v53
	v_cmp_gt_u64_e32 vcc, s[42:43], v[4:5]
	s_and_saveexec_b64 s[58:59], vcc
	s_cbranch_execz .LBB2_3356
; %bb.3349:                             ;   in Loop: Header=BB2_2439 Depth=2
	v_cmp_ne_u32_e32 vcc, 0, v3
	v_mov_b32_e32 v20, 0
	s_and_saveexec_b64 s[60:61], vcc
	s_cbranch_execz .LBB2_3355
; %bb.3350:                             ;   in Loop: Header=BB2_2439 Depth=2
	v_bfe_u32 v2, v3, 23, 8
	v_sub_u32_e32 v4, 0x79, v2
	v_cmp_gt_u32_e32 vcc, s72, v2
	v_add_u32_e32 v3, 0xffffff81, v2
	v_cndmask_b32_e32 v4, 0, v4, vcc
	v_cmp_eq_u32_e32 vcc, 0, v2
	v_mov_b32_e32 v2, 0xffffff82
	v_cndmask_b32_e32 v18, v3, v2, vcc
	v_mov_b32_e32 v2, 0x78
	v_or_b32_e32 v5, 0x800000, v52
	v_cndmask_b32_e32 v4, v4, v2, vcc
	v_cndmask_b32_e32 v52, v5, v52, vcc
	v_add_u32_e32 v2, 20, v4
	v_lshlrev_b64 v[2:3], v2, -1
	v_add_u32_e32 v5, 19, v4
	v_lshrrev_b64 v[48:49], v4, v[52:53]
	v_not_b32_e32 v3, v3
	v_not_b32_e32 v2, v2
	v_lshlrev_b64 v[34:35], v5, 1
	v_lshrrev_b32_e32 v5, 23, v48
	v_and_b32_e32 v3, 0, v3
	v_and_b32_e32 v2, v52, v2
	v_add3_u32 v18, v4, v18, v5
	v_bfe_u32 v4, v48, 20, 1
	v_add_u32_e32 v4, -1, v4
	v_cmp_eq_u64_e32 vcc, v[2:3], v[34:35]
	v_cndmask_b32_e32 v2, 0, v4, vcc
	v_add_u32_e32 v2, v2, v48
	v_and_b32_e32 v2, 0xfffff, v2
	v_add_co_u32_e32 v2, vcc, v2, v48
	v_add_u32_e32 v5, 6, v18
	v_addc_co_u32_e32 v3, vcc, 0, v49, vcc
	v_cmp_ne_u32_e32 vcc, 0, v5
                                        ; implicit-def: $vgpr4
	s_and_saveexec_b64 s[20:21], vcc
	s_xor_b64 s[20:21], exec, s[20:21]
; %bb.3351:                             ;   in Loop: Header=BB2_2439 Depth=2
	v_add_u32_e32 v4, 7, v18
	v_cmp_lt_u64_e32 vcc, s[46:47], v[2:3]
	v_cndmask_b32_e32 v4, v5, v4, vcc
	v_cndmask_b32_e64 v5, 0, 1, vcc
	v_lshrrev_b64 v[2:3], v5, v[2:3]
; %bb.3352:                             ;   in Loop: Header=BB2_2439 Depth=2
	s_andn2_saveexec_b64 s[20:21], s[20:21]
; %bb.3353:                             ;   in Loop: Header=BB2_2439 Depth=2
	v_bfe_u32 v4, v2, 23, 1
; %bb.3354:                             ;   in Loop: Header=BB2_2439 Depth=2
	s_or_b64 exec, exec, s[20:21]
	v_lshrrev_b64 v[2:3], 20, v[2:3]
	v_cmp_gt_i32_e32 vcc, 16, v4
	v_cndmask_b32_e32 v3, 0, v3, vcc
	v_cndmask_b32_e32 v2, 7, v2, vcc
	v_cmp_eq_u64_e64 s[20:21], 0, v[2:3]
	v_min_i32_e32 v3, 15, v4
	v_lshlrev_b32_e32 v3, 3, v3
	v_cmp_eq_u32_e32 vcc, 0, v4
	v_and_b32_e32 v3, 0xf8, v3
	v_and_or_b32 v2, v2, 7, v3
	s_and_b64 s[20:21], vcc, s[20:21]
	v_cndmask_b32_e64 v2, v2, 0, s[20:21]
	v_or_b32_e32 v20, v2, v1
	v_bfrev_b32_e32 v49, 60
.LBB2_3355:                             ;   in Loop: Header=BB2_2439 Depth=2
	s_or_b64 exec, exec, s[60:61]
.LBB2_3356:                             ;   in Loop: Header=BB2_2439 Depth=2
	s_or_b64 exec, exec, s[58:59]
                                        ; implicit-def: $vgpr3
.LBB2_3357:                             ;   in Loop: Header=BB2_2439 Depth=2
	s_andn2_saveexec_b64 s[20:21], s[56:57]
; %bb.3358:                             ;   in Loop: Header=BB2_2439 Depth=2
	v_or_b32_sdwa v1, v3, s69 dst_sel:DWORD dst_unused:UNUSED_PAD src0_sel:BYTE_3 src1_sel:DWORD
	v_cmp_eq_u64_e32 vcc, 0, v[52:53]
	v_cndmask_b32_e32 v20, v1, v20, vcc
; %bb.3359:                             ;   in Loop: Header=BB2_2439 Depth=2
	s_or_b64 exec, exec, s[20:21]
	v_lshrrev_b32_e32 v18, 24, v15
	v_lshrrev_b32_e32 v2, 24, v11
	s_and_b64 vcc, exec, s[18:19]
	v_cmp_lt_u64_e64 s[20:21], s[44:45], v[14:15]
	s_cbranch_vccnz .LBB2_3373
; %bb.3360:                             ;   in Loop: Header=BB2_2439 Depth=2
	v_mov_b32_e32 v3, 0
	v_mov_b32_e32 v1, 0
	s_and_saveexec_b64 s[56:57], s[20:21]
	s_cbranch_execz .LBB2_3366
; %bb.3361:                             ;   in Loop: Header=BB2_2439 Depth=2
	v_cmp_ne_u32_e32 vcc, s68, v18
	v_bfrev_b32_e32 v1, 1
	s_and_saveexec_b64 s[58:59], vcc
	s_cbranch_execz .LBB2_3365
; %bb.3362:                             ;   in Loop: Header=BB2_2439 Depth=2
	v_bfe_u32 v4, v15, 24, 7
	v_cmp_ne_u32_e32 vcc, s69, v4
	v_mov_b32_e32 v1, 0x7f800001
	s_and_saveexec_b64 s[60:61], vcc
	s_cbranch_execz .LBB2_3364
; %bb.3363:                             ;   in Loop: Header=BB2_2439 Depth=2
	v_and_b32_e32 v1, 7, v18
	v_ffbh_u32_e32 v14, v1
	v_min_u32_e32 v14, 32, v14
	v_subrev_u32_e32 v34, 28, v14
	v_lshlrev_b64 v[34:35], v34, v[18:19]
	v_lshrrev_b32_e32 v5, 3, v4
	v_sub_u32_e32 v14, 29, v14
	v_and_b32_e32 v34, 7, v34
	v_cmp_gt_u32_e32 vcc, 8, v4
	v_cndmask_b32_e32 v4, v5, v14, vcc
	v_cndmask_b32_e32 v1, v1, v34, vcc
	v_lshlrev_b32_e32 v5, 24, v18
	v_lshlrev_b32_e32 v1, 20, v1
	v_and_b32_e32 v5, 0x80000000, v5
	v_lshl_add_u32 v4, v4, 23, v49
	v_or3_b32 v1, v5, v4, v1
.LBB2_3364:                             ;   in Loop: Header=BB2_2439 Depth=2
	s_or_b64 exec, exec, s[60:61]
.LBB2_3365:                             ;   in Loop: Header=BB2_2439 Depth=2
	s_or_b64 exec, exec, s[58:59]
.LBB2_3366:                             ;   in Loop: Header=BB2_2439 Depth=2
	s_or_b64 exec, exec, s[56:57]
	v_cmp_lt_u64_e32 vcc, s[44:45], v[10:11]
	s_and_saveexec_b64 s[56:57], vcc
	s_cbranch_execz .LBB2_3372
; %bb.3367:                             ;   in Loop: Header=BB2_2439 Depth=2
	v_cmp_ne_u32_e32 vcc, s68, v2
	v_bfrev_b32_e32 v3, 1
	s_and_saveexec_b64 s[58:59], vcc
	s_cbranch_execz .LBB2_3371
; %bb.3368:                             ;   in Loop: Header=BB2_2439 Depth=2
	v_bfe_u32 v4, v11, 24, 7
	v_cmp_ne_u32_e32 vcc, s69, v4
	v_mov_b32_e32 v3, 0x7f800001
	s_and_saveexec_b64 s[60:61], vcc
	s_cbranch_execz .LBB2_3370
; %bb.3369:                             ;   in Loop: Header=BB2_2439 Depth=2
	v_and_b32_e32 v3, 7, v2
	v_ffbh_u32_e32 v14, v3
	v_min_u32_e32 v14, 32, v14
	v_subrev_u32_e32 v34, 28, v14
	v_lshlrev_b64 v[34:35], v34, v[2:3]
	v_lshrrev_b32_e32 v5, 3, v4
	v_sub_u32_e32 v14, 29, v14
	v_and_b32_e32 v34, 7, v34
	v_cmp_gt_u32_e32 vcc, 8, v4
	v_cndmask_b32_e32 v4, v5, v14, vcc
	v_cndmask_b32_e32 v3, v3, v34, vcc
	v_lshlrev_b32_e32 v5, 24, v2
	v_lshlrev_b32_e32 v3, 20, v3
	v_and_b32_e32 v5, 0x80000000, v5
	v_lshl_add_u32 v4, v4, 23, v49
	v_or3_b32 v3, v5, v4, v3
.LBB2_3370:                             ;   in Loop: Header=BB2_2439 Depth=2
	s_or_b64 exec, exec, s[60:61]
.LBB2_3371:                             ;   in Loop: Header=BB2_2439 Depth=2
	s_or_b64 exec, exec, s[58:59]
.LBB2_3372:                             ;   in Loop: Header=BB2_2439 Depth=2
	s_or_b64 exec, exec, s[56:57]
	v_max_f32_e32 v3, v3, v3
	v_max_f32_e32 v1, v1, v1
	;; [unrolled: 1-line block ×3, first 2 shown]
	s_branch .LBB2_3387
.LBB2_3373:                             ;   in Loop: Header=BB2_2439 Depth=2
                                        ; implicit-def: $vgpr3
	s_cbranch_execz .LBB2_3387
; %bb.3374:                             ;   in Loop: Header=BB2_2439 Depth=2
	v_mov_b32_e32 v3, 0
	v_mov_b32_e32 v1, 0
	s_and_saveexec_b64 s[56:57], s[20:21]
	s_cbranch_execz .LBB2_3380
; %bb.3375:                             ;   in Loop: Header=BB2_2439 Depth=2
	v_cmp_ne_u32_e32 vcc, s68, v18
	v_bfrev_b32_e32 v1, 1
	s_and_saveexec_b64 s[20:21], vcc
	s_cbranch_execz .LBB2_3379
; %bb.3376:                             ;   in Loop: Header=BB2_2439 Depth=2
	v_bfe_u32 v4, v15, 24, 7
	v_cmp_ne_u32_e32 vcc, s69, v4
	v_mov_b32_e32 v1, 0x7f800001
	s_and_saveexec_b64 s[58:59], vcc
	s_cbranch_execz .LBB2_3378
; %bb.3377:                             ;   in Loop: Header=BB2_2439 Depth=2
	v_and_b32_e32 v1, 7, v18
	v_ffbh_u32_e32 v14, v1
	v_min_u32_e32 v34, 32, v14
	v_subrev_u32_e32 v14, 28, v34
	v_lshlrev_b64 v[14:15], v14, v[18:19]
	v_lshrrev_b32_e32 v5, 3, v4
	v_sub_u32_e32 v15, 29, v34
	v_and_b32_e32 v14, 7, v14
	v_cmp_gt_u32_e32 vcc, 8, v4
	v_cndmask_b32_e32 v4, v5, v15, vcc
	v_cndmask_b32_e32 v1, v1, v14, vcc
	v_lshlrev_b32_e32 v5, 24, v18
	v_lshlrev_b32_e32 v1, 20, v1
	v_and_b32_e32 v5, 0x80000000, v5
	v_lshl_add_u32 v4, v4, 23, v49
	v_or3_b32 v1, v5, v4, v1
.LBB2_3378:                             ;   in Loop: Header=BB2_2439 Depth=2
	s_or_b64 exec, exec, s[58:59]
.LBB2_3379:                             ;   in Loop: Header=BB2_2439 Depth=2
	s_or_b64 exec, exec, s[20:21]
.LBB2_3380:                             ;   in Loop: Header=BB2_2439 Depth=2
	s_or_b64 exec, exec, s[56:57]
	v_cmp_lt_u64_e32 vcc, s[44:45], v[10:11]
	s_and_saveexec_b64 s[20:21], vcc
	s_cbranch_execz .LBB2_3386
; %bb.3381:                             ;   in Loop: Header=BB2_2439 Depth=2
	v_cmp_ne_u32_e32 vcc, s68, v2
	v_bfrev_b32_e32 v3, 1
	s_and_saveexec_b64 s[56:57], vcc
	s_cbranch_execz .LBB2_3385
; %bb.3382:                             ;   in Loop: Header=BB2_2439 Depth=2
	v_bfe_u32 v4, v11, 24, 7
	v_cmp_ne_u32_e32 vcc, s69, v4
	v_mov_b32_e32 v3, 0x7f800001
	s_and_saveexec_b64 s[58:59], vcc
	s_cbranch_execz .LBB2_3384
; %bb.3383:                             ;   in Loop: Header=BB2_2439 Depth=2
	v_and_b32_e32 v3, 7, v2
	v_ffbh_u32_e32 v10, v3
	v_min_u32_e32 v14, 32, v10
	v_subrev_u32_e32 v10, 28, v14
	v_lshlrev_b64 v[10:11], v10, v[2:3]
	v_lshrrev_b32_e32 v5, 3, v4
	v_sub_u32_e32 v11, 29, v14
	v_and_b32_e32 v10, 7, v10
	v_cmp_gt_u32_e32 vcc, 8, v4
	v_cndmask_b32_e32 v4, v5, v11, vcc
	v_cndmask_b32_e32 v3, v3, v10, vcc
	v_lshlrev_b32_e32 v2, 24, v2
	v_lshlrev_b32_e32 v3, 20, v3
	v_and_b32_e32 v2, 0x80000000, v2
	v_lshl_add_u32 v4, v4, 23, v49
	v_or3_b32 v3, v2, v4, v3
.LBB2_3384:                             ;   in Loop: Header=BB2_2439 Depth=2
	s_or_b64 exec, exec, s[58:59]
.LBB2_3385:                             ;   in Loop: Header=BB2_2439 Depth=2
	s_or_b64 exec, exec, s[56:57]
.LBB2_3386:                             ;   in Loop: Header=BB2_2439 Depth=2
	s_or_b64 exec, exec, s[20:21]
	v_max_f32_e32 v2, v3, v3
	v_max_f32_e32 v1, v1, v1
	v_min_f32_e32 v3, v1, v2
.LBB2_3387:                             ;   in Loop: Header=BB2_2439 Depth=2
	v_and_b32_sdwa v1, v3, s68 dst_sel:DWORD dst_unused:UNUSED_PAD src0_sel:BYTE_3 src1_sel:DWORD
	v_and_b32_e32 v4, 0x7f800000, v3
	v_mov_b32_e32 v5, v53
	v_and_b32_e32 v52, 0x7fffff, v3
	v_or_b32_e32 v15, 0x7e, v1
	v_cmp_ne_u64_e32 vcc, s[40:41], v[4:5]
	s_and_saveexec_b64 s[20:21], vcc
	s_xor_b64 s[56:57], exec, s[20:21]
	s_cbranch_execnz .LBB2_3403
; %bb.3388:                             ;   in Loop: Header=BB2_2439 Depth=2
	s_andn2_saveexec_b64 s[20:21], s[56:57]
	s_cbranch_execnz .LBB2_3412
.LBB2_3389:                             ;   in Loop: Header=BB2_2439 Depth=2
	s_or_b64 exec, exec, s[20:21]
	s_and_b64 vcc, exec, s[18:19]
	v_cmp_ne_u16_sdwa s[20:21], v16, v53 src0_sel:BYTE_0 src1_sel:DWORD
	s_cbranch_vccnz .LBB2_3413
.LBB2_3390:                             ;   in Loop: Header=BB2_2439 Depth=2
	v_mov_b32_e32 v2, 0
	v_mov_b32_e32 v1, 0
	s_and_saveexec_b64 s[56:57], s[20:21]
	s_cbranch_execz .LBB2_3396
; %bb.3391:                             ;   in Loop: Header=BB2_2439 Depth=2
	v_cmp_ne_u16_sdwa vcc, v16, s68 src0_sel:BYTE_0 src1_sel:DWORD
	v_bfrev_b32_e32 v1, 1
	s_and_saveexec_b64 s[58:59], vcc
	s_cbranch_execz .LBB2_3395
; %bb.3392:                             ;   in Loop: Header=BB2_2439 Depth=2
	v_and_b32_e32 v3, 0x7f, v16
	v_cmp_ne_u32_e32 vcc, s69, v3
	v_mov_b32_e32 v1, 0x7f800001
	s_and_saveexec_b64 s[60:61], vcc
	s_cbranch_execz .LBB2_3394
; %bb.3393:                             ;   in Loop: Header=BB2_2439 Depth=2
	v_and_b32_e32 v1, 7, v16
	v_ffbh_u32_e32 v1, v1
	v_min_u32_e32 v1, 32, v1
	v_subrev_u32_e32 v5, 28, v1
	v_cmp_gt_u32_e32 vcc, 8, v3
	v_lshrrev_b32_e32 v4, 3, v3
	v_sub_u32_e32 v1, 29, v1
	v_cndmask_b32_e32 v3, 0, v5, vcc
	v_cndmask_b32_e32 v1, v4, v1, vcc
	v_lshlrev_b64 v[4:5], v3, v[16:17]
	v_lshlrev_b32_e32 v3, 20, v4
	v_lshlrev_b32_e32 v4, 24, v16
	v_and_b32_e32 v3, 0x700000, v3
	v_and_b32_e32 v4, 0x80000000, v4
	v_lshl_add_u32 v1, v1, 23, v49
	v_or3_b32 v1, v4, v1, v3
.LBB2_3394:                             ;   in Loop: Header=BB2_2439 Depth=2
	s_or_b64 exec, exec, s[60:61]
.LBB2_3395:                             ;   in Loop: Header=BB2_2439 Depth=2
	s_or_b64 exec, exec, s[58:59]
.LBB2_3396:                             ;   in Loop: Header=BB2_2439 Depth=2
	s_or_b64 exec, exec, s[56:57]
	v_cmp_ne_u16_sdwa vcc, v12, v53 src0_sel:BYTE_0 src1_sel:DWORD
	s_and_saveexec_b64 s[56:57], vcc
	s_cbranch_execz .LBB2_3402
; %bb.3397:                             ;   in Loop: Header=BB2_2439 Depth=2
	v_cmp_ne_u16_sdwa vcc, v12, s68 src0_sel:BYTE_0 src1_sel:DWORD
	v_bfrev_b32_e32 v2, 1
	s_and_saveexec_b64 s[58:59], vcc
	s_cbranch_execz .LBB2_3401
; %bb.3398:                             ;   in Loop: Header=BB2_2439 Depth=2
	v_and_b32_e32 v3, 0x7f, v12
	v_cmp_ne_u32_e32 vcc, s69, v3
	v_mov_b32_e32 v2, 0x7f800001
	s_and_saveexec_b64 s[60:61], vcc
	s_cbranch_execz .LBB2_3400
; %bb.3399:                             ;   in Loop: Header=BB2_2439 Depth=2
	v_and_b32_e32 v2, 7, v12
	v_ffbh_u32_e32 v2, v2
	v_min_u32_e32 v2, 32, v2
	v_lshrrev_b32_e32 v4, 3, v3
	v_subrev_u32_e32 v5, 28, v2
	v_sub_u32_e32 v2, 29, v2
	v_cmp_gt_u32_e32 vcc, 8, v3
	v_cndmask_b32_e32 v4, v4, v2, vcc
	v_cndmask_b32_e32 v2, 0, v5, vcc
	v_lshlrev_b64 v[2:3], v2, v[12:13]
	v_lshlrev_b32_e32 v2, 20, v2
	v_lshlrev_b32_e32 v3, 24, v12
	v_and_b32_e32 v2, 0x700000, v2
	v_and_b32_e32 v3, 0x80000000, v3
	v_lshl_add_u32 v4, v4, 23, v49
	v_or3_b32 v2, v3, v4, v2
.LBB2_3400:                             ;   in Loop: Header=BB2_2439 Depth=2
	s_or_b64 exec, exec, s[60:61]
.LBB2_3401:                             ;   in Loop: Header=BB2_2439 Depth=2
	s_or_b64 exec, exec, s[58:59]
.LBB2_3402:                             ;   in Loop: Header=BB2_2439 Depth=2
	s_or_b64 exec, exec, s[56:57]
	v_max_f32_e32 v2, v2, v2
	v_max_f32_e32 v1, v1, v1
	;; [unrolled: 1-line block ×3, first 2 shown]
	s_branch .LBB2_3427
.LBB2_3403:                             ;   in Loop: Header=BB2_2439 Depth=2
	v_and_b32_e32 v4, 0x7fffffff, v3
	v_mov_b32_e32 v5, v53
	v_cmp_gt_u64_e32 vcc, s[42:43], v[4:5]
	s_and_saveexec_b64 s[58:59], vcc
	s_cbranch_execz .LBB2_3411
; %bb.3404:                             ;   in Loop: Header=BB2_2439 Depth=2
	v_cmp_ne_u32_e32 vcc, 0, v3
	v_mov_b32_e32 v15, 0
	s_and_saveexec_b64 s[60:61], vcc
	s_cbranch_execz .LBB2_3410
; %bb.3405:                             ;   in Loop: Header=BB2_2439 Depth=2
	v_bfe_u32 v2, v3, 23, 8
	v_sub_u32_e32 v4, 0x79, v2
	v_cmp_gt_u32_e32 vcc, s72, v2
	v_add_u32_e32 v3, 0xffffff81, v2
	v_cndmask_b32_e32 v4, 0, v4, vcc
	v_cmp_eq_u32_e32 vcc, 0, v2
	v_mov_b32_e32 v2, 0xffffff82
	v_cndmask_b32_e32 v10, v3, v2, vcc
	v_mov_b32_e32 v2, 0x78
	v_or_b32_e32 v5, 0x800000, v52
	v_cndmask_b32_e32 v4, v4, v2, vcc
	v_cndmask_b32_e32 v52, v5, v52, vcc
	v_add_u32_e32 v2, 20, v4
	v_lshlrev_b64 v[2:3], v2, -1
	v_add_u32_e32 v5, 19, v4
	v_lshrrev_b64 v[34:35], v4, v[52:53]
	v_not_b32_e32 v3, v3
	v_not_b32_e32 v2, v2
	v_lshlrev_b64 v[14:15], v5, 1
	v_lshrrev_b32_e32 v5, 23, v34
	v_and_b32_e32 v3, 0, v3
	v_and_b32_e32 v2, v52, v2
	v_add3_u32 v10, v4, v10, v5
	v_bfe_u32 v4, v34, 20, 1
	v_add_u32_e32 v4, -1, v4
	v_cmp_eq_u64_e32 vcc, v[2:3], v[14:15]
	v_cndmask_b32_e32 v2, 0, v4, vcc
	v_add_u32_e32 v2, v2, v34
	v_and_b32_e32 v2, 0xfffff, v2
	v_add_co_u32_e32 v2, vcc, v2, v34
	v_add_u32_e32 v5, 6, v10
	v_addc_co_u32_e32 v3, vcc, 0, v35, vcc
	v_cmp_ne_u32_e32 vcc, 0, v5
                                        ; implicit-def: $vgpr4
	s_and_saveexec_b64 s[20:21], vcc
	s_xor_b64 s[20:21], exec, s[20:21]
; %bb.3406:                             ;   in Loop: Header=BB2_2439 Depth=2
	v_add_u32_e32 v4, 7, v10
	v_cmp_lt_u64_e32 vcc, s[46:47], v[2:3]
	v_cndmask_b32_e32 v4, v5, v4, vcc
	v_cndmask_b32_e64 v5, 0, 1, vcc
	v_lshrrev_b64 v[2:3], v5, v[2:3]
; %bb.3407:                             ;   in Loop: Header=BB2_2439 Depth=2
	s_andn2_saveexec_b64 s[20:21], s[20:21]
; %bb.3408:                             ;   in Loop: Header=BB2_2439 Depth=2
	v_bfe_u32 v4, v2, 23, 1
; %bb.3409:                             ;   in Loop: Header=BB2_2439 Depth=2
	s_or_b64 exec, exec, s[20:21]
	v_lshrrev_b64 v[2:3], 20, v[2:3]
	v_cmp_gt_i32_e32 vcc, 16, v4
	v_cndmask_b32_e32 v3, 0, v3, vcc
	v_cndmask_b32_e32 v2, 7, v2, vcc
	v_cmp_eq_u64_e64 s[20:21], 0, v[2:3]
	v_min_i32_e32 v3, 15, v4
	v_lshlrev_b32_e32 v3, 3, v3
	v_cmp_eq_u32_e32 vcc, 0, v4
	v_and_b32_e32 v3, 0xf8, v3
	v_and_or_b32 v2, v2, 7, v3
	s_and_b64 s[20:21], vcc, s[20:21]
	v_cndmask_b32_e64 v2, v2, 0, s[20:21]
	v_or_b32_e32 v15, v2, v1
.LBB2_3410:                             ;   in Loop: Header=BB2_2439 Depth=2
	s_or_b64 exec, exec, s[60:61]
.LBB2_3411:                             ;   in Loop: Header=BB2_2439 Depth=2
	s_or_b64 exec, exec, s[58:59]
                                        ; implicit-def: $vgpr3
	s_andn2_saveexec_b64 s[20:21], s[56:57]
	s_cbranch_execz .LBB2_3389
.LBB2_3412:                             ;   in Loop: Header=BB2_2439 Depth=2
	v_or_b32_sdwa v1, v3, s69 dst_sel:DWORD dst_unused:UNUSED_PAD src0_sel:BYTE_3 src1_sel:DWORD
	v_cmp_eq_u64_e32 vcc, 0, v[52:53]
	v_cndmask_b32_e32 v15, v1, v15, vcc
	s_or_b64 exec, exec, s[20:21]
	s_and_b64 vcc, exec, s[18:19]
	v_cmp_ne_u16_sdwa s[20:21], v16, v53 src0_sel:BYTE_0 src1_sel:DWORD
	s_cbranch_vccz .LBB2_3390
.LBB2_3413:                             ;   in Loop: Header=BB2_2439 Depth=2
                                        ; implicit-def: $vgpr2
	s_cbranch_execz .LBB2_3427
; %bb.3414:                             ;   in Loop: Header=BB2_2439 Depth=2
	v_mov_b32_e32 v2, 0
	v_mov_b32_e32 v1, 0
	s_and_saveexec_b64 s[56:57], s[20:21]
	s_cbranch_execz .LBB2_3420
; %bb.3415:                             ;   in Loop: Header=BB2_2439 Depth=2
	v_cmp_ne_u16_sdwa vcc, v16, s68 src0_sel:BYTE_0 src1_sel:DWORD
	v_bfrev_b32_e32 v1, 1
	s_and_saveexec_b64 s[20:21], vcc
	s_cbranch_execz .LBB2_3419
; %bb.3416:                             ;   in Loop: Header=BB2_2439 Depth=2
	v_and_b32_e32 v3, 0x7f, v16
	v_cmp_ne_u32_e32 vcc, s69, v3
	v_mov_b32_e32 v1, 0x7f800001
	s_and_saveexec_b64 s[58:59], vcc
	s_cbranch_execz .LBB2_3418
; %bb.3417:                             ;   in Loop: Header=BB2_2439 Depth=2
	v_and_b32_e32 v1, 7, v16
	v_ffbh_u32_e32 v1, v1
	v_min_u32_e32 v1, 32, v1
	v_subrev_u32_e32 v5, 28, v1
	v_cmp_gt_u32_e32 vcc, 8, v3
	v_lshrrev_b32_e32 v4, 3, v3
	v_sub_u32_e32 v1, 29, v1
	v_cndmask_b32_e32 v3, 0, v5, vcc
	v_cndmask_b32_e32 v1, v4, v1, vcc
	v_lshlrev_b64 v[4:5], v3, v[16:17]
	v_lshlrev_b32_e32 v3, 20, v4
	v_lshlrev_b32_e32 v4, 24, v16
	v_and_b32_e32 v3, 0x700000, v3
	v_and_b32_e32 v4, 0x80000000, v4
	v_lshl_add_u32 v1, v1, 23, v49
	v_or3_b32 v1, v4, v1, v3
.LBB2_3418:                             ;   in Loop: Header=BB2_2439 Depth=2
	s_or_b64 exec, exec, s[58:59]
.LBB2_3419:                             ;   in Loop: Header=BB2_2439 Depth=2
	s_or_b64 exec, exec, s[20:21]
.LBB2_3420:                             ;   in Loop: Header=BB2_2439 Depth=2
	s_or_b64 exec, exec, s[56:57]
	v_cmp_ne_u16_sdwa vcc, v12, v53 src0_sel:BYTE_0 src1_sel:DWORD
	s_and_saveexec_b64 s[20:21], vcc
	s_cbranch_execz .LBB2_3426
; %bb.3421:                             ;   in Loop: Header=BB2_2439 Depth=2
	v_cmp_ne_u16_sdwa vcc, v12, s68 src0_sel:BYTE_0 src1_sel:DWORD
	v_bfrev_b32_e32 v2, 1
	s_and_saveexec_b64 s[56:57], vcc
	s_cbranch_execz .LBB2_3425
; %bb.3422:                             ;   in Loop: Header=BB2_2439 Depth=2
	v_and_b32_e32 v3, 0x7f, v12
	v_cmp_ne_u32_e32 vcc, s69, v3
	v_mov_b32_e32 v2, 0x7f800001
	s_and_saveexec_b64 s[58:59], vcc
	s_cbranch_execz .LBB2_3424
; %bb.3423:                             ;   in Loop: Header=BB2_2439 Depth=2
	v_and_b32_e32 v2, 7, v12
	v_ffbh_u32_e32 v2, v2
	v_min_u32_e32 v2, 32, v2
	v_lshrrev_b32_e32 v4, 3, v3
	v_subrev_u32_e32 v5, 28, v2
	v_sub_u32_e32 v2, 29, v2
	v_cmp_gt_u32_e32 vcc, 8, v3
	v_cndmask_b32_e32 v4, v4, v2, vcc
	v_cndmask_b32_e32 v2, 0, v5, vcc
	v_lshlrev_b64 v[2:3], v2, v[12:13]
	v_lshlrev_b32_e32 v2, 20, v2
	v_lshlrev_b32_e32 v3, 24, v12
	v_and_b32_e32 v2, 0x700000, v2
	v_and_b32_e32 v3, 0x80000000, v3
	v_lshl_add_u32 v4, v4, 23, v49
	v_or3_b32 v2, v3, v4, v2
.LBB2_3424:                             ;   in Loop: Header=BB2_2439 Depth=2
	s_or_b64 exec, exec, s[58:59]
.LBB2_3425:                             ;   in Loop: Header=BB2_2439 Depth=2
	s_or_b64 exec, exec, s[56:57]
.LBB2_3426:                             ;   in Loop: Header=BB2_2439 Depth=2
	s_or_b64 exec, exec, s[20:21]
	v_max_f32_e32 v2, v2, v2
	v_max_f32_e32 v1, v1, v1
	v_min_f32_e32 v2, v1, v2
.LBB2_3427:                             ;   in Loop: Header=BB2_2439 Depth=2
	v_and_b32_sdwa v1, v2, s68 dst_sel:DWORD dst_unused:UNUSED_PAD src0_sel:BYTE_3 src1_sel:DWORD
	v_and_b32_e32 v4, 0x7f800000, v2
	v_mov_b32_e32 v5, v53
	v_and_b32_e32 v52, 0x7fffff, v2
	v_or_b32_e32 v18, 0x7e, v1
	v_cmp_ne_u64_e32 vcc, s[40:41], v[4:5]
	s_and_saveexec_b64 s[20:21], vcc
	s_xor_b64 s[56:57], exec, s[20:21]
	s_cbranch_execz .LBB2_3437
; %bb.3428:                             ;   in Loop: Header=BB2_2439 Depth=2
	v_and_b32_e32 v4, 0x7fffffff, v2
	v_mov_b32_e32 v5, v53
	v_cmp_gt_u64_e32 vcc, s[42:43], v[4:5]
	s_and_saveexec_b64 s[58:59], vcc
	s_cbranch_execz .LBB2_3436
; %bb.3429:                             ;   in Loop: Header=BB2_2439 Depth=2
	v_cmp_ne_u32_e32 vcc, 0, v2
	v_mov_b32_e32 v18, 0
	s_and_saveexec_b64 s[60:61], vcc
	s_cbranch_execz .LBB2_3435
; %bb.3430:                             ;   in Loop: Header=BB2_2439 Depth=2
	v_bfe_u32 v2, v2, 23, 8
	v_sub_u32_e32 v4, 0x79, v2
	v_cmp_gt_u32_e32 vcc, s72, v2
	v_add_u32_e32 v3, 0xffffff81, v2
	v_cndmask_b32_e32 v4, 0, v4, vcc
	v_cmp_eq_u32_e32 vcc, 0, v2
	v_mov_b32_e32 v2, 0xffffff82
	v_cndmask_b32_e32 v10, v3, v2, vcc
	v_mov_b32_e32 v2, 0x78
	v_or_b32_e32 v5, 0x800000, v52
	v_cndmask_b32_e32 v4, v4, v2, vcc
	v_cndmask_b32_e32 v52, v5, v52, vcc
	v_add_u32_e32 v2, 20, v4
	v_lshlrev_b64 v[2:3], v2, -1
	v_add_u32_e32 v5, 19, v4
	v_lshrrev_b64 v[48:49], v4, v[52:53]
	v_not_b32_e32 v3, v3
	v_not_b32_e32 v2, v2
	v_lshlrev_b64 v[34:35], v5, 1
	v_lshrrev_b32_e32 v5, 23, v48
	v_and_b32_e32 v3, 0, v3
	v_and_b32_e32 v2, v52, v2
	v_add3_u32 v10, v4, v10, v5
	v_bfe_u32 v4, v48, 20, 1
	v_add_u32_e32 v4, -1, v4
	v_cmp_eq_u64_e32 vcc, v[2:3], v[34:35]
	v_cndmask_b32_e32 v2, 0, v4, vcc
	v_add_u32_e32 v2, v2, v48
	v_and_b32_e32 v2, 0xfffff, v2
	v_add_co_u32_e32 v2, vcc, v2, v48
	v_add_u32_e32 v5, 6, v10
	v_addc_co_u32_e32 v3, vcc, 0, v49, vcc
	v_cmp_ne_u32_e32 vcc, 0, v5
                                        ; implicit-def: $vgpr4
	s_and_saveexec_b64 s[20:21], vcc
	s_xor_b64 s[20:21], exec, s[20:21]
; %bb.3431:                             ;   in Loop: Header=BB2_2439 Depth=2
	v_add_u32_e32 v4, 7, v10
	v_cmp_lt_u64_e32 vcc, s[46:47], v[2:3]
	v_cndmask_b32_e32 v4, v5, v4, vcc
	v_cndmask_b32_e64 v5, 0, 1, vcc
	v_lshrrev_b64 v[2:3], v5, v[2:3]
; %bb.3432:                             ;   in Loop: Header=BB2_2439 Depth=2
	s_andn2_saveexec_b64 s[20:21], s[20:21]
; %bb.3433:                             ;   in Loop: Header=BB2_2439 Depth=2
	v_bfe_u32 v4, v2, 23, 1
; %bb.3434:                             ;   in Loop: Header=BB2_2439 Depth=2
	s_or_b64 exec, exec, s[20:21]
	v_lshrrev_b64 v[2:3], 20, v[2:3]
	v_cmp_gt_i32_e32 vcc, 16, v4
	v_cndmask_b32_e32 v3, 0, v3, vcc
	v_cndmask_b32_e32 v2, 7, v2, vcc
	v_cmp_eq_u64_e64 s[20:21], 0, v[2:3]
	v_min_i32_e32 v3, 15, v4
	v_cmp_eq_u32_e32 vcc, 0, v4
	v_lshlrev_b32_e32 v3, 3, v3
	v_and_or_b32 v2, v2, 7, v3
	s_and_b64 s[20:21], vcc, s[20:21]
	v_cndmask_b32_e64 v2, v2, 0, s[20:21]
	v_or_b32_e32 v18, v2, v1
	v_bfrev_b32_e32 v49, 60
.LBB2_3435:                             ;   in Loop: Header=BB2_2439 Depth=2
	s_or_b64 exec, exec, s[60:61]
.LBB2_3436:                             ;   in Loop: Header=BB2_2439 Depth=2
	s_or_b64 exec, exec, s[58:59]
                                        ; implicit-def: $vgpr2
.LBB2_3437:                             ;   in Loop: Header=BB2_2439 Depth=2
	s_andn2_saveexec_b64 s[20:21], s[56:57]
; %bb.3438:                             ;   in Loop: Header=BB2_2439 Depth=2
	v_or_b32_sdwa v1, v2, s69 dst_sel:DWORD dst_unused:UNUSED_PAD src0_sel:BYTE_3 src1_sel:DWORD
	v_cmp_eq_u64_e32 vcc, 0, v[52:53]
	v_cndmask_b32_e32 v18, v1, v18, vcc
; %bb.3439:                             ;   in Loop: Header=BB2_2439 Depth=2
	s_or_b64 exec, exec, s[20:21]
	v_lshrrev_b16_e32 v10, 8, v16
	v_lshrrev_b16_e32 v2, 8, v12
	s_and_b64 vcc, exec, s[18:19]
	v_cmp_ne_u16_e64 s[20:21], 0, v10
	s_cbranch_vccnz .LBB2_3453
; %bb.3440:                             ;   in Loop: Header=BB2_2439 Depth=2
	v_mov_b32_e32 v3, 0
	v_mov_b32_e32 v1, 0
	s_and_saveexec_b64 s[56:57], s[20:21]
	s_cbranch_execz .LBB2_3446
; %bb.3441:                             ;   in Loop: Header=BB2_2439 Depth=2
	v_cmp_ne_u16_e32 vcc, s68, v10
	v_bfrev_b32_e32 v1, 1
	s_and_saveexec_b64 s[58:59], vcc
	s_cbranch_execz .LBB2_3445
; %bb.3442:                             ;   in Loop: Header=BB2_2439 Depth=2
	v_and_b32_e32 v4, 0x7f, v10
	v_cmp_ne_u32_e32 vcc, s69, v4
	v_mov_b32_e32 v1, 0x7f800001
	s_and_saveexec_b64 s[60:61], vcc
	s_cbranch_execz .LBB2_3444
; %bb.3443:                             ;   in Loop: Header=BB2_2439 Depth=2
	v_and_b32_e32 v1, 7, v10
	v_ffbh_u32_e32 v11, v1
	v_min_u32_e32 v11, 32, v11
	v_subrev_u32_e32 v14, 28, v11
	v_lshlrev_b64 v[34:35], v14, v[10:11]
	v_lshrrev_b32_e32 v5, 3, v4
	v_sub_u32_e32 v11, 29, v11
	v_and_b32_e32 v14, 7, v34
	v_cmp_gt_u32_e32 vcc, 8, v4
	v_cndmask_b32_e32 v4, v5, v11, vcc
	v_cndmask_b32_e32 v1, v1, v14, vcc
	v_lshlrev_b32_e32 v5, 16, v16
	v_lshlrev_b32_e32 v1, 20, v1
	v_and_b32_e32 v5, 0x80000000, v5
	v_lshl_add_u32 v4, v4, 23, v49
	v_or3_b32 v1, v5, v4, v1
.LBB2_3444:                             ;   in Loop: Header=BB2_2439 Depth=2
	s_or_b64 exec, exec, s[60:61]
.LBB2_3445:                             ;   in Loop: Header=BB2_2439 Depth=2
	s_or_b64 exec, exec, s[58:59]
.LBB2_3446:                             ;   in Loop: Header=BB2_2439 Depth=2
	s_or_b64 exec, exec, s[56:57]
	v_cmp_ne_u16_e32 vcc, 0, v2
	s_and_saveexec_b64 s[56:57], vcc
	s_cbranch_execz .LBB2_3452
; %bb.3447:                             ;   in Loop: Header=BB2_2439 Depth=2
	v_cmp_ne_u16_e32 vcc, s68, v2
	v_bfrev_b32_e32 v3, 1
	s_and_saveexec_b64 s[58:59], vcc
	s_cbranch_execz .LBB2_3451
; %bb.3448:                             ;   in Loop: Header=BB2_2439 Depth=2
	v_and_b32_e32 v4, 0x7f, v2
	v_cmp_ne_u32_e32 vcc, s69, v4
	v_mov_b32_e32 v3, 0x7f800001
	s_and_saveexec_b64 s[60:61], vcc
	s_cbranch_execz .LBB2_3450
; %bb.3449:                             ;   in Loop: Header=BB2_2439 Depth=2
	v_and_b32_e32 v3, 7, v2
	v_ffbh_u32_e32 v11, v3
	v_min_u32_e32 v11, 32, v11
	v_subrev_u32_e32 v14, 28, v11
	v_lshlrev_b64 v[34:35], v14, v[2:3]
	v_lshrrev_b32_e32 v5, 3, v4
	v_sub_u32_e32 v11, 29, v11
	v_and_b32_e32 v14, 7, v34
	v_cmp_gt_u32_e32 vcc, 8, v4
	v_cndmask_b32_e32 v4, v5, v11, vcc
	v_cndmask_b32_e32 v3, v3, v14, vcc
	v_lshlrev_b32_e32 v5, 16, v12
	v_lshlrev_b32_e32 v3, 20, v3
	v_and_b32_e32 v5, 0x80000000, v5
	v_lshl_add_u32 v4, v4, 23, v49
	v_or3_b32 v3, v5, v4, v3
.LBB2_3450:                             ;   in Loop: Header=BB2_2439 Depth=2
	s_or_b64 exec, exec, s[60:61]
.LBB2_3451:                             ;   in Loop: Header=BB2_2439 Depth=2
	s_or_b64 exec, exec, s[58:59]
.LBB2_3452:                             ;   in Loop: Header=BB2_2439 Depth=2
	s_or_b64 exec, exec, s[56:57]
	v_max_f32_e32 v3, v3, v3
	v_max_f32_e32 v1, v1, v1
	;; [unrolled: 1-line block ×3, first 2 shown]
	s_branch .LBB2_3467
.LBB2_3453:                             ;   in Loop: Header=BB2_2439 Depth=2
                                        ; implicit-def: $vgpr3
	s_cbranch_execz .LBB2_3467
; %bb.3454:                             ;   in Loop: Header=BB2_2439 Depth=2
	v_mov_b32_e32 v3, 0
	v_mov_b32_e32 v1, 0
	s_and_saveexec_b64 s[56:57], s[20:21]
	s_cbranch_execz .LBB2_3460
; %bb.3455:                             ;   in Loop: Header=BB2_2439 Depth=2
	v_cmp_ne_u16_e32 vcc, s68, v10
	v_bfrev_b32_e32 v1, 1
	s_and_saveexec_b64 s[20:21], vcc
	s_cbranch_execz .LBB2_3459
; %bb.3456:                             ;   in Loop: Header=BB2_2439 Depth=2
	v_and_b32_e32 v4, 0x7f, v10
	v_cmp_ne_u32_e32 vcc, s69, v4
	v_mov_b32_e32 v1, 0x7f800001
	s_and_saveexec_b64 s[58:59], vcc
	s_cbranch_execz .LBB2_3458
; %bb.3457:                             ;   in Loop: Header=BB2_2439 Depth=2
	v_and_b32_e32 v1, 7, v10
	v_ffbh_u32_e32 v11, v1
	v_min_u32_e32 v14, 32, v11
	v_subrev_u32_e32 v11, 28, v14
	v_lshlrev_b64 v[10:11], v11, v[10:11]
	v_lshrrev_b32_e32 v5, 3, v4
	v_sub_u32_e32 v11, 29, v14
	v_and_b32_e32 v10, 7, v10
	v_cmp_gt_u32_e32 vcc, 8, v4
	v_cndmask_b32_e32 v4, v5, v11, vcc
	v_cndmask_b32_e32 v1, v1, v10, vcc
	v_lshlrev_b32_e32 v5, 16, v16
	v_lshlrev_b32_e32 v1, 20, v1
	v_and_b32_e32 v5, 0x80000000, v5
	v_lshl_add_u32 v4, v4, 23, v49
	v_or3_b32 v1, v5, v4, v1
.LBB2_3458:                             ;   in Loop: Header=BB2_2439 Depth=2
	s_or_b64 exec, exec, s[58:59]
.LBB2_3459:                             ;   in Loop: Header=BB2_2439 Depth=2
	s_or_b64 exec, exec, s[20:21]
.LBB2_3460:                             ;   in Loop: Header=BB2_2439 Depth=2
	s_or_b64 exec, exec, s[56:57]
	v_cmp_ne_u16_e32 vcc, 0, v2
	s_and_saveexec_b64 s[20:21], vcc
	s_cbranch_execz .LBB2_3466
; %bb.3461:                             ;   in Loop: Header=BB2_2439 Depth=2
	v_cmp_ne_u16_e32 vcc, s68, v2
	v_bfrev_b32_e32 v3, 1
	s_and_saveexec_b64 s[56:57], vcc
	s_cbranch_execz .LBB2_3465
; %bb.3462:                             ;   in Loop: Header=BB2_2439 Depth=2
	v_and_b32_e32 v4, 0x7f, v2
	v_cmp_ne_u32_e32 vcc, s69, v4
	v_mov_b32_e32 v3, 0x7f800001
	s_and_saveexec_b64 s[58:59], vcc
	s_cbranch_execz .LBB2_3464
; %bb.3463:                             ;   in Loop: Header=BB2_2439 Depth=2
	v_and_b32_e32 v5, 7, v2
	v_ffbh_u32_e32 v3, v5
	v_min_u32_e32 v11, 32, v3
	v_subrev_u32_e32 v3, 28, v11
	v_lshlrev_b64 v[2:3], v3, v[2:3]
	v_lshrrev_b32_e32 v10, 3, v4
	v_sub_u32_e32 v3, 29, v11
	v_and_b32_e32 v2, 7, v2
	v_cmp_gt_u32_e32 vcc, 8, v4
	v_cndmask_b32_e32 v3, v10, v3, vcc
	v_cndmask_b32_e32 v2, v5, v2, vcc
	v_lshlrev_b32_e32 v4, 16, v12
	v_lshlrev_b32_e32 v2, 20, v2
	v_and_b32_e32 v4, 0x80000000, v4
	v_lshl_add_u32 v3, v3, 23, v49
	v_or3_b32 v3, v4, v3, v2
.LBB2_3464:                             ;   in Loop: Header=BB2_2439 Depth=2
	s_or_b64 exec, exec, s[58:59]
.LBB2_3465:                             ;   in Loop: Header=BB2_2439 Depth=2
	s_or_b64 exec, exec, s[56:57]
.LBB2_3466:                             ;   in Loop: Header=BB2_2439 Depth=2
	s_or_b64 exec, exec, s[20:21]
	v_max_f32_e32 v2, v3, v3
	v_max_f32_e32 v1, v1, v1
	v_min_f32_e32 v3, v1, v2
.LBB2_3467:                             ;   in Loop: Header=BB2_2439 Depth=2
	v_and_b32_sdwa v1, v3, s68 dst_sel:DWORD dst_unused:UNUSED_PAD src0_sel:BYTE_3 src1_sel:DWORD
	v_and_b32_e32 v4, 0x7f800000, v3
	v_mov_b32_e32 v5, v53
	v_and_b32_e32 v52, 0x7fffff, v3
	v_or_b32_e32 v61, 0x7e, v1
	v_cmp_ne_u64_e32 vcc, s[40:41], v[4:5]
	s_and_saveexec_b64 s[20:21], vcc
	s_xor_b64 s[56:57], exec, s[20:21]
	s_cbranch_execz .LBB2_3477
; %bb.3468:                             ;   in Loop: Header=BB2_2439 Depth=2
	v_and_b32_e32 v4, 0x7fffffff, v3
	v_mov_b32_e32 v5, v53
	v_cmp_gt_u64_e32 vcc, s[42:43], v[4:5]
	s_and_saveexec_b64 s[58:59], vcc
	s_cbranch_execz .LBB2_3476
; %bb.3469:                             ;   in Loop: Header=BB2_2439 Depth=2
	v_cmp_ne_u32_e32 vcc, 0, v3
	v_mov_b32_e32 v61, 0
	s_and_saveexec_b64 s[60:61], vcc
	s_cbranch_execz .LBB2_3475
; %bb.3470:                             ;   in Loop: Header=BB2_2439 Depth=2
	v_bfe_u32 v2, v3, 23, 8
	v_sub_u32_e32 v4, 0x79, v2
	v_cmp_gt_u32_e32 vcc, s72, v2
	v_add_u32_e32 v3, 0xffffff81, v2
	v_cndmask_b32_e32 v4, 0, v4, vcc
	v_cmp_eq_u32_e32 vcc, 0, v2
	v_mov_b32_e32 v2, 0xffffff82
	v_cndmask_b32_e32 v10, v3, v2, vcc
	v_mov_b32_e32 v2, 0x78
	v_or_b32_e32 v5, 0x800000, v52
	v_cndmask_b32_e32 v4, v4, v2, vcc
	v_cndmask_b32_e32 v52, v5, v52, vcc
	v_add_u32_e32 v2, 20, v4
	v_lshlrev_b64 v[2:3], v2, -1
	v_add_u32_e32 v5, 19, v4
	v_lshrrev_b64 v[48:49], v4, v[52:53]
	v_not_b32_e32 v3, v3
	v_not_b32_e32 v2, v2
	v_lshlrev_b64 v[34:35], v5, 1
	v_lshrrev_b32_e32 v5, 23, v48
	v_and_b32_e32 v3, 0, v3
	v_and_b32_e32 v2, v52, v2
	v_add3_u32 v10, v4, v10, v5
	v_bfe_u32 v4, v48, 20, 1
	v_add_u32_e32 v4, -1, v4
	v_cmp_eq_u64_e32 vcc, v[2:3], v[34:35]
	v_cndmask_b32_e32 v2, 0, v4, vcc
	v_add_u32_e32 v2, v2, v48
	v_and_b32_e32 v2, 0xfffff, v2
	v_add_co_u32_e32 v2, vcc, v2, v48
	v_add_u32_e32 v5, 6, v10
	v_addc_co_u32_e32 v3, vcc, 0, v49, vcc
	v_cmp_ne_u32_e32 vcc, 0, v5
                                        ; implicit-def: $vgpr4
	s_and_saveexec_b64 s[20:21], vcc
	s_xor_b64 s[20:21], exec, s[20:21]
; %bb.3471:                             ;   in Loop: Header=BB2_2439 Depth=2
	v_add_u32_e32 v4, 7, v10
	v_cmp_lt_u64_e32 vcc, s[46:47], v[2:3]
	v_cndmask_b32_e32 v4, v5, v4, vcc
	v_cndmask_b32_e64 v5, 0, 1, vcc
	v_lshrrev_b64 v[2:3], v5, v[2:3]
; %bb.3472:                             ;   in Loop: Header=BB2_2439 Depth=2
	s_andn2_saveexec_b64 s[20:21], s[20:21]
; %bb.3473:                             ;   in Loop: Header=BB2_2439 Depth=2
	v_bfe_u32 v4, v2, 23, 1
; %bb.3474:                             ;   in Loop: Header=BB2_2439 Depth=2
	s_or_b64 exec, exec, s[20:21]
	v_lshrrev_b64 v[2:3], 20, v[2:3]
	v_cmp_gt_i32_e32 vcc, 16, v4
	v_cndmask_b32_e32 v3, 0, v3, vcc
	v_cndmask_b32_e32 v2, 7, v2, vcc
	v_cmp_eq_u64_e64 s[20:21], 0, v[2:3]
	v_min_i32_e32 v3, 15, v4
	v_cmp_eq_u32_e32 vcc, 0, v4
	v_lshlrev_b32_e32 v3, 3, v3
	v_and_or_b32 v2, v2, 7, v3
	s_and_b64 s[20:21], vcc, s[20:21]
	v_cndmask_b32_e64 v2, v2, 0, s[20:21]
	v_or_b32_e32 v61, v2, v1
	v_bfrev_b32_e32 v49, 60
.LBB2_3475:                             ;   in Loop: Header=BB2_2439 Depth=2
	s_or_b64 exec, exec, s[60:61]
.LBB2_3476:                             ;   in Loop: Header=BB2_2439 Depth=2
	s_or_b64 exec, exec, s[58:59]
                                        ; implicit-def: $vgpr3
.LBB2_3477:                             ;   in Loop: Header=BB2_2439 Depth=2
	s_andn2_saveexec_b64 s[20:21], s[56:57]
; %bb.3478:                             ;   in Loop: Header=BB2_2439 Depth=2
	v_or_b32_sdwa v1, v3, s69 dst_sel:DWORD dst_unused:UNUSED_PAD src0_sel:BYTE_3 src1_sel:DWORD
	v_cmp_eq_u64_e32 vcc, 0, v[52:53]
	v_cndmask_b32_e32 v61, v1, v61, vcc
; %bb.3479:                             ;   in Loop: Header=BB2_2439 Depth=2
	s_or_b64 exec, exec, s[20:21]
	v_lshrrev_b32_e32 v10, 16, v16
	v_lshrrev_b32_e32 v2, 16, v12
	s_and_b64 vcc, exec, s[18:19]
	v_cmp_ne_u16_sdwa s[20:21], v10, v53 src0_sel:BYTE_0 src1_sel:DWORD
	s_cbranch_vccnz .LBB2_3493
; %bb.3480:                             ;   in Loop: Header=BB2_2439 Depth=2
	v_mov_b32_e32 v3, 0
	v_mov_b32_e32 v1, 0
	s_and_saveexec_b64 s[56:57], s[20:21]
	s_cbranch_execz .LBB2_3486
; %bb.3481:                             ;   in Loop: Header=BB2_2439 Depth=2
	v_cmp_ne_u16_sdwa vcc, v10, s68 src0_sel:BYTE_0 src1_sel:DWORD
	v_bfrev_b32_e32 v1, 1
	s_and_saveexec_b64 s[58:59], vcc
	s_cbranch_execz .LBB2_3485
; %bb.3482:                             ;   in Loop: Header=BB2_2439 Depth=2
	v_bfe_u32 v4, v16, 16, 7
	v_cmp_ne_u32_e32 vcc, s69, v4
	v_mov_b32_e32 v1, 0x7f800001
	s_and_saveexec_b64 s[60:61], vcc
	s_cbranch_execz .LBB2_3484
; %bb.3483:                             ;   in Loop: Header=BB2_2439 Depth=2
	v_and_b32_e32 v1, 7, v10
	v_ffbh_u32_e32 v11, v1
	v_min_u32_e32 v11, 32, v11
	v_subrev_u32_e32 v14, 28, v11
	v_lshlrev_b64 v[34:35], v14, v[10:11]
	v_lshrrev_b32_e32 v5, 3, v4
	v_sub_u32_e32 v11, 29, v11
	v_and_b32_e32 v14, 7, v34
	v_cmp_gt_u32_e32 vcc, 8, v4
	v_cndmask_b32_e32 v4, v5, v11, vcc
	v_cndmask_b32_e32 v1, v1, v14, vcc
	v_lshlrev_b32_e32 v5, 24, v10
	v_lshlrev_b32_e32 v1, 20, v1
	v_and_b32_e32 v5, 0x80000000, v5
	v_lshl_add_u32 v4, v4, 23, v49
	v_or3_b32 v1, v5, v4, v1
.LBB2_3484:                             ;   in Loop: Header=BB2_2439 Depth=2
	s_or_b64 exec, exec, s[60:61]
.LBB2_3485:                             ;   in Loop: Header=BB2_2439 Depth=2
	s_or_b64 exec, exec, s[58:59]
.LBB2_3486:                             ;   in Loop: Header=BB2_2439 Depth=2
	s_or_b64 exec, exec, s[56:57]
	v_cmp_ne_u16_sdwa vcc, v2, v53 src0_sel:BYTE_0 src1_sel:DWORD
	s_and_saveexec_b64 s[56:57], vcc
	s_cbranch_execz .LBB2_3492
; %bb.3487:                             ;   in Loop: Header=BB2_2439 Depth=2
	v_cmp_ne_u16_sdwa vcc, v2, s68 src0_sel:BYTE_0 src1_sel:DWORD
	v_bfrev_b32_e32 v3, 1
	s_and_saveexec_b64 s[58:59], vcc
	s_cbranch_execz .LBB2_3491
; %bb.3488:                             ;   in Loop: Header=BB2_2439 Depth=2
	v_bfe_u32 v4, v12, 16, 7
	v_cmp_ne_u32_e32 vcc, s69, v4
	v_mov_b32_e32 v3, 0x7f800001
	s_and_saveexec_b64 s[60:61], vcc
	s_cbranch_execz .LBB2_3490
; %bb.3489:                             ;   in Loop: Header=BB2_2439 Depth=2
	v_and_b32_e32 v3, 7, v2
	v_ffbh_u32_e32 v11, v3
	v_min_u32_e32 v11, 32, v11
	v_subrev_u32_e32 v14, 28, v11
	v_lshlrev_b64 v[34:35], v14, v[2:3]
	v_lshrrev_b32_e32 v5, 3, v4
	v_sub_u32_e32 v11, 29, v11
	v_and_b32_e32 v14, 7, v34
	v_cmp_gt_u32_e32 vcc, 8, v4
	v_cndmask_b32_e32 v4, v5, v11, vcc
	v_cndmask_b32_e32 v3, v3, v14, vcc
	v_lshlrev_b32_e32 v5, 24, v2
	v_lshlrev_b32_e32 v3, 20, v3
	v_and_b32_e32 v5, 0x80000000, v5
	v_lshl_add_u32 v4, v4, 23, v49
	v_or3_b32 v3, v5, v4, v3
.LBB2_3490:                             ;   in Loop: Header=BB2_2439 Depth=2
	s_or_b64 exec, exec, s[60:61]
.LBB2_3491:                             ;   in Loop: Header=BB2_2439 Depth=2
	s_or_b64 exec, exec, s[58:59]
.LBB2_3492:                             ;   in Loop: Header=BB2_2439 Depth=2
	s_or_b64 exec, exec, s[56:57]
	v_max_f32_e32 v3, v3, v3
	v_max_f32_e32 v1, v1, v1
	;; [unrolled: 1-line block ×3, first 2 shown]
	s_branch .LBB2_3507
.LBB2_3493:                             ;   in Loop: Header=BB2_2439 Depth=2
                                        ; implicit-def: $vgpr3
	s_cbranch_execz .LBB2_3507
; %bb.3494:                             ;   in Loop: Header=BB2_2439 Depth=2
	v_mov_b32_e32 v3, 0
	v_mov_b32_e32 v1, 0
	s_and_saveexec_b64 s[56:57], s[20:21]
	s_cbranch_execz .LBB2_3500
; %bb.3495:                             ;   in Loop: Header=BB2_2439 Depth=2
	v_cmp_ne_u16_sdwa vcc, v10, s68 src0_sel:BYTE_0 src1_sel:DWORD
	v_bfrev_b32_e32 v1, 1
	s_and_saveexec_b64 s[20:21], vcc
	s_cbranch_execz .LBB2_3499
; %bb.3496:                             ;   in Loop: Header=BB2_2439 Depth=2
	v_bfe_u32 v4, v16, 16, 7
	v_cmp_ne_u32_e32 vcc, s69, v4
	v_mov_b32_e32 v1, 0x7f800001
	s_and_saveexec_b64 s[58:59], vcc
	s_cbranch_execz .LBB2_3498
; %bb.3497:                             ;   in Loop: Header=BB2_2439 Depth=2
	v_and_b32_e32 v1, 7, v10
	v_ffbh_u32_e32 v11, v1
	v_min_u32_e32 v11, 32, v11
	v_subrev_u32_e32 v14, 28, v11
	v_lshlrev_b64 v[34:35], v14, v[10:11]
	v_lshrrev_b32_e32 v5, 3, v4
	v_sub_u32_e32 v11, 29, v11
	v_and_b32_e32 v14, 7, v34
	v_cmp_gt_u32_e32 vcc, 8, v4
	v_cndmask_b32_e32 v4, v5, v11, vcc
	v_cndmask_b32_e32 v1, v1, v14, vcc
	v_lshlrev_b32_e32 v5, 24, v10
	v_lshlrev_b32_e32 v1, 20, v1
	v_and_b32_e32 v5, 0x80000000, v5
	v_lshl_add_u32 v4, v4, 23, v49
	v_or3_b32 v1, v5, v4, v1
.LBB2_3498:                             ;   in Loop: Header=BB2_2439 Depth=2
	s_or_b64 exec, exec, s[58:59]
.LBB2_3499:                             ;   in Loop: Header=BB2_2439 Depth=2
	s_or_b64 exec, exec, s[20:21]
.LBB2_3500:                             ;   in Loop: Header=BB2_2439 Depth=2
	s_or_b64 exec, exec, s[56:57]
	v_cmp_ne_u16_sdwa vcc, v2, v53 src0_sel:BYTE_0 src1_sel:DWORD
	s_and_saveexec_b64 s[20:21], vcc
	s_cbranch_execz .LBB2_3506
; %bb.3501:                             ;   in Loop: Header=BB2_2439 Depth=2
	v_cmp_ne_u16_sdwa vcc, v2, s68 src0_sel:BYTE_0 src1_sel:DWORD
	v_bfrev_b32_e32 v3, 1
	s_and_saveexec_b64 s[56:57], vcc
	s_cbranch_execz .LBB2_3505
; %bb.3502:                             ;   in Loop: Header=BB2_2439 Depth=2
	v_bfe_u32 v4, v12, 16, 7
	v_cmp_ne_u32_e32 vcc, s69, v4
	v_mov_b32_e32 v3, 0x7f800001
	s_and_saveexec_b64 s[58:59], vcc
	s_cbranch_execz .LBB2_3504
; %bb.3503:                             ;   in Loop: Header=BB2_2439 Depth=2
	v_and_b32_e32 v3, 7, v2
	v_ffbh_u32_e32 v10, v3
	v_min_u32_e32 v14, 32, v10
	v_subrev_u32_e32 v10, 28, v14
	v_lshlrev_b64 v[10:11], v10, v[2:3]
	v_lshrrev_b32_e32 v5, 3, v4
	v_sub_u32_e32 v11, 29, v14
	v_and_b32_e32 v10, 7, v10
	v_cmp_gt_u32_e32 vcc, 8, v4
	v_cndmask_b32_e32 v4, v5, v11, vcc
	v_cndmask_b32_e32 v3, v3, v10, vcc
	v_lshlrev_b32_e32 v2, 24, v2
	v_lshlrev_b32_e32 v3, 20, v3
	v_and_b32_e32 v2, 0x80000000, v2
	v_lshl_add_u32 v4, v4, 23, v49
	v_or3_b32 v3, v2, v4, v3
.LBB2_3504:                             ;   in Loop: Header=BB2_2439 Depth=2
	s_or_b64 exec, exec, s[58:59]
.LBB2_3505:                             ;   in Loop: Header=BB2_2439 Depth=2
	s_or_b64 exec, exec, s[56:57]
.LBB2_3506:                             ;   in Loop: Header=BB2_2439 Depth=2
	s_or_b64 exec, exec, s[20:21]
	v_max_f32_e32 v2, v3, v3
	v_max_f32_e32 v1, v1, v1
	v_min_f32_e32 v3, v1, v2
.LBB2_3507:                             ;   in Loop: Header=BB2_2439 Depth=2
	v_and_b32_sdwa v4, v3, s68 dst_sel:DWORD dst_unused:UNUSED_PAD src0_sel:BYTE_3 src1_sel:DWORD
	v_and_b32_e32 v10, 0x7f800000, v3
	v_mov_b32_e32 v11, v53
	v_and_b32_e32 v52, 0x7fffff, v3
	v_or_b32_e32 v1, 0x7e, v4
	v_cmp_ne_u64_e32 vcc, s[40:41], v[10:11]
	s_and_saveexec_b64 s[20:21], vcc
	s_xor_b64 s[56:57], exec, s[20:21]
	s_cbranch_execz .LBB2_3517
; %bb.3508:                             ;   in Loop: Header=BB2_2439 Depth=2
	v_and_b32_e32 v10, 0x7fffffff, v3
	v_mov_b32_e32 v11, v53
	v_cmp_gt_u64_e32 vcc, s[42:43], v[10:11]
	s_and_saveexec_b64 s[58:59], vcc
	s_cbranch_execz .LBB2_3516
; %bb.3509:                             ;   in Loop: Header=BB2_2439 Depth=2
	v_cmp_ne_u32_e32 vcc, 0, v3
	v_mov_b32_e32 v1, 0
	s_and_saveexec_b64 s[60:61], vcc
	s_cbranch_execz .LBB2_3515
; %bb.3510:                             ;   in Loop: Header=BB2_2439 Depth=2
	v_bfe_u32 v1, v3, 23, 8
	v_sub_u32_e32 v3, 0x79, v1
	v_cmp_gt_u32_e32 vcc, s72, v1
	v_add_u32_e32 v2, 0xffffff81, v1
	v_cndmask_b32_e32 v3, 0, v3, vcc
	v_cmp_eq_u32_e32 vcc, 0, v1
	v_mov_b32_e32 v1, 0xffffff82
	v_cndmask_b32_e32 v1, v2, v1, vcc
	v_mov_b32_e32 v2, 0x78
	v_or_b32_e32 v5, 0x800000, v52
	v_cndmask_b32_e32 v10, v3, v2, vcc
	v_cndmask_b32_e32 v52, v5, v52, vcc
	v_add_u32_e32 v2, 20, v10
	v_lshlrev_b64 v[2:3], v2, -1
	v_add_u32_e32 v5, 19, v10
	v_lshrrev_b64 v[48:49], v10, v[52:53]
	v_not_b32_e32 v3, v3
	v_not_b32_e32 v2, v2
	v_lshlrev_b64 v[34:35], v5, 1
	v_lshrrev_b32_e32 v5, 23, v48
	v_and_b32_e32 v3, 0, v3
	v_and_b32_e32 v2, v52, v2
	v_add3_u32 v10, v10, v1, v5
	v_bfe_u32 v1, v48, 20, 1
	v_add_u32_e32 v1, -1, v1
	v_cmp_eq_u64_e32 vcc, v[2:3], v[34:35]
	v_cndmask_b32_e32 v1, 0, v1, vcc
	v_add_u32_e32 v1, v1, v48
	v_and_b32_e32 v1, 0xfffff, v1
	v_add_co_u32_e32 v2, vcc, v1, v48
	v_add_u32_e32 v5, 6, v10
	v_addc_co_u32_e32 v3, vcc, 0, v49, vcc
	v_cmp_ne_u32_e32 vcc, 0, v5
                                        ; implicit-def: $vgpr1
	s_and_saveexec_b64 s[20:21], vcc
	s_xor_b64 s[20:21], exec, s[20:21]
; %bb.3511:                             ;   in Loop: Header=BB2_2439 Depth=2
	v_add_u32_e32 v1, 7, v10
	v_cmp_lt_u64_e32 vcc, s[46:47], v[2:3]
	v_cndmask_b32_e32 v1, v5, v1, vcc
	v_cndmask_b32_e64 v5, 0, 1, vcc
	v_lshrrev_b64 v[2:3], v5, v[2:3]
; %bb.3512:                             ;   in Loop: Header=BB2_2439 Depth=2
	s_andn2_saveexec_b64 s[20:21], s[20:21]
; %bb.3513:                             ;   in Loop: Header=BB2_2439 Depth=2
	v_bfe_u32 v1, v2, 23, 1
; %bb.3514:                             ;   in Loop: Header=BB2_2439 Depth=2
	s_or_b64 exec, exec, s[20:21]
	v_lshrrev_b64 v[2:3], 20, v[2:3]
	v_cmp_gt_i32_e32 vcc, 16, v1
	v_cndmask_b32_e32 v3, 0, v3, vcc
	v_cndmask_b32_e32 v2, 7, v2, vcc
	v_cmp_eq_u32_e32 vcc, 0, v1
	v_min_i32_e32 v1, 15, v1
	v_cmp_eq_u64_e64 s[20:21], 0, v[2:3]
	v_lshlrev_b32_e32 v1, 3, v1
	v_and_or_b32 v1, v2, 7, v1
	s_and_b64 s[20:21], vcc, s[20:21]
	v_cndmask_b32_e64 v1, v1, 0, s[20:21]
	v_or_b32_e32 v1, v1, v4
	v_bfrev_b32_e32 v49, 60
.LBB2_3515:                             ;   in Loop: Header=BB2_2439 Depth=2
	s_or_b64 exec, exec, s[60:61]
.LBB2_3516:                             ;   in Loop: Header=BB2_2439 Depth=2
	s_or_b64 exec, exec, s[58:59]
                                        ; implicit-def: $vgpr3
.LBB2_3517:                             ;   in Loop: Header=BB2_2439 Depth=2
	s_andn2_saveexec_b64 s[20:21], s[56:57]
; %bb.3518:                             ;   in Loop: Header=BB2_2439 Depth=2
	v_or_b32_sdwa v2, v3, s69 dst_sel:DWORD dst_unused:UNUSED_PAD src0_sel:BYTE_3 src1_sel:DWORD
	v_cmp_eq_u64_e32 vcc, 0, v[52:53]
	v_cndmask_b32_e32 v1, v2, v1, vcc
; %bb.3519:                             ;   in Loop: Header=BB2_2439 Depth=2
	s_or_b64 exec, exec, s[20:21]
	v_lshrrev_b32_e32 v10, 24, v16
	v_lshrrev_b32_e32 v2, 24, v12
	s_and_b64 vcc, exec, s[18:19]
	v_cmp_lt_u32_e64 s[20:21], s45, v16
	s_cbranch_vccnz .LBB2_3533
; %bb.3520:                             ;   in Loop: Header=BB2_2439 Depth=2
	v_mov_b32_e32 v4, 0
	v_mov_b32_e32 v3, 0
	s_and_saveexec_b64 s[56:57], s[20:21]
	s_cbranch_execz .LBB2_3526
; %bb.3521:                             ;   in Loop: Header=BB2_2439 Depth=2
	v_cmp_ne_u32_e32 vcc, s68, v10
	v_bfrev_b32_e32 v3, 1
	s_and_saveexec_b64 s[58:59], vcc
	s_cbranch_execz .LBB2_3525
; %bb.3522:                             ;   in Loop: Header=BB2_2439 Depth=2
	v_bfe_u32 v5, v16, 24, 7
	v_cmp_ne_u32_e32 vcc, s69, v5
	v_mov_b32_e32 v3, 0x7f800001
	s_and_saveexec_b64 s[60:61], vcc
	s_cbranch_execz .LBB2_3524
; %bb.3523:                             ;   in Loop: Header=BB2_2439 Depth=2
	v_and_b32_e32 v3, 7, v10
	v_ffbh_u32_e32 v14, v3
	v_min_u32_e32 v14, 32, v14
	v_lshrrev_b32_e32 v11, 3, v5
	v_subrev_u32_e32 v34, 28, v14
	v_lshlrev_b64 v[34:35], v34, v[10:11]
	v_sub_u32_e32 v14, 29, v14
	v_and_b32_e32 v34, 7, v34
	v_cmp_gt_u32_e32 vcc, 8, v5
	v_cndmask_b32_e32 v5, v11, v14, vcc
	v_cndmask_b32_e32 v3, v3, v34, vcc
	v_lshlrev_b32_e32 v11, 24, v10
	v_lshlrev_b32_e32 v3, 20, v3
	v_and_b32_e32 v11, 0x80000000, v11
	v_lshl_add_u32 v5, v5, 23, v49
	v_or3_b32 v3, v11, v5, v3
.LBB2_3524:                             ;   in Loop: Header=BB2_2439 Depth=2
	s_or_b64 exec, exec, s[60:61]
.LBB2_3525:                             ;   in Loop: Header=BB2_2439 Depth=2
	s_or_b64 exec, exec, s[58:59]
.LBB2_3526:                             ;   in Loop: Header=BB2_2439 Depth=2
	s_or_b64 exec, exec, s[56:57]
	v_cmp_lt_u32_e32 vcc, s45, v12
	s_and_saveexec_b64 s[56:57], vcc
	s_cbranch_execz .LBB2_3532
; %bb.3527:                             ;   in Loop: Header=BB2_2439 Depth=2
	v_cmp_ne_u32_e32 vcc, s68, v2
	v_bfrev_b32_e32 v4, 1
	s_and_saveexec_b64 s[58:59], vcc
	s_cbranch_execz .LBB2_3531
; %bb.3528:                             ;   in Loop: Header=BB2_2439 Depth=2
	v_bfe_u32 v5, v12, 24, 7
	v_cmp_ne_u32_e32 vcc, s69, v5
	v_mov_b32_e32 v4, 0x7f800001
	s_and_saveexec_b64 s[60:61], vcc
	s_cbranch_execz .LBB2_3530
; %bb.3529:                             ;   in Loop: Header=BB2_2439 Depth=2
	v_and_b32_e32 v4, 7, v2
	v_ffbh_u32_e32 v14, v4
	v_min_u32_e32 v14, 32, v14
	v_subrev_u32_e32 v34, 28, v14
	v_lshlrev_b64 v[34:35], v34, v[2:3]
	v_lshrrev_b32_e32 v11, 3, v5
	v_sub_u32_e32 v14, 29, v14
	v_and_b32_e32 v34, 7, v34
	v_cmp_gt_u32_e32 vcc, 8, v5
	v_cndmask_b32_e32 v5, v11, v14, vcc
	v_cndmask_b32_e32 v4, v4, v34, vcc
	v_lshlrev_b32_e32 v11, 24, v2
	v_lshlrev_b32_e32 v4, 20, v4
	v_and_b32_e32 v11, 0x80000000, v11
	v_lshl_add_u32 v5, v5, 23, v49
	v_or3_b32 v4, v11, v5, v4
.LBB2_3530:                             ;   in Loop: Header=BB2_2439 Depth=2
	s_or_b64 exec, exec, s[60:61]
.LBB2_3531:                             ;   in Loop: Header=BB2_2439 Depth=2
	s_or_b64 exec, exec, s[58:59]
.LBB2_3532:                             ;   in Loop: Header=BB2_2439 Depth=2
	s_or_b64 exec, exec, s[56:57]
	v_max_f32_e32 v4, v4, v4
	v_max_f32_e32 v3, v3, v3
	;; [unrolled: 1-line block ×3, first 2 shown]
	s_branch .LBB2_3547
.LBB2_3533:                             ;   in Loop: Header=BB2_2439 Depth=2
                                        ; implicit-def: $vgpr3
	s_cbranch_execz .LBB2_3547
; %bb.3534:                             ;   in Loop: Header=BB2_2439 Depth=2
	v_mov_b32_e32 v4, 0
	v_mov_b32_e32 v3, 0
	s_and_saveexec_b64 s[56:57], s[20:21]
	s_cbranch_execz .LBB2_3540
; %bb.3535:                             ;   in Loop: Header=BB2_2439 Depth=2
	v_cmp_ne_u32_e32 vcc, s68, v10
	v_bfrev_b32_e32 v3, 1
	s_and_saveexec_b64 s[20:21], vcc
	s_cbranch_execz .LBB2_3539
; %bb.3536:                             ;   in Loop: Header=BB2_2439 Depth=2
	v_bfe_u32 v5, v16, 24, 7
	v_cmp_ne_u32_e32 vcc, s69, v5
	v_mov_b32_e32 v3, 0x7f800001
	s_and_saveexec_b64 s[58:59], vcc
	s_cbranch_execz .LBB2_3538
; %bb.3537:                             ;   in Loop: Header=BB2_2439 Depth=2
	v_and_b32_e32 v3, 7, v10
	v_ffbh_u32_e32 v14, v3
	v_min_u32_e32 v14, 32, v14
	v_lshrrev_b32_e32 v11, 3, v5
	v_subrev_u32_e32 v34, 28, v14
	v_lshlrev_b64 v[34:35], v34, v[10:11]
	v_sub_u32_e32 v14, 29, v14
	v_and_b32_e32 v34, 7, v34
	v_cmp_gt_u32_e32 vcc, 8, v5
	v_cndmask_b32_e32 v5, v11, v14, vcc
	v_cndmask_b32_e32 v3, v3, v34, vcc
	v_lshlrev_b32_e32 v10, 24, v10
	v_lshlrev_b32_e32 v3, 20, v3
	v_and_b32_e32 v10, 0x80000000, v10
	v_lshl_add_u32 v5, v5, 23, v49
	v_or3_b32 v3, v10, v5, v3
.LBB2_3538:                             ;   in Loop: Header=BB2_2439 Depth=2
	s_or_b64 exec, exec, s[58:59]
.LBB2_3539:                             ;   in Loop: Header=BB2_2439 Depth=2
	s_or_b64 exec, exec, s[20:21]
.LBB2_3540:                             ;   in Loop: Header=BB2_2439 Depth=2
	s_or_b64 exec, exec, s[56:57]
	v_cmp_lt_u32_e32 vcc, s45, v12
	s_and_saveexec_b64 s[20:21], vcc
	s_cbranch_execz .LBB2_3546
; %bb.3541:                             ;   in Loop: Header=BB2_2439 Depth=2
	v_cmp_ne_u32_e32 vcc, s68, v2
	v_bfrev_b32_e32 v4, 1
	s_and_saveexec_b64 s[56:57], vcc
	s_cbranch_execz .LBB2_3545
; %bb.3542:                             ;   in Loop: Header=BB2_2439 Depth=2
	v_bfe_u32 v5, v12, 24, 7
	v_cmp_ne_u32_e32 vcc, s69, v5
	v_mov_b32_e32 v4, 0x7f800001
	s_and_saveexec_b64 s[58:59], vcc
	s_cbranch_execz .LBB2_3544
; %bb.3543:                             ;   in Loop: Header=BB2_2439 Depth=2
	v_and_b32_e32 v4, 7, v2
	v_ffbh_u32_e32 v10, v4
	v_min_u32_e32 v34, 32, v10
	v_subrev_u32_e32 v10, 28, v34
	v_lshlrev_b64 v[10:11], v10, v[2:3]
	v_lshrrev_b32_e32 v14, 3, v5
	v_sub_u32_e32 v11, 29, v34
	v_and_b32_e32 v10, 7, v10
	v_cmp_gt_u32_e32 vcc, 8, v5
	v_cndmask_b32_e32 v5, v14, v11, vcc
	v_cndmask_b32_e32 v4, v4, v10, vcc
	v_lshlrev_b32_e32 v2, 24, v2
	v_lshlrev_b32_e32 v4, 20, v4
	v_and_b32_e32 v2, 0x80000000, v2
	v_lshl_add_u32 v5, v5, 23, v49
	v_or3_b32 v4, v2, v5, v4
.LBB2_3544:                             ;   in Loop: Header=BB2_2439 Depth=2
	s_or_b64 exec, exec, s[58:59]
.LBB2_3545:                             ;   in Loop: Header=BB2_2439 Depth=2
	s_or_b64 exec, exec, s[56:57]
.LBB2_3546:                             ;   in Loop: Header=BB2_2439 Depth=2
	s_or_b64 exec, exec, s[20:21]
	v_max_f32_e32 v2, v4, v4
	v_max_f32_e32 v3, v3, v3
	v_min_f32_e32 v3, v3, v2
.LBB2_3547:                             ;   in Loop: Header=BB2_2439 Depth=2
	v_and_b32_sdwa v5, v3, s68 dst_sel:DWORD dst_unused:UNUSED_PAD src0_sel:BYTE_3 src1_sel:DWORD
	v_and_b32_e32 v10, 0x7f800000, v3
	v_mov_b32_e32 v11, v53
	v_and_b32_e32 v52, 0x7fffff, v3
	v_or_b32_e32 v4, 0x7e, v5
	v_cmp_ne_u64_e32 vcc, s[40:41], v[10:11]
	s_and_saveexec_b64 s[20:21], vcc
	s_xor_b64 s[56:57], exec, s[20:21]
	s_cbranch_execz .LBB2_3557
; %bb.3548:                             ;   in Loop: Header=BB2_2439 Depth=2
	v_and_b32_e32 v10, 0x7fffffff, v3
	v_mov_b32_e32 v11, v53
	v_cmp_gt_u64_e32 vcc, s[42:43], v[10:11]
	s_and_saveexec_b64 s[58:59], vcc
	s_cbranch_execz .LBB2_3556
; %bb.3549:                             ;   in Loop: Header=BB2_2439 Depth=2
	v_cmp_ne_u32_e32 vcc, 0, v3
	v_mov_b32_e32 v4, 0
	s_and_saveexec_b64 s[60:61], vcc
	s_cbranch_execz .LBB2_3555
; %bb.3550:                             ;   in Loop: Header=BB2_2439 Depth=2
	v_bfe_u32 v2, v3, 23, 8
	v_sub_u32_e32 v4, 0x79, v2
	v_cmp_gt_u32_e32 vcc, s72, v2
	v_add_u32_e32 v3, 0xffffff81, v2
	v_cndmask_b32_e32 v4, 0, v4, vcc
	v_cmp_eq_u32_e32 vcc, 0, v2
	v_mov_b32_e32 v2, 0xffffff82
	v_cndmask_b32_e32 v11, v3, v2, vcc
	v_mov_b32_e32 v2, 0x78
	v_or_b32_e32 v10, 0x800000, v52
	v_cndmask_b32_e32 v4, v4, v2, vcc
	v_cndmask_b32_e32 v52, v10, v52, vcc
	v_add_u32_e32 v2, 20, v4
	v_lshlrev_b64 v[2:3], v2, -1
	v_add_u32_e32 v10, 19, v4
	v_lshrrev_b64 v[48:49], v4, v[52:53]
	v_not_b32_e32 v3, v3
	v_not_b32_e32 v2, v2
	v_lshlrev_b64 v[34:35], v10, 1
	v_lshrrev_b32_e32 v10, 23, v48
	v_and_b32_e32 v3, 0, v3
	v_and_b32_e32 v2, v52, v2
	v_add3_u32 v11, v4, v11, v10
	v_bfe_u32 v4, v48, 20, 1
	v_add_u32_e32 v4, -1, v4
	v_cmp_eq_u64_e32 vcc, v[2:3], v[34:35]
	v_cndmask_b32_e32 v2, 0, v4, vcc
	v_add_u32_e32 v2, v2, v48
	v_and_b32_e32 v2, 0xfffff, v2
	v_add_co_u32_e32 v2, vcc, v2, v48
	v_add_u32_e32 v10, 6, v11
	v_addc_co_u32_e32 v3, vcc, 0, v49, vcc
	v_cmp_ne_u32_e32 vcc, 0, v10
                                        ; implicit-def: $vgpr4
	s_and_saveexec_b64 s[20:21], vcc
	s_xor_b64 s[20:21], exec, s[20:21]
; %bb.3551:                             ;   in Loop: Header=BB2_2439 Depth=2
	v_add_u32_e32 v4, 7, v11
	v_cmp_lt_u64_e32 vcc, s[46:47], v[2:3]
	v_cndmask_b32_e32 v4, v10, v4, vcc
	v_cndmask_b32_e64 v10, 0, 1, vcc
	v_lshrrev_b64 v[2:3], v10, v[2:3]
; %bb.3552:                             ;   in Loop: Header=BB2_2439 Depth=2
	s_andn2_saveexec_b64 s[20:21], s[20:21]
; %bb.3553:                             ;   in Loop: Header=BB2_2439 Depth=2
	v_bfe_u32 v4, v2, 23, 1
; %bb.3554:                             ;   in Loop: Header=BB2_2439 Depth=2
	s_or_b64 exec, exec, s[20:21]
	v_lshrrev_b64 v[2:3], 20, v[2:3]
	v_cmp_gt_i32_e32 vcc, 16, v4
	v_cndmask_b32_e32 v3, 0, v3, vcc
	v_cndmask_b32_e32 v2, 7, v2, vcc
	v_cmp_eq_u64_e64 s[20:21], 0, v[2:3]
	v_min_i32_e32 v3, 15, v4
	v_cmp_eq_u32_e32 vcc, 0, v4
	v_lshlrev_b32_e32 v3, 3, v3
	v_and_or_b32 v2, v2, 7, v3
	s_and_b64 s[20:21], vcc, s[20:21]
	v_cndmask_b32_e64 v2, v2, 0, s[20:21]
	v_or_b32_e32 v4, v2, v5
	v_bfrev_b32_e32 v49, 60
.LBB2_3555:                             ;   in Loop: Header=BB2_2439 Depth=2
	s_or_b64 exec, exec, s[60:61]
.LBB2_3556:                             ;   in Loop: Header=BB2_2439 Depth=2
	s_or_b64 exec, exec, s[58:59]
                                        ; implicit-def: $vgpr3
.LBB2_3557:                             ;   in Loop: Header=BB2_2439 Depth=2
	s_andn2_saveexec_b64 s[20:21], s[56:57]
; %bb.3558:                             ;   in Loop: Header=BB2_2439 Depth=2
	v_or_b32_sdwa v2, v3, s69 dst_sel:DWORD dst_unused:UNUSED_PAD src0_sel:BYTE_3 src1_sel:DWORD
	v_cmp_eq_u64_e32 vcc, 0, v[52:53]
	v_cndmask_b32_e32 v4, v2, v4, vcc
; %bb.3559:                             ;   in Loop: Header=BB2_2439 Depth=2
	s_or_b64 exec, exec, s[20:21]
	v_mov_b32_e32 v52, v17
	v_mov_b32_e32 v2, v13
	;; [unrolled: 1-line block ×3, first 2 shown]
	s_and_b64 vcc, exec, s[18:19]
	v_cmp_ne_u16_sdwa s[20:21], v17, v53 src0_sel:BYTE_0 src1_sel:DWORD
	s_cbranch_vccnz .LBB2_3573
; %bb.3560:                             ;   in Loop: Header=BB2_2439 Depth=2
	v_mov_b32_e32 v10, 0
	v_mov_b32_e32 v5, 0
	s_and_saveexec_b64 s[56:57], s[20:21]
	s_cbranch_execz .LBB2_3566
; %bb.3561:                             ;   in Loop: Header=BB2_2439 Depth=2
	v_cmp_ne_u16_sdwa vcc, v17, s68 src0_sel:BYTE_0 src1_sel:DWORD
	v_bfrev_b32_e32 v5, 1
	s_and_saveexec_b64 s[58:59], vcc
	s_cbranch_execz .LBB2_3565
; %bb.3562:                             ;   in Loop: Header=BB2_2439 Depth=2
	v_and_b32_e32 v11, 0x7f, v17
	v_cmp_ne_u32_e32 vcc, s69, v11
	v_mov_b32_e32 v5, 0x7f800001
	s_and_saveexec_b64 s[60:61], vcc
	s_cbranch_execz .LBB2_3564
; %bb.3563:                             ;   in Loop: Header=BB2_2439 Depth=2
	v_and_b32_e32 v5, 7, v17
	v_ffbh_u32_e32 v5, v5
	v_min_u32_e32 v5, 32, v5
	v_subrev_u32_e32 v34, 28, v5
	v_cmp_gt_u32_e32 vcc, 8, v11
	v_lshrrev_b32_e32 v14, 3, v11
	v_cndmask_b32_e32 v11, 0, v34, vcc
	v_sub_u32_e32 v5, 29, v5
	v_lshlrev_b64 v[34:35], v11, v[52:53]
	v_cndmask_b32_e32 v5, v14, v5, vcc
	v_lshlrev_b32_e32 v11, 20, v34
	v_lshlrev_b32_e32 v14, 24, v52
	v_and_b32_e32 v11, 0x700000, v11
	v_and_b32_e32 v14, 0x80000000, v14
	v_lshl_add_u32 v5, v5, 23, v49
	v_or3_b32 v5, v14, v5, v11
.LBB2_3564:                             ;   in Loop: Header=BB2_2439 Depth=2
	s_or_b64 exec, exec, s[60:61]
.LBB2_3565:                             ;   in Loop: Header=BB2_2439 Depth=2
	s_or_b64 exec, exec, s[58:59]
.LBB2_3566:                             ;   in Loop: Header=BB2_2439 Depth=2
	s_or_b64 exec, exec, s[56:57]
	v_cmp_ne_u16_sdwa vcc, v13, v53 src0_sel:BYTE_0 src1_sel:DWORD
	s_and_saveexec_b64 s[56:57], vcc
	s_cbranch_execz .LBB2_3572
; %bb.3567:                             ;   in Loop: Header=BB2_2439 Depth=2
	v_cmp_ne_u16_sdwa vcc, v13, s68 src0_sel:BYTE_0 src1_sel:DWORD
	v_bfrev_b32_e32 v10, 1
	s_and_saveexec_b64 s[58:59], vcc
	s_cbranch_execz .LBB2_3571
; %bb.3568:                             ;   in Loop: Header=BB2_2439 Depth=2
	v_and_b32_e32 v11, 0x7f, v13
	v_cmp_ne_u32_e32 vcc, s69, v11
	v_mov_b32_e32 v10, 0x7f800001
	s_and_saveexec_b64 s[60:61], vcc
	s_cbranch_execz .LBB2_3570
; %bb.3569:                             ;   in Loop: Header=BB2_2439 Depth=2
	v_and_b32_e32 v10, 7, v13
	v_ffbh_u32_e32 v10, v10
	v_min_u32_e32 v10, 32, v10
	v_lshrrev_b32_e32 v14, 3, v11
	v_subrev_u32_e32 v34, 28, v10
	v_sub_u32_e32 v10, 29, v10
	v_cmp_gt_u32_e32 vcc, 8, v11
	v_cndmask_b32_e32 v14, v14, v10, vcc
	v_cndmask_b32_e32 v10, 0, v34, vcc
	v_lshlrev_b64 v[10:11], v10, v[2:3]
	v_lshlrev_b32_e32 v10, 20, v10
	v_lshlrev_b32_e32 v11, 24, v2
	v_and_b32_e32 v10, 0x700000, v10
	v_and_b32_e32 v11, 0x80000000, v11
	v_lshl_add_u32 v14, v14, 23, v49
	v_or3_b32 v10, v11, v14, v10
.LBB2_3570:                             ;   in Loop: Header=BB2_2439 Depth=2
	s_or_b64 exec, exec, s[60:61]
.LBB2_3571:                             ;   in Loop: Header=BB2_2439 Depth=2
	s_or_b64 exec, exec, s[58:59]
.LBB2_3572:                             ;   in Loop: Header=BB2_2439 Depth=2
	s_or_b64 exec, exec, s[56:57]
	v_max_f32_e32 v10, v10, v10
	v_max_f32_e32 v5, v5, v5
	;; [unrolled: 1-line block ×3, first 2 shown]
	s_branch .LBB2_3587
.LBB2_3573:                             ;   in Loop: Header=BB2_2439 Depth=2
                                        ; implicit-def: $vgpr14
	s_cbranch_execz .LBB2_3587
; %bb.3574:                             ;   in Loop: Header=BB2_2439 Depth=2
	v_mov_b32_e32 v10, 0
	v_mov_b32_e32 v5, 0
	s_and_saveexec_b64 s[56:57], s[20:21]
	s_cbranch_execz .LBB2_3580
; %bb.3575:                             ;   in Loop: Header=BB2_2439 Depth=2
	v_cmp_ne_u16_sdwa vcc, v17, s68 src0_sel:BYTE_0 src1_sel:DWORD
	v_bfrev_b32_e32 v5, 1
	s_and_saveexec_b64 s[20:21], vcc
	s_cbranch_execz .LBB2_3579
; %bb.3576:                             ;   in Loop: Header=BB2_2439 Depth=2
	v_and_b32_e32 v11, 0x7f, v17
	v_cmp_ne_u32_e32 vcc, s69, v11
	v_mov_b32_e32 v5, 0x7f800001
	s_and_saveexec_b64 s[58:59], vcc
	s_cbranch_execz .LBB2_3578
; %bb.3577:                             ;   in Loop: Header=BB2_2439 Depth=2
	v_and_b32_e32 v5, 7, v17
	v_ffbh_u32_e32 v5, v5
	v_min_u32_e32 v5, 32, v5
	v_subrev_u32_e32 v34, 28, v5
	v_cmp_gt_u32_e32 vcc, 8, v11
	v_lshrrev_b32_e32 v14, 3, v11
	v_cndmask_b32_e32 v11, 0, v34, vcc
	v_sub_u32_e32 v5, 29, v5
	v_lshlrev_b64 v[34:35], v11, v[52:53]
	v_cndmask_b32_e32 v5, v14, v5, vcc
	v_lshlrev_b32_e32 v11, 20, v34
	v_lshlrev_b32_e32 v14, 24, v52
	v_and_b32_e32 v11, 0x700000, v11
	v_and_b32_e32 v14, 0x80000000, v14
	v_lshl_add_u32 v5, v5, 23, v49
	v_or3_b32 v5, v14, v5, v11
.LBB2_3578:                             ;   in Loop: Header=BB2_2439 Depth=2
	s_or_b64 exec, exec, s[58:59]
.LBB2_3579:                             ;   in Loop: Header=BB2_2439 Depth=2
	s_or_b64 exec, exec, s[20:21]
.LBB2_3580:                             ;   in Loop: Header=BB2_2439 Depth=2
	s_or_b64 exec, exec, s[56:57]
	v_cmp_ne_u16_sdwa vcc, v13, v53 src0_sel:BYTE_0 src1_sel:DWORD
	s_and_saveexec_b64 s[20:21], vcc
	s_cbranch_execz .LBB2_3586
; %bb.3581:                             ;   in Loop: Header=BB2_2439 Depth=2
	v_cmp_ne_u16_sdwa vcc, v13, s68 src0_sel:BYTE_0 src1_sel:DWORD
	v_bfrev_b32_e32 v10, 1
	s_and_saveexec_b64 s[56:57], vcc
	s_cbranch_execz .LBB2_3585
; %bb.3582:                             ;   in Loop: Header=BB2_2439 Depth=2
	v_and_b32_e32 v11, 0x7f, v13
	v_cmp_ne_u32_e32 vcc, s69, v11
	v_mov_b32_e32 v10, 0x7f800001
	s_and_saveexec_b64 s[58:59], vcc
	s_cbranch_execz .LBB2_3584
; %bb.3583:                             ;   in Loop: Header=BB2_2439 Depth=2
	v_and_b32_e32 v10, 7, v13
	v_ffbh_u32_e32 v10, v10
	v_min_u32_e32 v10, 32, v10
	v_lshrrev_b32_e32 v14, 3, v11
	v_subrev_u32_e32 v34, 28, v10
	v_sub_u32_e32 v10, 29, v10
	v_cmp_gt_u32_e32 vcc, 8, v11
	v_cndmask_b32_e32 v14, v14, v10, vcc
	v_cndmask_b32_e32 v10, 0, v34, vcc
	v_lshlrev_b64 v[10:11], v10, v[2:3]
	v_lshlrev_b32_e32 v3, 20, v10
	v_lshlrev_b32_e32 v10, 24, v2
	v_and_b32_e32 v3, 0x700000, v3
	v_and_b32_e32 v10, 0x80000000, v10
	v_lshl_add_u32 v11, v14, 23, v49
	v_or3_b32 v10, v10, v11, v3
.LBB2_3584:                             ;   in Loop: Header=BB2_2439 Depth=2
	s_or_b64 exec, exec, s[58:59]
.LBB2_3585:                             ;   in Loop: Header=BB2_2439 Depth=2
	s_or_b64 exec, exec, s[56:57]
.LBB2_3586:                             ;   in Loop: Header=BB2_2439 Depth=2
	s_or_b64 exec, exec, s[20:21]
	v_max_f32_e32 v3, v10, v10
	v_max_f32_e32 v5, v5, v5
	v_min_f32_e32 v14, v5, v3
.LBB2_3587:                             ;   in Loop: Header=BB2_2439 Depth=2
	v_and_b32_sdwa v3, v14, s68 dst_sel:DWORD dst_unused:UNUSED_PAD src0_sel:BYTE_3 src1_sel:DWORD
	v_and_b32_e32 v34, 0x7f800000, v14
	v_mov_b32_e32 v35, v53
	v_and_b32_e32 v10, 0x7fffff, v14
	v_mov_b32_e32 v11, v53
	v_or_b32_e32 v5, 0x7e, v3
	v_cmp_ne_u64_e32 vcc, s[40:41], v[34:35]
	s_and_saveexec_b64 s[20:21], vcc
	s_xor_b64 s[56:57], exec, s[20:21]
	s_cbranch_execz .LBB2_3597
; %bb.3588:                             ;   in Loop: Header=BB2_2439 Depth=2
	v_and_b32_e32 v34, 0x7fffffff, v14
	v_mov_b32_e32 v35, v53
	v_cmp_gt_u64_e32 vcc, s[42:43], v[34:35]
	s_and_saveexec_b64 s[58:59], vcc
	s_cbranch_execz .LBB2_3596
; %bb.3589:                             ;   in Loop: Header=BB2_2439 Depth=2
	v_cmp_ne_u32_e32 vcc, 0, v14
	v_mov_b32_e32 v5, 0
	s_and_saveexec_b64 s[60:61], vcc
	s_cbranch_execz .LBB2_3595
; %bb.3590:                             ;   in Loop: Header=BB2_2439 Depth=2
	v_bfe_u32 v5, v14, 23, 8
	v_sub_u32_e32 v34, 0x79, v5
	v_cmp_gt_u32_e32 vcc, s72, v5
	v_add_u32_e32 v14, 0xffffff81, v5
	v_cndmask_b32_e32 v34, 0, v34, vcc
	v_cmp_eq_u32_e32 vcc, 0, v5
	v_mov_b32_e32 v5, 0xffffff82
	v_cndmask_b32_e32 v5, v14, v5, vcc
	v_mov_b32_e32 v14, 0x78
	v_cndmask_b32_e32 v14, v34, v14, vcc
	v_or_b32_e32 v35, 0x800000, v10
	v_add_u32_e32 v34, 20, v14
	v_cndmask_b32_e32 v10, v35, v10, vcc
	v_lshlrev_b64 v[34:35], v34, -1
	v_not_b32_e32 v34, v34
	v_and_b32_e32 v34, v10, v34
	v_lshrrev_b64 v[10:11], v14, v[10:11]
	v_not_b32_e32 v35, v35
	v_add_u32_e32 v38, 19, v14
	v_lshrrev_b32_e32 v48, 23, v10
	v_and_b32_e32 v35, 0, v35
	v_lshlrev_b64 v[38:39], v38, 1
	v_add3_u32 v48, v14, v5, v48
	v_bfe_u32 v5, v10, 20, 1
	v_add_u32_e32 v5, -1, v5
	v_cmp_eq_u64_e32 vcc, v[34:35], v[38:39]
	v_cndmask_b32_e32 v5, 0, v5, vcc
	v_add_u32_e32 v5, v5, v10
	v_and_b32_e32 v5, 0xfffff, v5
	v_add_co_u32_e32 v10, vcc, v5, v10
	v_add_u32_e32 v14, 6, v48
	v_addc_co_u32_e32 v11, vcc, 0, v11, vcc
	v_cmp_ne_u32_e32 vcc, 0, v14
                                        ; implicit-def: $vgpr5
	s_and_saveexec_b64 s[20:21], vcc
	s_xor_b64 s[20:21], exec, s[20:21]
; %bb.3591:                             ;   in Loop: Header=BB2_2439 Depth=2
	v_add_u32_e32 v5, 7, v48
	v_cmp_lt_u64_e32 vcc, s[46:47], v[10:11]
	v_cndmask_b32_e32 v5, v14, v5, vcc
	v_cndmask_b32_e64 v14, 0, 1, vcc
	v_lshrrev_b64 v[10:11], v14, v[10:11]
; %bb.3592:                             ;   in Loop: Header=BB2_2439 Depth=2
	s_andn2_saveexec_b64 s[20:21], s[20:21]
; %bb.3593:                             ;   in Loop: Header=BB2_2439 Depth=2
	v_bfe_u32 v5, v10, 23, 1
; %bb.3594:                             ;   in Loop: Header=BB2_2439 Depth=2
	s_or_b64 exec, exec, s[20:21]
	v_lshrrev_b64 v[10:11], 20, v[10:11]
	v_cmp_gt_i32_e32 vcc, 16, v5
	v_cndmask_b32_e32 v11, 0, v11, vcc
	v_cndmask_b32_e32 v10, 7, v10, vcc
	v_cmp_eq_u32_e32 vcc, 0, v5
	v_min_i32_e32 v5, 15, v5
	v_cmp_eq_u64_e64 s[20:21], 0, v[10:11]
	v_lshlrev_b32_e32 v5, 3, v5
	v_and_or_b32 v5, v10, 7, v5
	s_and_b64 s[20:21], vcc, s[20:21]
	v_cndmask_b32_e64 v5, v5, 0, s[20:21]
	v_or_b32_e32 v5, v5, v3
.LBB2_3595:                             ;   in Loop: Header=BB2_2439 Depth=2
	s_or_b64 exec, exec, s[60:61]
.LBB2_3596:                             ;   in Loop: Header=BB2_2439 Depth=2
	s_or_b64 exec, exec, s[58:59]
                                        ; implicit-def: $vgpr14
                                        ; implicit-def: $vgpr10_vgpr11
.LBB2_3597:                             ;   in Loop: Header=BB2_2439 Depth=2
	s_andn2_saveexec_b64 s[20:21], s[56:57]
; %bb.3598:                             ;   in Loop: Header=BB2_2439 Depth=2
	v_or_b32_sdwa v3, v14, s69 dst_sel:DWORD dst_unused:UNUSED_PAD src0_sel:BYTE_3 src1_sel:DWORD
	v_cmp_eq_u64_e32 vcc, 0, v[10:11]
	v_cndmask_b32_e32 v5, v3, v5, vcc
; %bb.3599:                             ;   in Loop: Header=BB2_2439 Depth=2
	s_or_b64 exec, exec, s[20:21]
	v_lshrrev_b16_e32 v14, 8, v52
	v_lshrrev_b16_e32 v10, 8, v2
	s_and_b64 vcc, exec, s[18:19]
	v_cmp_ne_u16_e64 s[20:21], 0, v14
	s_cbranch_vccnz .LBB2_3613
; %bb.3600:                             ;   in Loop: Header=BB2_2439 Depth=2
	v_mov_b32_e32 v11, 0
	v_mov_b32_e32 v3, 0
	s_and_saveexec_b64 s[56:57], s[20:21]
	s_cbranch_execz .LBB2_3606
; %bb.3601:                             ;   in Loop: Header=BB2_2439 Depth=2
	v_cmp_ne_u16_e32 vcc, s68, v14
	v_bfrev_b32_e32 v3, 1
	s_and_saveexec_b64 s[58:59], vcc
	s_cbranch_execz .LBB2_3605
; %bb.3602:                             ;   in Loop: Header=BB2_2439 Depth=2
	v_and_b32_e32 v48, 0x7f, v14
	v_cmp_ne_u32_e32 vcc, s69, v48
	v_mov_b32_e32 v3, 0x7f800001
	s_and_saveexec_b64 s[60:61], vcc
	s_cbranch_execz .LBB2_3604
; %bb.3603:                             ;   in Loop: Header=BB2_2439 Depth=2
	v_and_b32_e32 v3, 7, v14
	v_ffbh_u32_e32 v34, v3
	v_min_u32_e32 v39, 32, v34
	v_subrev_u32_e32 v34, 28, v39
	v_lshlrev_b64 v[34:35], v34, v[14:15]
	v_lshrrev_b32_e32 v38, 3, v48
	v_sub_u32_e32 v35, 29, v39
	v_and_b32_e32 v34, 7, v34
	v_cmp_gt_u32_e32 vcc, 8, v48
	v_cndmask_b32_e32 v35, v38, v35, vcc
	v_cndmask_b32_e32 v3, v3, v34, vcc
	v_lshlrev_b32_e32 v34, 16, v52
	v_lshlrev_b32_e32 v3, 20, v3
	v_and_b32_e32 v34, 0x80000000, v34
	v_lshl_add_u32 v35, v35, 23, v49
	v_or3_b32 v3, v34, v35, v3
.LBB2_3604:                             ;   in Loop: Header=BB2_2439 Depth=2
	s_or_b64 exec, exec, s[60:61]
.LBB2_3605:                             ;   in Loop: Header=BB2_2439 Depth=2
	s_or_b64 exec, exec, s[58:59]
.LBB2_3606:                             ;   in Loop: Header=BB2_2439 Depth=2
	s_or_b64 exec, exec, s[56:57]
	v_cmp_ne_u16_e32 vcc, 0, v10
	s_and_saveexec_b64 s[56:57], vcc
	s_cbranch_execz .LBB2_3612
; %bb.3607:                             ;   in Loop: Header=BB2_2439 Depth=2
	v_cmp_ne_u16_e32 vcc, s68, v10
	v_bfrev_b32_e32 v11, 1
	s_and_saveexec_b64 s[58:59], vcc
	s_cbranch_execz .LBB2_3611
; %bb.3608:                             ;   in Loop: Header=BB2_2439 Depth=2
	v_and_b32_e32 v48, 0x7f, v10
	v_cmp_ne_u32_e32 vcc, s69, v48
	v_mov_b32_e32 v11, 0x7f800001
	s_and_saveexec_b64 s[60:61], vcc
	s_cbranch_execz .LBB2_3610
; %bb.3609:                             ;   in Loop: Header=BB2_2439 Depth=2
	v_and_b32_e32 v11, 7, v10
	v_ffbh_u32_e32 v34, v11
	v_min_u32_e32 v39, 32, v34
	v_subrev_u32_e32 v34, 28, v39
	v_lshlrev_b64 v[34:35], v34, v[10:11]
	v_lshrrev_b32_e32 v38, 3, v48
	v_sub_u32_e32 v35, 29, v39
	v_and_b32_e32 v34, 7, v34
	v_cmp_gt_u32_e32 vcc, 8, v48
	v_cndmask_b32_e32 v35, v38, v35, vcc
	v_cndmask_b32_e32 v11, v11, v34, vcc
	v_lshlrev_b32_e32 v34, 16, v2
	v_lshlrev_b32_e32 v11, 20, v11
	v_and_b32_e32 v34, 0x80000000, v34
	v_lshl_add_u32 v35, v35, 23, v49
	v_or3_b32 v11, v34, v35, v11
.LBB2_3610:                             ;   in Loop: Header=BB2_2439 Depth=2
	s_or_b64 exec, exec, s[60:61]
.LBB2_3611:                             ;   in Loop: Header=BB2_2439 Depth=2
	s_or_b64 exec, exec, s[58:59]
.LBB2_3612:                             ;   in Loop: Header=BB2_2439 Depth=2
	s_or_b64 exec, exec, s[56:57]
	v_max_f32_e32 v11, v11, v11
	v_max_f32_e32 v3, v3, v3
	;; [unrolled: 1-line block ×3, first 2 shown]
	s_branch .LBB2_3627
.LBB2_3613:                             ;   in Loop: Header=BB2_2439 Depth=2
                                        ; implicit-def: $vgpr3
	s_cbranch_execz .LBB2_3627
; %bb.3614:                             ;   in Loop: Header=BB2_2439 Depth=2
	v_mov_b32_e32 v11, 0
	v_mov_b32_e32 v3, 0
	s_and_saveexec_b64 s[56:57], s[20:21]
	s_cbranch_execz .LBB2_3620
; %bb.3615:                             ;   in Loop: Header=BB2_2439 Depth=2
	v_cmp_ne_u16_e32 vcc, s68, v14
	v_bfrev_b32_e32 v3, 1
	s_and_saveexec_b64 s[20:21], vcc
	s_cbranch_execz .LBB2_3619
; %bb.3616:                             ;   in Loop: Header=BB2_2439 Depth=2
	v_and_b32_e32 v48, 0x7f, v14
	v_cmp_ne_u32_e32 vcc, s69, v48
	v_mov_b32_e32 v3, 0x7f800001
	s_and_saveexec_b64 s[58:59], vcc
	s_cbranch_execz .LBB2_3618
; %bb.3617:                             ;   in Loop: Header=BB2_2439 Depth=2
	v_and_b32_e32 v3, 7, v14
	v_ffbh_u32_e32 v34, v3
	v_min_u32_e32 v39, 32, v34
	v_subrev_u32_e32 v34, 28, v39
	v_lshlrev_b64 v[34:35], v34, v[14:15]
	v_lshrrev_b32_e32 v38, 3, v48
	v_sub_u32_e32 v14, 29, v39
	v_and_b32_e32 v34, 7, v34
	v_cmp_gt_u32_e32 vcc, 8, v48
	v_cndmask_b32_e32 v14, v38, v14, vcc
	v_cndmask_b32_e32 v3, v3, v34, vcc
	v_lshlrev_b32_e32 v34, 16, v52
	v_lshlrev_b32_e32 v3, 20, v3
	v_and_b32_e32 v34, 0x80000000, v34
	v_lshl_add_u32 v14, v14, 23, v49
	v_or3_b32 v3, v34, v14, v3
.LBB2_3618:                             ;   in Loop: Header=BB2_2439 Depth=2
	s_or_b64 exec, exec, s[58:59]
.LBB2_3619:                             ;   in Loop: Header=BB2_2439 Depth=2
	s_or_b64 exec, exec, s[20:21]
.LBB2_3620:                             ;   in Loop: Header=BB2_2439 Depth=2
	s_or_b64 exec, exec, s[56:57]
	v_cmp_ne_u16_e32 vcc, 0, v10
	s_and_saveexec_b64 s[20:21], vcc
	s_cbranch_execz .LBB2_3626
; %bb.3621:                             ;   in Loop: Header=BB2_2439 Depth=2
	v_cmp_ne_u16_e32 vcc, s68, v10
	v_bfrev_b32_e32 v11, 1
	s_and_saveexec_b64 s[56:57], vcc
	s_cbranch_execz .LBB2_3625
; %bb.3622:                             ;   in Loop: Header=BB2_2439 Depth=2
	v_and_b32_e32 v14, 0x7f, v10
	v_cmp_ne_u32_e32 vcc, s69, v14
	v_mov_b32_e32 v11, 0x7f800001
	s_and_saveexec_b64 s[58:59], vcc
	s_cbranch_execz .LBB2_3624
; %bb.3623:                             ;   in Loop: Header=BB2_2439 Depth=2
	v_and_b32_e32 v34, 7, v10
	v_ffbh_u32_e32 v11, v34
	v_min_u32_e32 v38, 32, v11
	v_subrev_u32_e32 v11, 28, v38
	v_lshlrev_b64 v[10:11], v11, v[10:11]
	v_lshrrev_b32_e32 v35, 3, v14
	v_sub_u32_e32 v11, 29, v38
	v_and_b32_e32 v10, 7, v10
	v_cmp_gt_u32_e32 vcc, 8, v14
	v_cndmask_b32_e32 v11, v35, v11, vcc
	v_cndmask_b32_e32 v10, v34, v10, vcc
	v_lshlrev_b32_e32 v2, 16, v2
	v_lshlrev_b32_e32 v10, 20, v10
	v_and_b32_e32 v2, 0x80000000, v2
	v_lshl_add_u32 v11, v11, 23, v49
	v_or3_b32 v11, v2, v11, v10
.LBB2_3624:                             ;   in Loop: Header=BB2_2439 Depth=2
	s_or_b64 exec, exec, s[58:59]
.LBB2_3625:                             ;   in Loop: Header=BB2_2439 Depth=2
	s_or_b64 exec, exec, s[56:57]
.LBB2_3626:                             ;   in Loop: Header=BB2_2439 Depth=2
	s_or_b64 exec, exec, s[20:21]
	v_max_f32_e32 v2, v11, v11
	v_max_f32_e32 v3, v3, v3
	v_min_f32_e32 v3, v3, v2
.LBB2_3627:                             ;   in Loop: Header=BB2_2439 Depth=2
	v_and_b32_sdwa v10, v3, s68 dst_sel:DWORD dst_unused:UNUSED_PAD src0_sel:BYTE_3 src1_sel:DWORD
	v_and_b32_e32 v34, 0x7f800000, v3
	v_mov_b32_e32 v35, v53
	v_and_b32_e32 v52, 0x7fffff, v3
	v_or_b32_e32 v11, 0x7e, v10
	v_cmp_ne_u64_e32 vcc, s[40:41], v[34:35]
	s_and_saveexec_b64 s[20:21], vcc
	s_xor_b64 s[56:57], exec, s[20:21]
	s_cbranch_execz .LBB2_3637
; %bb.3628:                             ;   in Loop: Header=BB2_2439 Depth=2
	v_and_b32_e32 v34, 0x7fffffff, v3
	v_mov_b32_e32 v35, v53
	v_cmp_gt_u64_e32 vcc, s[42:43], v[34:35]
	s_and_saveexec_b64 s[58:59], vcc
	s_cbranch_execz .LBB2_3636
; %bb.3629:                             ;   in Loop: Header=BB2_2439 Depth=2
	v_cmp_ne_u32_e32 vcc, 0, v3
	v_mov_b32_e32 v11, 0
	s_and_saveexec_b64 s[60:61], vcc
	s_cbranch_execz .LBB2_3635
; %bb.3630:                             ;   in Loop: Header=BB2_2439 Depth=2
	v_bfe_u32 v2, v3, 23, 8
	v_sub_u32_e32 v11, 0x79, v2
	v_cmp_gt_u32_e32 vcc, s72, v2
	v_add_u32_e32 v3, 0xffffff81, v2
	v_cndmask_b32_e32 v11, 0, v11, vcc
	v_cmp_eq_u32_e32 vcc, 0, v2
	v_mov_b32_e32 v2, 0xffffff82
	v_cndmask_b32_e32 v48, v3, v2, vcc
	v_mov_b32_e32 v2, 0x78
	v_or_b32_e32 v14, 0x800000, v52
	v_cndmask_b32_e32 v11, v11, v2, vcc
	v_cndmask_b32_e32 v52, v14, v52, vcc
	v_add_u32_e32 v2, 20, v11
	v_lshlrev_b64 v[2:3], v2, -1
	v_add_u32_e32 v14, 19, v11
	v_lshrrev_b64 v[38:39], v11, v[52:53]
	v_not_b32_e32 v3, v3
	v_not_b32_e32 v2, v2
	v_lshlrev_b64 v[34:35], v14, 1
	v_lshrrev_b32_e32 v14, 23, v38
	v_and_b32_e32 v3, 0, v3
	v_and_b32_e32 v2, v52, v2
	v_add3_u32 v48, v11, v48, v14
	v_bfe_u32 v11, v38, 20, 1
	v_add_u32_e32 v11, -1, v11
	v_cmp_eq_u64_e32 vcc, v[2:3], v[34:35]
	v_cndmask_b32_e32 v2, 0, v11, vcc
	v_add_u32_e32 v2, v2, v38
	v_and_b32_e32 v2, 0xfffff, v2
	v_add_co_u32_e32 v2, vcc, v2, v38
	v_add_u32_e32 v14, 6, v48
	v_addc_co_u32_e32 v3, vcc, 0, v39, vcc
	v_cmp_ne_u32_e32 vcc, 0, v14
                                        ; implicit-def: $vgpr11
	s_and_saveexec_b64 s[20:21], vcc
	s_xor_b64 s[20:21], exec, s[20:21]
; %bb.3631:                             ;   in Loop: Header=BB2_2439 Depth=2
	v_add_u32_e32 v11, 7, v48
	v_cmp_lt_u64_e32 vcc, s[46:47], v[2:3]
	v_cndmask_b32_e32 v11, v14, v11, vcc
	v_cndmask_b32_e64 v14, 0, 1, vcc
	v_lshrrev_b64 v[2:3], v14, v[2:3]
; %bb.3632:                             ;   in Loop: Header=BB2_2439 Depth=2
	s_andn2_saveexec_b64 s[20:21], s[20:21]
; %bb.3633:                             ;   in Loop: Header=BB2_2439 Depth=2
	v_bfe_u32 v11, v2, 23, 1
; %bb.3634:                             ;   in Loop: Header=BB2_2439 Depth=2
	s_or_b64 exec, exec, s[20:21]
	v_lshrrev_b64 v[2:3], 20, v[2:3]
	v_cmp_gt_i32_e32 vcc, 16, v11
	v_cndmask_b32_e32 v3, 0, v3, vcc
	v_cndmask_b32_e32 v2, 7, v2, vcc
	v_cmp_eq_u64_e64 s[20:21], 0, v[2:3]
	v_min_i32_e32 v3, 15, v11
	v_cmp_eq_u32_e32 vcc, 0, v11
	v_lshlrev_b32_e32 v3, 3, v3
	v_and_or_b32 v2, v2, 7, v3
	s_and_b64 s[20:21], vcc, s[20:21]
	v_cndmask_b32_e64 v2, v2, 0, s[20:21]
	v_or_b32_e32 v11, v2, v10
.LBB2_3635:                             ;   in Loop: Header=BB2_2439 Depth=2
	s_or_b64 exec, exec, s[60:61]
.LBB2_3636:                             ;   in Loop: Header=BB2_2439 Depth=2
	s_or_b64 exec, exec, s[58:59]
                                        ; implicit-def: $vgpr3
.LBB2_3637:                             ;   in Loop: Header=BB2_2439 Depth=2
	s_andn2_saveexec_b64 s[20:21], s[56:57]
; %bb.3638:                             ;   in Loop: Header=BB2_2439 Depth=2
	v_or_b32_sdwa v2, v3, s69 dst_sel:DWORD dst_unused:UNUSED_PAD src0_sel:BYTE_3 src1_sel:DWORD
	v_cmp_eq_u64_e32 vcc, 0, v[52:53]
	v_cndmask_b32_e32 v11, v2, v11, vcc
; %bb.3639:                             ;   in Loop: Header=BB2_2439 Depth=2
	s_or_b64 exec, exec, s[20:21]
	v_lshrrev_b32_e32 v10, 16, v17
	v_lshrrev_b32_e32 v2, 16, v13
	s_and_b64 vcc, exec, s[18:19]
	v_cmp_ne_u16_sdwa s[20:21], v10, v53 src0_sel:BYTE_0 src1_sel:DWORD
	s_cbranch_vccnz .LBB2_3653
; %bb.3640:                             ;   in Loop: Header=BB2_2439 Depth=2
	v_mov_b32_e32 v14, 0
	v_mov_b32_e32 v3, 0
	s_and_saveexec_b64 s[56:57], s[20:21]
	s_cbranch_execz .LBB2_3646
; %bb.3641:                             ;   in Loop: Header=BB2_2439 Depth=2
	v_cmp_ne_u16_sdwa vcc, v10, s68 src0_sel:BYTE_0 src1_sel:DWORD
	v_bfrev_b32_e32 v3, 1
	s_and_saveexec_b64 s[58:59], vcc
	s_cbranch_execz .LBB2_3645
; %bb.3642:                             ;   in Loop: Header=BB2_2439 Depth=2
	v_bfe_u32 v48, v17, 16, 7
	v_cmp_ne_u32_e32 vcc, s69, v48
	v_mov_b32_e32 v3, 0x7f800001
	s_and_saveexec_b64 s[60:61], vcc
	s_cbranch_execz .LBB2_3644
; %bb.3643:                             ;   in Loop: Header=BB2_2439 Depth=2
	v_and_b32_e32 v3, 7, v10
	v_ffbh_u32_e32 v34, v3
	v_min_u32_e32 v39, 32, v34
	v_subrev_u32_e32 v34, 28, v39
	v_lshlrev_b64 v[34:35], v34, v[10:11]
	v_lshrrev_b32_e32 v38, 3, v48
	v_sub_u32_e32 v35, 29, v39
	v_and_b32_e32 v34, 7, v34
	v_cmp_gt_u32_e32 vcc, 8, v48
	v_cndmask_b32_e32 v35, v38, v35, vcc
	v_cndmask_b32_e32 v3, v3, v34, vcc
	v_lshlrev_b32_e32 v34, 24, v10
	v_lshlrev_b32_e32 v3, 20, v3
	v_and_b32_e32 v34, 0x80000000, v34
	v_lshl_add_u32 v35, v35, 23, v49
	v_or3_b32 v3, v34, v35, v3
.LBB2_3644:                             ;   in Loop: Header=BB2_2439 Depth=2
	s_or_b64 exec, exec, s[60:61]
.LBB2_3645:                             ;   in Loop: Header=BB2_2439 Depth=2
	s_or_b64 exec, exec, s[58:59]
.LBB2_3646:                             ;   in Loop: Header=BB2_2439 Depth=2
	s_or_b64 exec, exec, s[56:57]
	v_cmp_ne_u16_sdwa vcc, v2, v53 src0_sel:BYTE_0 src1_sel:DWORD
	s_and_saveexec_b64 s[56:57], vcc
	s_cbranch_execz .LBB2_3652
; %bb.3647:                             ;   in Loop: Header=BB2_2439 Depth=2
	v_cmp_ne_u16_sdwa vcc, v2, s68 src0_sel:BYTE_0 src1_sel:DWORD
	v_bfrev_b32_e32 v14, 1
	s_and_saveexec_b64 s[58:59], vcc
	s_cbranch_execz .LBB2_3651
; %bb.3648:                             ;   in Loop: Header=BB2_2439 Depth=2
	v_bfe_u32 v48, v13, 16, 7
	v_cmp_ne_u32_e32 vcc, s69, v48
	v_mov_b32_e32 v14, 0x7f800001
	s_and_saveexec_b64 s[60:61], vcc
	s_cbranch_execz .LBB2_3650
; %bb.3649:                             ;   in Loop: Header=BB2_2439 Depth=2
	v_and_b32_e32 v14, 7, v2
	v_ffbh_u32_e32 v34, v14
	v_min_u32_e32 v39, 32, v34
	v_subrev_u32_e32 v34, 28, v39
	v_lshlrev_b64 v[34:35], v34, v[2:3]
	v_lshrrev_b32_e32 v38, 3, v48
	v_sub_u32_e32 v35, 29, v39
	v_and_b32_e32 v34, 7, v34
	v_cmp_gt_u32_e32 vcc, 8, v48
	v_cndmask_b32_e32 v35, v38, v35, vcc
	v_cndmask_b32_e32 v14, v14, v34, vcc
	v_lshlrev_b32_e32 v34, 24, v2
	v_lshlrev_b32_e32 v14, 20, v14
	v_and_b32_e32 v34, 0x80000000, v34
	v_lshl_add_u32 v35, v35, 23, v49
	v_or3_b32 v14, v34, v35, v14
.LBB2_3650:                             ;   in Loop: Header=BB2_2439 Depth=2
	s_or_b64 exec, exec, s[60:61]
.LBB2_3651:                             ;   in Loop: Header=BB2_2439 Depth=2
	s_or_b64 exec, exec, s[58:59]
.LBB2_3652:                             ;   in Loop: Header=BB2_2439 Depth=2
	s_or_b64 exec, exec, s[56:57]
	v_max_f32_e32 v14, v14, v14
	v_max_f32_e32 v3, v3, v3
	;; [unrolled: 1-line block ×3, first 2 shown]
	s_branch .LBB2_3667
.LBB2_3653:                             ;   in Loop: Header=BB2_2439 Depth=2
                                        ; implicit-def: $vgpr3
	s_cbranch_execz .LBB2_3667
; %bb.3654:                             ;   in Loop: Header=BB2_2439 Depth=2
	v_mov_b32_e32 v14, 0
	v_mov_b32_e32 v3, 0
	s_and_saveexec_b64 s[56:57], s[20:21]
	s_cbranch_execz .LBB2_3660
; %bb.3655:                             ;   in Loop: Header=BB2_2439 Depth=2
	v_cmp_ne_u16_sdwa vcc, v10, s68 src0_sel:BYTE_0 src1_sel:DWORD
	v_bfrev_b32_e32 v3, 1
	s_and_saveexec_b64 s[20:21], vcc
	s_cbranch_execz .LBB2_3659
; %bb.3656:                             ;   in Loop: Header=BB2_2439 Depth=2
	v_bfe_u32 v48, v17, 16, 7
	v_cmp_ne_u32_e32 vcc, s69, v48
	v_mov_b32_e32 v3, 0x7f800001
	s_and_saveexec_b64 s[58:59], vcc
	s_cbranch_execz .LBB2_3658
; %bb.3657:                             ;   in Loop: Header=BB2_2439 Depth=2
	v_and_b32_e32 v3, 7, v10
	v_ffbh_u32_e32 v34, v3
	v_min_u32_e32 v39, 32, v34
	v_subrev_u32_e32 v34, 28, v39
	v_lshlrev_b64 v[34:35], v34, v[10:11]
	v_lshrrev_b32_e32 v38, 3, v48
	v_sub_u32_e32 v35, 29, v39
	v_and_b32_e32 v34, 7, v34
	v_cmp_gt_u32_e32 vcc, 8, v48
	v_cndmask_b32_e32 v35, v38, v35, vcc
	v_cndmask_b32_e32 v3, v3, v34, vcc
	v_lshlrev_b32_e32 v10, 24, v10
	v_lshlrev_b32_e32 v3, 20, v3
	v_and_b32_e32 v10, 0x80000000, v10
	v_lshl_add_u32 v34, v35, 23, v49
	v_or3_b32 v3, v10, v34, v3
.LBB2_3658:                             ;   in Loop: Header=BB2_2439 Depth=2
	s_or_b64 exec, exec, s[58:59]
.LBB2_3659:                             ;   in Loop: Header=BB2_2439 Depth=2
	s_or_b64 exec, exec, s[20:21]
.LBB2_3660:                             ;   in Loop: Header=BB2_2439 Depth=2
	s_or_b64 exec, exec, s[56:57]
	v_cmp_ne_u16_sdwa vcc, v2, v53 src0_sel:BYTE_0 src1_sel:DWORD
	s_and_saveexec_b64 s[20:21], vcc
	s_cbranch_execz .LBB2_3666
; %bb.3661:                             ;   in Loop: Header=BB2_2439 Depth=2
	v_cmp_ne_u16_sdwa vcc, v2, s68 src0_sel:BYTE_0 src1_sel:DWORD
	v_bfrev_b32_e32 v14, 1
	s_and_saveexec_b64 s[56:57], vcc
	s_cbranch_execz .LBB2_3665
; %bb.3662:                             ;   in Loop: Header=BB2_2439 Depth=2
	v_bfe_u32 v10, v13, 16, 7
	v_cmp_ne_u32_e32 vcc, s69, v10
	v_mov_b32_e32 v14, 0x7f800001
	s_and_saveexec_b64 s[58:59], vcc
	s_cbranch_execz .LBB2_3664
; %bb.3663:                             ;   in Loop: Header=BB2_2439 Depth=2
	v_and_b32_e32 v14, 7, v2
	v_ffbh_u32_e32 v34, v14
	v_min_u32_e32 v39, 32, v34
	v_subrev_u32_e32 v34, 28, v39
	v_lshlrev_b64 v[34:35], v34, v[2:3]
	v_lshrrev_b32_e32 v38, 3, v10
	v_sub_u32_e32 v35, 29, v39
	v_and_b32_e32 v34, 7, v34
	v_cmp_gt_u32_e32 vcc, 8, v10
	v_cndmask_b32_e32 v10, v38, v35, vcc
	v_cndmask_b32_e32 v14, v14, v34, vcc
	v_lshlrev_b32_e32 v2, 24, v2
	v_lshlrev_b32_e32 v14, 20, v14
	v_and_b32_e32 v2, 0x80000000, v2
	v_lshl_add_u32 v10, v10, 23, v49
	v_or3_b32 v14, v2, v10, v14
.LBB2_3664:                             ;   in Loop: Header=BB2_2439 Depth=2
	s_or_b64 exec, exec, s[58:59]
.LBB2_3665:                             ;   in Loop: Header=BB2_2439 Depth=2
	s_or_b64 exec, exec, s[56:57]
.LBB2_3666:                             ;   in Loop: Header=BB2_2439 Depth=2
	s_or_b64 exec, exec, s[20:21]
	v_max_f32_e32 v2, v14, v14
	v_max_f32_e32 v3, v3, v3
	v_min_f32_e32 v3, v3, v2
.LBB2_3667:                             ;   in Loop: Header=BB2_2439 Depth=2
	v_and_b32_sdwa v10, v3, s68 dst_sel:DWORD dst_unused:UNUSED_PAD src0_sel:BYTE_3 src1_sel:DWORD
	v_and_b32_e32 v34, 0x7f800000, v3
	v_mov_b32_e32 v35, v53
	v_and_b32_e32 v52, 0x7fffff, v3
	v_or_b32_e32 v14, 0x7e, v10
	v_cmp_ne_u64_e32 vcc, s[40:41], v[34:35]
	s_and_saveexec_b64 s[20:21], vcc
	s_xor_b64 s[56:57], exec, s[20:21]
	s_cbranch_execz .LBB2_3677
; %bb.3668:                             ;   in Loop: Header=BB2_2439 Depth=2
	v_and_b32_e32 v34, 0x7fffffff, v3
	v_mov_b32_e32 v35, v53
	v_cmp_gt_u64_e32 vcc, s[42:43], v[34:35]
	s_and_saveexec_b64 s[58:59], vcc
	s_cbranch_execz .LBB2_3676
; %bb.3669:                             ;   in Loop: Header=BB2_2439 Depth=2
	v_cmp_ne_u32_e32 vcc, 0, v3
	v_mov_b32_e32 v14, 0
	s_and_saveexec_b64 s[60:61], vcc
	s_cbranch_execz .LBB2_3675
; %bb.3670:                             ;   in Loop: Header=BB2_2439 Depth=2
	v_bfe_u32 v2, v3, 23, 8
	v_sub_u32_e32 v14, 0x79, v2
	v_cmp_gt_u32_e32 vcc, s72, v2
	v_add_u32_e32 v3, 0xffffff81, v2
	v_cndmask_b32_e32 v14, 0, v14, vcc
	v_cmp_eq_u32_e32 vcc, 0, v2
	v_mov_b32_e32 v2, 0xffffff82
	v_cndmask_b32_e32 v48, v3, v2, vcc
	v_mov_b32_e32 v2, 0x78
	v_or_b32_e32 v34, 0x800000, v52
	v_cndmask_b32_e32 v14, v14, v2, vcc
	v_cndmask_b32_e32 v52, v34, v52, vcc
	v_add_u32_e32 v2, 20, v14
	v_lshlrev_b64 v[2:3], v2, -1
	v_lshrrev_b64 v[38:39], v14, v[52:53]
	v_not_b32_e32 v3, v3
	v_not_b32_e32 v2, v2
	v_add_u32_e32 v34, 19, v14
	v_lshrrev_b32_e32 v49, 23, v38
	v_and_b32_e32 v3, 0, v3
	v_and_b32_e32 v2, v52, v2
	v_lshlrev_b64 v[34:35], v34, 1
	v_add3_u32 v48, v14, v48, v49
	v_bfe_u32 v14, v38, 20, 1
	v_add_u32_e32 v14, -1, v14
	v_cmp_eq_u64_e32 vcc, v[2:3], v[34:35]
	v_cndmask_b32_e32 v2, 0, v14, vcc
	v_add_u32_e32 v2, v2, v38
	v_and_b32_e32 v2, 0xfffff, v2
	v_add_co_u32_e32 v2, vcc, v2, v38
	v_add_u32_e32 v52, 6, v48
	v_addc_co_u32_e32 v3, vcc, 0, v39, vcc
	v_cmp_ne_u32_e32 vcc, 0, v52
                                        ; implicit-def: $vgpr14
	s_and_saveexec_b64 s[20:21], vcc
	s_xor_b64 s[20:21], exec, s[20:21]
; %bb.3671:                             ;   in Loop: Header=BB2_2439 Depth=2
	v_cmp_lt_u64_e32 vcc, s[46:47], v[2:3]
	v_add_u32_e32 v14, 7, v48
	v_cndmask_b32_e64 v34, 0, 1, vcc
	v_cndmask_b32_e32 v14, v52, v14, vcc
	v_lshrrev_b64 v[2:3], v34, v[2:3]
; %bb.3672:                             ;   in Loop: Header=BB2_2439 Depth=2
	s_andn2_saveexec_b64 s[20:21], s[20:21]
; %bb.3673:                             ;   in Loop: Header=BB2_2439 Depth=2
	v_bfe_u32 v14, v2, 23, 1
; %bb.3674:                             ;   in Loop: Header=BB2_2439 Depth=2
	s_or_b64 exec, exec, s[20:21]
	v_lshrrev_b64 v[2:3], 20, v[2:3]
	v_cmp_gt_i32_e32 vcc, 16, v14
	v_cndmask_b32_e32 v3, 0, v3, vcc
	v_cndmask_b32_e32 v2, 7, v2, vcc
	v_cmp_eq_u64_e64 s[20:21], 0, v[2:3]
	v_min_i32_e32 v3, 15, v14
	v_lshlrev_b32_e32 v3, 3, v3
	v_cmp_eq_u32_e32 vcc, 0, v14
	v_and_b32_e32 v3, 0xf8, v3
	v_and_or_b32 v2, v2, 7, v3
	s_and_b64 s[20:21], vcc, s[20:21]
	v_cndmask_b32_e64 v2, v2, 0, s[20:21]
	v_or_b32_e32 v14, v2, v10
	v_bfrev_b32_e32 v49, 60
.LBB2_3675:                             ;   in Loop: Header=BB2_2439 Depth=2
	s_or_b64 exec, exec, s[60:61]
.LBB2_3676:                             ;   in Loop: Header=BB2_2439 Depth=2
	s_or_b64 exec, exec, s[58:59]
                                        ; implicit-def: $vgpr3
.LBB2_3677:                             ;   in Loop: Header=BB2_2439 Depth=2
	s_andn2_saveexec_b64 s[20:21], s[56:57]
; %bb.3678:                             ;   in Loop: Header=BB2_2439 Depth=2
	v_or_b32_sdwa v2, v3, s69 dst_sel:DWORD dst_unused:UNUSED_PAD src0_sel:BYTE_3 src1_sel:DWORD
	v_cmp_eq_u64_e32 vcc, 0, v[52:53]
	v_cndmask_b32_e32 v14, v2, v14, vcc
; %bb.3679:                             ;   in Loop: Header=BB2_2439 Depth=2
	s_or_b64 exec, exec, s[20:21]
	v_accvgpr_read_b32 v35, a11
	v_lshrrev_b32_e32 v10, 24, v17
	v_lshrrev_b32_e32 v2, 24, v13
	s_and_b64 vcc, exec, s[18:19]
	v_cmp_lt_u64_e64 s[18:19], s[44:45], v[16:17]
	v_accvgpr_read_b32 v34, a10
	s_cbranch_vccnz .LBB2_3693
; %bb.3680:                             ;   in Loop: Header=BB2_2439 Depth=2
	v_mov_b32_e32 v16, 0
	v_mov_b32_e32 v3, 0
	s_and_saveexec_b64 s[20:21], s[18:19]
	s_cbranch_execz .LBB2_3686
; %bb.3681:                             ;   in Loop: Header=BB2_2439 Depth=2
	v_cmp_ne_u32_e32 vcc, s68, v10
	v_bfrev_b32_e32 v3, 1
	s_and_saveexec_b64 s[56:57], vcc
	s_cbranch_execz .LBB2_3685
; %bb.3682:                             ;   in Loop: Header=BB2_2439 Depth=2
	v_bfe_u32 v48, v17, 24, 7
	v_cmp_ne_u32_e32 vcc, s69, v48
	v_mov_b32_e32 v3, 0x7f800001
	s_and_saveexec_b64 s[58:59], vcc
	s_cbranch_execz .LBB2_3684
; %bb.3683:                             ;   in Loop: Header=BB2_2439 Depth=2
	v_and_b32_e32 v3, 7, v10
	v_ffbh_u32_e32 v34, v3
	v_min_u32_e32 v39, 32, v34
	v_subrev_u32_e32 v34, 28, v39
	v_lshlrev_b64 v[34:35], v34, v[10:11]
	v_lshrrev_b32_e32 v38, 3, v48
	v_sub_u32_e32 v35, 29, v39
	v_and_b32_e32 v34, 7, v34
	v_cmp_gt_u32_e32 vcc, 8, v48
	v_cndmask_b32_e32 v35, v38, v35, vcc
	v_cndmask_b32_e32 v3, v3, v34, vcc
	v_lshlrev_b32_e32 v34, 24, v10
	v_lshlrev_b32_e32 v3, 20, v3
	v_and_b32_e32 v34, 0x80000000, v34
	v_lshl_add_u32 v35, v35, 23, v49
	v_or3_b32 v3, v34, v35, v3
	v_accvgpr_read_b32 v35, a11
	v_accvgpr_read_b32 v34, a10
.LBB2_3684:                             ;   in Loop: Header=BB2_2439 Depth=2
	s_or_b64 exec, exec, s[58:59]
.LBB2_3685:                             ;   in Loop: Header=BB2_2439 Depth=2
	s_or_b64 exec, exec, s[56:57]
.LBB2_3686:                             ;   in Loop: Header=BB2_2439 Depth=2
	s_or_b64 exec, exec, s[20:21]
	v_cmp_lt_u64_e32 vcc, s[44:45], v[12:13]
	s_and_saveexec_b64 s[20:21], vcc
	s_cbranch_execz .LBB2_3692
; %bb.3687:                             ;   in Loop: Header=BB2_2439 Depth=2
	v_cmp_ne_u32_e32 vcc, s68, v2
	v_bfrev_b32_e32 v16, 1
	s_and_saveexec_b64 s[56:57], vcc
	s_cbranch_execz .LBB2_3691
; %bb.3688:                             ;   in Loop: Header=BB2_2439 Depth=2
	v_bfe_u32 v48, v13, 24, 7
	v_cmp_ne_u32_e32 vcc, s69, v48
	v_mov_b32_e32 v16, 0x7f800001
	s_and_saveexec_b64 s[58:59], vcc
	s_cbranch_execz .LBB2_3690
; %bb.3689:                             ;   in Loop: Header=BB2_2439 Depth=2
	v_and_b32_e32 v16, 7, v2
	v_ffbh_u32_e32 v34, v16
	v_min_u32_e32 v39, 32, v34
	v_subrev_u32_e32 v34, 28, v39
	v_lshlrev_b64 v[34:35], v34, v[2:3]
	v_lshrrev_b32_e32 v38, 3, v48
	v_sub_u32_e32 v35, 29, v39
	v_and_b32_e32 v34, 7, v34
	v_cmp_gt_u32_e32 vcc, 8, v48
	v_cndmask_b32_e32 v35, v38, v35, vcc
	v_cndmask_b32_e32 v16, v16, v34, vcc
	v_lshlrev_b32_e32 v34, 24, v2
	v_lshlrev_b32_e32 v16, 20, v16
	v_and_b32_e32 v34, 0x80000000, v34
	v_lshl_add_u32 v35, v35, 23, v49
	v_or3_b32 v16, v34, v35, v16
	v_accvgpr_read_b32 v35, a11
	v_accvgpr_read_b32 v34, a10
.LBB2_3690:                             ;   in Loop: Header=BB2_2439 Depth=2
	s_or_b64 exec, exec, s[58:59]
.LBB2_3691:                             ;   in Loop: Header=BB2_2439 Depth=2
	s_or_b64 exec, exec, s[56:57]
.LBB2_3692:                             ;   in Loop: Header=BB2_2439 Depth=2
	s_or_b64 exec, exec, s[20:21]
	v_max_f32_e32 v16, v16, v16
	v_max_f32_e32 v3, v3, v3
	;; [unrolled: 1-line block ×3, first 2 shown]
	s_branch .LBB2_3707
.LBB2_3693:                             ;   in Loop: Header=BB2_2439 Depth=2
                                        ; implicit-def: $vgpr3
	s_cbranch_execz .LBB2_3707
; %bb.3694:                             ;   in Loop: Header=BB2_2439 Depth=2
	v_mov_b32_e32 v16, 0
	v_mov_b32_e32 v3, 0
	s_and_saveexec_b64 s[20:21], s[18:19]
	s_cbranch_execz .LBB2_3700
; %bb.3695:                             ;   in Loop: Header=BB2_2439 Depth=2
	v_cmp_ne_u32_e32 vcc, s68, v10
	v_bfrev_b32_e32 v3, 1
	s_and_saveexec_b64 s[18:19], vcc
	s_cbranch_execz .LBB2_3699
; %bb.3696:                             ;   in Loop: Header=BB2_2439 Depth=2
	v_bfe_u32 v17, v17, 24, 7
	v_cmp_ne_u32_e32 vcc, s69, v17
	v_mov_b32_e32 v3, 0x7f800001
	s_and_saveexec_b64 s[56:57], vcc
	s_cbranch_execz .LBB2_3698
; %bb.3697:                             ;   in Loop: Header=BB2_2439 Depth=2
	v_and_b32_e32 v3, 7, v10
	v_ffbh_u32_e32 v34, v3
	v_min_u32_e32 v39, 32, v34
	v_subrev_u32_e32 v34, 28, v39
	v_lshlrev_b64 v[34:35], v34, v[10:11]
	v_lshrrev_b32_e32 v38, 3, v17
	v_sub_u32_e32 v35, 29, v39
	v_and_b32_e32 v34, 7, v34
	v_cmp_gt_u32_e32 vcc, 8, v17
	v_cndmask_b32_e32 v17, v38, v35, vcc
	v_cndmask_b32_e32 v3, v3, v34, vcc
	v_lshlrev_b32_e32 v10, 24, v10
	v_accvgpr_read_b32 v35, a11
	v_lshlrev_b32_e32 v3, 20, v3
	v_and_b32_e32 v10, 0x80000000, v10
	v_lshl_add_u32 v17, v17, 23, v49
	v_accvgpr_read_b32 v34, a10
	v_or3_b32 v3, v10, v17, v3
.LBB2_3698:                             ;   in Loop: Header=BB2_2439 Depth=2
	s_or_b64 exec, exec, s[56:57]
.LBB2_3699:                             ;   in Loop: Header=BB2_2439 Depth=2
	s_or_b64 exec, exec, s[18:19]
.LBB2_3700:                             ;   in Loop: Header=BB2_2439 Depth=2
	s_or_b64 exec, exec, s[20:21]
	v_cmp_lt_u64_e32 vcc, s[44:45], v[12:13]
	s_and_saveexec_b64 s[18:19], vcc
	s_cbranch_execz .LBB2_3706
; %bb.3701:                             ;   in Loop: Header=BB2_2439 Depth=2
	v_cmp_ne_u32_e32 vcc, s68, v2
	v_bfrev_b32_e32 v16, 1
	s_and_saveexec_b64 s[20:21], vcc
	s_cbranch_execz .LBB2_3705
; %bb.3702:                             ;   in Loop: Header=BB2_2439 Depth=2
	v_bfe_u32 v10, v13, 24, 7
	v_cmp_ne_u32_e32 vcc, s69, v10
	v_mov_b32_e32 v16, 0x7f800001
	s_and_saveexec_b64 s[56:57], vcc
	s_cbranch_execz .LBB2_3704
; %bb.3703:                             ;   in Loop: Header=BB2_2439 Depth=2
	v_and_b32_e32 v16, 7, v2
	v_ffbh_u32_e32 v12, v16
	v_min_u32_e32 v34, 32, v12
	v_subrev_u32_e32 v12, 28, v34
	v_lshlrev_b64 v[12:13], v12, v[2:3]
	v_lshrrev_b32_e32 v17, 3, v10
	v_sub_u32_e32 v13, 29, v34
	v_and_b32_e32 v12, 7, v12
	v_cmp_gt_u32_e32 vcc, 8, v10
	v_cndmask_b32_e32 v10, v17, v13, vcc
	v_cndmask_b32_e32 v12, v16, v12, vcc
	v_lshlrev_b32_e32 v2, 24, v2
	v_accvgpr_read_b32 v35, a11
	v_lshlrev_b32_e32 v12, 20, v12
	v_and_b32_e32 v2, 0x80000000, v2
	v_lshl_add_u32 v10, v10, 23, v49
	v_accvgpr_read_b32 v34, a10
	v_or3_b32 v16, v2, v10, v12
.LBB2_3704:                             ;   in Loop: Header=BB2_2439 Depth=2
	s_or_b64 exec, exec, s[56:57]
.LBB2_3705:                             ;   in Loop: Header=BB2_2439 Depth=2
	s_or_b64 exec, exec, s[20:21]
.LBB2_3706:                             ;   in Loop: Header=BB2_2439 Depth=2
	s_or_b64 exec, exec, s[18:19]
	v_max_f32_e32 v2, v16, v16
	v_max_f32_e32 v3, v3, v3
	v_min_f32_e32 v3, v3, v2
.LBB2_3707:                             ;   in Loop: Header=BB2_2439 Depth=2
	v_and_b32_sdwa v10, v3, s68 dst_sel:DWORD dst_unused:UNUSED_PAD src0_sel:BYTE_3 src1_sel:DWORD
	v_and_b32_e32 v12, 0x7f800000, v3
	v_mov_b32_e32 v13, v53
	v_and_b32_e32 v52, 0x7fffff, v3
	v_or_b32_e32 v2, 0x7e, v10
	v_cmp_ne_u64_e32 vcc, s[40:41], v[12:13]
	s_and_saveexec_b64 s[18:19], vcc
	s_xor_b64 s[20:21], exec, s[18:19]
	s_cbranch_execz .LBB2_3717
; %bb.3708:                             ;   in Loop: Header=BB2_2439 Depth=2
	v_and_b32_e32 v12, 0x7fffffff, v3
	v_mov_b32_e32 v13, v53
	v_cmp_gt_u64_e32 vcc, s[42:43], v[12:13]
	s_and_saveexec_b64 s[56:57], vcc
	s_cbranch_execz .LBB2_3716
; %bb.3709:                             ;   in Loop: Header=BB2_2439 Depth=2
	v_cmp_ne_u32_e32 vcc, 0, v3
	v_mov_b32_e32 v2, 0
	s_and_saveexec_b64 s[58:59], vcc
	s_cbranch_execz .LBB2_3715
; %bb.3710:                             ;   in Loop: Header=BB2_2439 Depth=2
	v_bfe_u32 v2, v3, 23, 8
	v_sub_u32_e32 v12, 0x79, v2
	v_cmp_gt_u32_e32 vcc, s72, v2
	v_add_u32_e32 v3, 0xffffff81, v2
	v_cndmask_b32_e32 v12, 0, v12, vcc
	v_cmp_eq_u32_e32 vcc, 0, v2
	v_mov_b32_e32 v2, 0xffffff82
	v_cndmask_b32_e32 v16, v3, v2, vcc
	v_mov_b32_e32 v2, 0x78
	v_or_b32_e32 v13, 0x800000, v52
	v_cndmask_b32_e32 v12, v12, v2, vcc
	v_cndmask_b32_e32 v52, v13, v52, vcc
	v_add_u32_e32 v2, 20, v12
	v_lshlrev_b64 v[2:3], v2, -1
	v_add_u32_e32 v13, 19, v12
	v_lshrrev_b64 v[38:39], v12, v[52:53]
	v_not_b32_e32 v3, v3
	v_not_b32_e32 v2, v2
	v_lshlrev_b64 v[34:35], v13, 1
	v_lshrrev_b32_e32 v13, 23, v38
	v_and_b32_e32 v3, 0, v3
	v_and_b32_e32 v2, v52, v2
	v_add3_u32 v16, v12, v16, v13
	v_bfe_u32 v12, v38, 20, 1
	v_add_u32_e32 v12, -1, v12
	v_cmp_eq_u64_e32 vcc, v[2:3], v[34:35]
	v_cndmask_b32_e32 v2, 0, v12, vcc
	v_add_u32_e32 v2, v2, v38
	v_and_b32_e32 v2, 0xfffff, v2
	v_add_co_u32_e32 v2, vcc, v2, v38
	v_add_u32_e32 v13, 6, v16
	v_addc_co_u32_e32 v3, vcc, 0, v39, vcc
	v_cmp_ne_u32_e32 vcc, 0, v13
                                        ; implicit-def: $vgpr12
	s_and_saveexec_b64 s[18:19], vcc
	s_xor_b64 s[18:19], exec, s[18:19]
; %bb.3711:                             ;   in Loop: Header=BB2_2439 Depth=2
	v_add_u32_e32 v12, 7, v16
	v_cmp_lt_u64_e32 vcc, s[46:47], v[2:3]
	v_cndmask_b32_e32 v12, v13, v12, vcc
	v_cndmask_b32_e64 v13, 0, 1, vcc
	v_lshrrev_b64 v[2:3], v13, v[2:3]
; %bb.3712:                             ;   in Loop: Header=BB2_2439 Depth=2
	s_andn2_saveexec_b64 s[18:19], s[18:19]
; %bb.3713:                             ;   in Loop: Header=BB2_2439 Depth=2
	v_bfe_u32 v12, v2, 23, 1
; %bb.3714:                             ;   in Loop: Header=BB2_2439 Depth=2
	s_or_b64 exec, exec, s[18:19]
	v_lshrrev_b64 v[2:3], 20, v[2:3]
	v_cmp_gt_i32_e32 vcc, 16, v12
	v_cndmask_b32_e32 v3, 0, v3, vcc
	v_cndmask_b32_e32 v2, 7, v2, vcc
	v_cmp_eq_u64_e64 s[18:19], 0, v[2:3]
	v_min_i32_e32 v3, 15, v12
	v_lshlrev_b32_e32 v3, 3, v3
	v_cmp_eq_u32_e32 vcc, 0, v12
	v_and_b32_e32 v3, 0xf8, v3
	v_and_or_b32 v2, v2, 7, v3
	s_and_b64 s[18:19], vcc, s[18:19]
	v_cndmask_b32_e64 v2, v2, 0, s[18:19]
	v_accvgpr_read_b32 v35, a11
	v_or_b32_e32 v2, v2, v10
	v_accvgpr_read_b32 v34, a10
.LBB2_3715:                             ;   in Loop: Header=BB2_2439 Depth=2
	s_or_b64 exec, exec, s[58:59]
.LBB2_3716:                             ;   in Loop: Header=BB2_2439 Depth=2
	s_or_b64 exec, exec, s[56:57]
                                        ; implicit-def: $vgpr3
.LBB2_3717:                             ;   in Loop: Header=BB2_2439 Depth=2
	s_andn2_saveexec_b64 s[18:19], s[20:21]
	s_cbranch_execz .LBB2_2438
; %bb.3718:                             ;   in Loop: Header=BB2_2439 Depth=2
	v_or_b32_sdwa v3, v3, s69 dst_sel:DWORD dst_unused:UNUSED_PAD src0_sel:BYTE_3 src1_sel:DWORD
	v_cmp_eq_u64_e32 vcc, 0, v[52:53]
	v_cndmask_b32_e32 v2, v3, v2, vcc
	s_branch .LBB2_2438
.LBB2_3719:                             ;   in Loop: Header=BB2_2366 Depth=1
	s_or_b64 exec, exec, s[52:53]
	v_accvgpr_read_b32 v46, a0
	v_accvgpr_read_b32 v47, a1
	;; [unrolled: 1-line block ×7, first 2 shown]
.LBB2_3720:                             ;   in Loop: Header=BB2_2366 Depth=1
	s_or_b64 exec, exec, s[22:23]
	v_accvgpr_read_b32 v0, a35
	v_and_b32_e32 v3, 0x3ffff800, v0
	v_cmp_ne_u32_e32 vcc, v3, v0
	s_mov_b64 s[18:19], 0
	v_mov_b32_e32 v0, 0
                                        ; implicit-def: $vgpr1
                                        ; implicit-def: $vgpr17
                                        ; implicit-def: $vgpr2
	s_and_saveexec_b64 s[22:23], vcc
	s_cbranch_execz .LBB2_4368
; %bb.3721:                             ;   in Loop: Header=BB2_2366 Depth=1
	v_lshlrev_b32_e32 v0, 6, v45
	v_accvgpr_read_b32 v2, a21
	v_sub_u32_e32 v0, v2, v0
	v_ashrrev_i32_e32 v2, 31, v0
	v_lshrrev_b32_e32 v2, 26, v2
	v_add_u32_e32 v2, v0, v2
	v_accvgpr_read_b32 v5, a35
	v_ashrrev_i32_e32 v4, 6, v2
	v_and_b32_e32 v2, 0xffffffc0, v2
	v_and_b32_e32 v1, 0x7ff, v5
	v_sub_u32_e32 v29, v0, v2
	v_bfe_u32 v2, v5, 10, 1
	v_and_b32_e32 v5, 0x400, v5
	v_lshlrev_b32_e32 v0, 4, v29
	v_sub_u32_e32 v31, v1, v5
	v_lshl_add_u32 v0, v4, 10, v0
	v_cmp_lt_i32_e64 s[18:19], 15, v31
	v_sub_u32_e32 v34, v1, v0
	v_addc_co_u32_e64 v1, vcc, 0, v2, s[18:19]
	v_sub_u32_e32 v30, v1, v4
	v_cmp_lt_i32_e32 vcc, 15, v34
	s_mov_b64 s[52:53], exec
	s_and_b64 s[20:21], s[52:53], vcc
	v_accvgpr_read_b32 v44, a28
	s_mov_b64 exec, s[20:21]
	s_cbranch_execz .LBB2_4365
; %bb.3722:                             ;   in Loop: Header=BB2_2366 Depth=1
	s_trap 2
	ds_read_b128 v[10:13], v0
	v_add_u32_e32 v2, v0, v3
	ds_read_b64 v[0:1], v0
	v_ashrrev_i32_e32 v3, 31, v2
	s_bitcmp1_b32 s64, 0
	s_waitcnt lgkmcnt(0)
	v_add_co_u32_e32 v18, vcc, v10, v2
	v_addc_co_u32_e32 v19, vcc, v11, v3, vcc
	v_add_co_u32_e32 v20, vcc, v12, v2
	v_addc_co_u32_e32 v21, vcc, v13, v3, vcc
	s_waitcnt lgkmcnt(0)
	v_add_co_u32_e32 v22, vcc, v0, v2
	v_addc_co_u32_e32 v23, vcc, v1, v3, vcc
	s_mov_b64 s[54:55], 0
	s_cselect_b64 s[56:57], -1, 0
	s_branch .LBB2_3724
.LBB2_3723:                             ;   in Loop: Header=BB2_3724 Depth=2
	s_or_b64 exec, exec, s[20:21]
	v_lshlrev_b32_e32 v3, 8, v25
	v_perm_b32 v3, v3, v27, s73
	v_lshl_or_b32 v3, v28, 16, v3
	v_and_b32_e32 v0, 0xff, v0
	v_lshlrev_b32_e32 v10, 8, v50
	v_lshl_or_b32 v39, v15, 24, v3
	v_lshlrev_b32_e32 v3, 24, v26
	v_lshlrev_b32_e32 v0, 16, v0
	v_perm_b32 v10, v10, v35, s73
	v_or3_b32 v38, v3, v0, v10
	v_and_b32_e32 v0, 0xff, v1
	v_lshlrev_b32_e32 v3, 8, v54
	v_lshlrev_b32_e32 v1, 24, v4
	;; [unrolled: 1-line block ×3, first 2 shown]
	v_perm_b32 v3, v3, v24, s73
	v_or3_b32 v40, v1, v0, v3
	v_lshlrev_b32_e32 v0, 8, v11
	v_add_co_u32_e32 v18, vcc, v18, v59
	v_perm_b32 v0, v0, v5, s73
	v_addc_co_u32_e32 v19, vcc, v19, v44, vcc
	v_lshl_or_b32 v0, v14, 16, v0
	v_add_co_u32_e32 v20, vcc, v20, v59
	v_lshl_or_b32 v41, v2, 24, v0
	v_addc_co_u32_e32 v21, vcc, v21, v44, vcc
	global_store_dwordx4 v[22:23], v[38:41], off glc slc
	v_add_co_u32_e32 v22, vcc, v22, v59
	v_addc_co_u32_e32 v23, vcc, v23, v44, vcc
	v_sub_u32_e32 v34, v34, v57
	v_cmp_gt_i32_e32 vcc, 16, v34
	s_or_b64 s[54:55], vcc, s[54:55]
	v_sub_u32_e32 v30, v30, v60
	s_andn2_b64 exec, exec, s[54:55]
	s_cbranch_execz .LBB2_4364
.LBB2_3724:                             ;   Parent Loop BB2_2366 Depth=1
                                        ; =>  This Inner Loop Header: Depth=2
	global_load_dwordx4 v[14:17], v[18:19], off glc slc
	global_load_dwordx4 v[10:13], v[20:21], off glc slc
	s_and_b64 vcc, exec, s[56:57]
	s_waitcnt vmcnt(0)
	v_cmp_ne_u16_sdwa s[20:21], v14, v53 src0_sel:BYTE_0 src1_sel:DWORD
	s_cbranch_vccz .LBB2_3738
; %bb.3725:                             ;   in Loop: Header=BB2_3724 Depth=2
	v_mov_b32_e32 v1, 0
	v_mov_b32_e32 v0, 0
	s_and_saveexec_b64 s[58:59], s[20:21]
	s_cbranch_execz .LBB2_3731
; %bb.3726:                             ;   in Loop: Header=BB2_3724 Depth=2
	v_cmp_ne_u16_sdwa vcc, v14, s68 src0_sel:BYTE_0 src1_sel:DWORD
	v_bfrev_b32_e32 v0, 1
	s_and_saveexec_b64 s[60:61], vcc
	s_cbranch_execz .LBB2_3730
; %bb.3727:                             ;   in Loop: Header=BB2_3724 Depth=2
	v_and_b32_e32 v2, 0x7f, v14
	v_cmp_ne_u32_e32 vcc, s69, v2
	v_mov_b32_e32 v0, 0x7f800001
	s_and_saveexec_b64 s[62:63], vcc
	s_cbranch_execz .LBB2_3729
; %bb.3728:                             ;   in Loop: Header=BB2_3724 Depth=2
	v_and_b32_e32 v0, 7, v14
	v_ffbh_u32_e32 v0, v0
	v_min_u32_e32 v0, 32, v0
	v_subrev_u32_e32 v4, 28, v0
	v_cmp_gt_u32_e32 vcc, 8, v2
	v_lshrrev_b32_e32 v3, 3, v2
	v_sub_u32_e32 v0, 29, v0
	v_cndmask_b32_e32 v2, 0, v4, vcc
	v_cndmask_b32_e32 v0, v3, v0, vcc
	v_lshlrev_b64 v[2:3], v2, v[14:15]
	v_lshlrev_b32_e32 v2, 20, v2
	v_lshlrev_b32_e32 v3, 24, v14
	v_and_b32_e32 v2, 0x700000, v2
	v_and_b32_e32 v3, 0x80000000, v3
	v_lshl_add_u32 v0, v0, 23, v49
	v_or3_b32 v0, v3, v0, v2
.LBB2_3729:                             ;   in Loop: Header=BB2_3724 Depth=2
	s_or_b64 exec, exec, s[62:63]
.LBB2_3730:                             ;   in Loop: Header=BB2_3724 Depth=2
	s_or_b64 exec, exec, s[60:61]
.LBB2_3731:                             ;   in Loop: Header=BB2_3724 Depth=2
	s_or_b64 exec, exec, s[58:59]
	s_waitcnt vmcnt(0)
	v_cmp_ne_u16_sdwa vcc, v10, v53 src0_sel:BYTE_0 src1_sel:DWORD
	s_and_saveexec_b64 s[58:59], vcc
	s_cbranch_execz .LBB2_3737
; %bb.3732:                             ;   in Loop: Header=BB2_3724 Depth=2
	v_cmp_ne_u16_sdwa vcc, v10, s68 src0_sel:BYTE_0 src1_sel:DWORD
	v_bfrev_b32_e32 v1, 1
	s_and_saveexec_b64 s[60:61], vcc
	s_cbranch_execz .LBB2_3736
; %bb.3733:                             ;   in Loop: Header=BB2_3724 Depth=2
	v_and_b32_e32 v2, 0x7f, v10
	v_cmp_ne_u32_e32 vcc, s69, v2
	v_mov_b32_e32 v1, 0x7f800001
	s_and_saveexec_b64 s[62:63], vcc
	s_cbranch_execz .LBB2_3735
; %bb.3734:                             ;   in Loop: Header=BB2_3724 Depth=2
	v_and_b32_e32 v1, 7, v10
	v_ffbh_u32_e32 v1, v1
	v_min_u32_e32 v1, 32, v1
	v_subrev_u32_e32 v4, 28, v1
	v_cmp_gt_u32_e32 vcc, 8, v2
	v_lshrrev_b32_e32 v3, 3, v2
	v_sub_u32_e32 v1, 29, v1
	v_cndmask_b32_e32 v2, 0, v4, vcc
	v_cndmask_b32_e32 v1, v3, v1, vcc
	v_lshlrev_b64 v[2:3], v2, v[10:11]
	v_lshlrev_b32_e32 v2, 20, v2
	v_lshlrev_b32_e32 v3, 24, v10
	v_and_b32_e32 v2, 0x700000, v2
	v_and_b32_e32 v3, 0x80000000, v3
	v_lshl_add_u32 v1, v1, 23, v49
	v_or3_b32 v1, v3, v1, v2
.LBB2_3735:                             ;   in Loop: Header=BB2_3724 Depth=2
	s_or_b64 exec, exec, s[62:63]
.LBB2_3736:                             ;   in Loop: Header=BB2_3724 Depth=2
	s_or_b64 exec, exec, s[60:61]
.LBB2_3737:                             ;   in Loop: Header=BB2_3724 Depth=2
	s_or_b64 exec, exec, s[58:59]
	v_max_f32_e32 v1, v1, v1
	v_max_f32_e32 v0, v0, v0
	;; [unrolled: 1-line block ×3, first 2 shown]
	s_branch .LBB2_3752
.LBB2_3738:                             ;   in Loop: Header=BB2_3724 Depth=2
                                        ; implicit-def: $vgpr1
	s_cbranch_execz .LBB2_3752
; %bb.3739:                             ;   in Loop: Header=BB2_3724 Depth=2
	v_mov_b32_e32 v1, 0
	v_mov_b32_e32 v0, 0
	s_and_saveexec_b64 s[58:59], s[20:21]
	s_cbranch_execz .LBB2_3745
; %bb.3740:                             ;   in Loop: Header=BB2_3724 Depth=2
	v_cmp_ne_u16_sdwa vcc, v14, s68 src0_sel:BYTE_0 src1_sel:DWORD
	v_bfrev_b32_e32 v0, 1
	s_and_saveexec_b64 s[20:21], vcc
	s_cbranch_execz .LBB2_3744
; %bb.3741:                             ;   in Loop: Header=BB2_3724 Depth=2
	v_and_b32_e32 v2, 0x7f, v14
	v_cmp_ne_u32_e32 vcc, s69, v2
	v_mov_b32_e32 v0, 0x7f800001
	s_and_saveexec_b64 s[60:61], vcc
	s_cbranch_execz .LBB2_3743
; %bb.3742:                             ;   in Loop: Header=BB2_3724 Depth=2
	v_and_b32_e32 v0, 7, v14
	v_ffbh_u32_e32 v0, v0
	v_min_u32_e32 v0, 32, v0
	v_subrev_u32_e32 v4, 28, v0
	v_cmp_gt_u32_e32 vcc, 8, v2
	v_lshrrev_b32_e32 v3, 3, v2
	v_sub_u32_e32 v0, 29, v0
	v_cndmask_b32_e32 v2, 0, v4, vcc
	v_cndmask_b32_e32 v0, v3, v0, vcc
	v_lshlrev_b64 v[2:3], v2, v[14:15]
	v_lshlrev_b32_e32 v2, 20, v2
	v_lshlrev_b32_e32 v3, 24, v14
	v_and_b32_e32 v2, 0x700000, v2
	v_and_b32_e32 v3, 0x80000000, v3
	v_lshl_add_u32 v0, v0, 23, v49
	v_or3_b32 v0, v3, v0, v2
.LBB2_3743:                             ;   in Loop: Header=BB2_3724 Depth=2
	s_or_b64 exec, exec, s[60:61]
.LBB2_3744:                             ;   in Loop: Header=BB2_3724 Depth=2
	s_or_b64 exec, exec, s[20:21]
.LBB2_3745:                             ;   in Loop: Header=BB2_3724 Depth=2
	s_or_b64 exec, exec, s[58:59]
	s_waitcnt vmcnt(0)
	v_cmp_ne_u16_sdwa vcc, v10, v53 src0_sel:BYTE_0 src1_sel:DWORD
	s_and_saveexec_b64 s[20:21], vcc
	s_cbranch_execz .LBB2_3751
; %bb.3746:                             ;   in Loop: Header=BB2_3724 Depth=2
	v_cmp_ne_u16_sdwa vcc, v10, s68 src0_sel:BYTE_0 src1_sel:DWORD
	v_bfrev_b32_e32 v1, 1
	s_and_saveexec_b64 s[58:59], vcc
	s_cbranch_execz .LBB2_3750
; %bb.3747:                             ;   in Loop: Header=BB2_3724 Depth=2
	v_and_b32_e32 v2, 0x7f, v10
	v_cmp_ne_u32_e32 vcc, s69, v2
	v_mov_b32_e32 v1, 0x7f800001
	s_and_saveexec_b64 s[60:61], vcc
	s_cbranch_execz .LBB2_3749
; %bb.3748:                             ;   in Loop: Header=BB2_3724 Depth=2
	v_and_b32_e32 v1, 7, v10
	v_ffbh_u32_e32 v1, v1
	v_min_u32_e32 v1, 32, v1
	v_subrev_u32_e32 v4, 28, v1
	v_cmp_gt_u32_e32 vcc, 8, v2
	v_lshrrev_b32_e32 v3, 3, v2
	v_sub_u32_e32 v1, 29, v1
	v_cndmask_b32_e32 v2, 0, v4, vcc
	v_cndmask_b32_e32 v1, v3, v1, vcc
	v_lshlrev_b64 v[2:3], v2, v[10:11]
	v_lshlrev_b32_e32 v2, 20, v2
	v_lshlrev_b32_e32 v3, 24, v10
	v_and_b32_e32 v2, 0x700000, v2
	v_and_b32_e32 v3, 0x80000000, v3
	v_lshl_add_u32 v1, v1, 23, v49
	v_or3_b32 v1, v3, v1, v2
.LBB2_3749:                             ;   in Loop: Header=BB2_3724 Depth=2
	s_or_b64 exec, exec, s[60:61]
.LBB2_3750:                             ;   in Loop: Header=BB2_3724 Depth=2
	s_or_b64 exec, exec, s[58:59]
.LBB2_3751:                             ;   in Loop: Header=BB2_3724 Depth=2
	s_or_b64 exec, exec, s[20:21]
	v_max_f32_e32 v1, v1, v1
	v_max_f32_e32 v0, v0, v0
	v_min_f32_e32 v1, v0, v1
.LBB2_3752:                             ;   in Loop: Header=BB2_3724 Depth=2
	v_and_b32_sdwa v0, v1, s68 dst_sel:DWORD dst_unused:UNUSED_PAD src0_sel:BYTE_3 src1_sel:DWORD
	v_and_b32_e32 v2, 0x7f800000, v1
	v_mov_b32_e32 v3, v53
	v_and_b32_e32 v52, 0x7fffff, v1
	v_or_b32_e32 v35, 0x7e, v0
	v_cmp_ne_u64_e32 vcc, s[40:41], v[2:3]
	s_and_saveexec_b64 s[20:21], vcc
	s_xor_b64 s[58:59], exec, s[20:21]
	s_cbranch_execz .LBB2_3762
; %bb.3753:                             ;   in Loop: Header=BB2_3724 Depth=2
	v_and_b32_e32 v2, 0x7fffffff, v1
	v_mov_b32_e32 v3, v53
	v_cmp_gt_u64_e32 vcc, s[42:43], v[2:3]
	s_and_saveexec_b64 s[60:61], vcc
	s_cbranch_execz .LBB2_3761
; %bb.3754:                             ;   in Loop: Header=BB2_3724 Depth=2
	v_cmp_ne_u32_e32 vcc, 0, v1
	v_mov_b32_e32 v35, 0
	s_and_saveexec_b64 s[62:63], vcc
	s_cbranch_execz .LBB2_3760
; %bb.3755:                             ;   in Loop: Header=BB2_3724 Depth=2
	v_bfe_u32 v1, v1, 23, 8
	v_sub_u32_e32 v3, 0x79, v1
	v_cmp_gt_u32_e32 vcc, s72, v1
	v_add_u32_e32 v2, 0xffffff81, v1
	v_cndmask_b32_e32 v3, 0, v3, vcc
	v_cmp_eq_u32_e32 vcc, 0, v1
	v_mov_b32_e32 v1, 0xffffff82
	v_cndmask_b32_e32 v1, v2, v1, vcc
	v_mov_b32_e32 v2, 0x78
	v_or_b32_e32 v4, 0x800000, v52
	v_cndmask_b32_e32 v5, v3, v2, vcc
	v_cndmask_b32_e32 v52, v4, v52, vcc
	v_add_u32_e32 v2, 20, v5
	v_lshlrev_b64 v[2:3], v2, -1
	v_add_u32_e32 v4, 19, v5
	v_lshrrev_b64 v[26:27], v5, v[52:53]
	v_not_b32_e32 v3, v3
	v_not_b32_e32 v2, v2
	v_lshlrev_b64 v[24:25], v4, 1
	v_lshrrev_b32_e32 v4, 23, v26
	v_and_b32_e32 v3, 0, v3
	v_and_b32_e32 v2, v52, v2
	v_add3_u32 v5, v5, v1, v4
	v_bfe_u32 v1, v26, 20, 1
	v_add_u32_e32 v1, -1, v1
	v_cmp_eq_u64_e32 vcc, v[2:3], v[24:25]
	v_cndmask_b32_e32 v1, 0, v1, vcc
	v_add_u32_e32 v1, v1, v26
	v_and_b32_e32 v1, 0xfffff, v1
	v_add_co_u32_e32 v2, vcc, v1, v26
	v_add_u32_e32 v4, 6, v5
	v_addc_co_u32_e32 v3, vcc, 0, v27, vcc
	v_cmp_ne_u32_e32 vcc, 0, v4
                                        ; implicit-def: $vgpr1
	s_and_saveexec_b64 s[20:21], vcc
	s_xor_b64 s[20:21], exec, s[20:21]
; %bb.3756:                             ;   in Loop: Header=BB2_3724 Depth=2
	v_add_u32_e32 v1, 7, v5
	v_cmp_lt_u64_e32 vcc, s[46:47], v[2:3]
	v_cndmask_b32_e32 v1, v4, v1, vcc
	v_cndmask_b32_e64 v4, 0, 1, vcc
	v_lshrrev_b64 v[2:3], v4, v[2:3]
; %bb.3757:                             ;   in Loop: Header=BB2_3724 Depth=2
	s_andn2_saveexec_b64 s[20:21], s[20:21]
; %bb.3758:                             ;   in Loop: Header=BB2_3724 Depth=2
	v_bfe_u32 v1, v2, 23, 1
; %bb.3759:                             ;   in Loop: Header=BB2_3724 Depth=2
	s_or_b64 exec, exec, s[20:21]
	v_lshrrev_b64 v[2:3], 20, v[2:3]
	v_cmp_gt_i32_e32 vcc, 16, v1
	v_cndmask_b32_e32 v3, 0, v3, vcc
	v_cndmask_b32_e32 v2, 7, v2, vcc
	v_cmp_eq_u32_e32 vcc, 0, v1
	v_min_i32_e32 v1, 15, v1
	v_cmp_eq_u64_e64 s[20:21], 0, v[2:3]
	v_lshlrev_b32_e32 v1, 3, v1
	v_and_or_b32 v1, v2, 7, v1
	s_and_b64 s[20:21], vcc, s[20:21]
	v_cndmask_b32_e64 v1, v1, 0, s[20:21]
	v_or_b32_e32 v35, v1, v0
.LBB2_3760:                             ;   in Loop: Header=BB2_3724 Depth=2
	s_or_b64 exec, exec, s[62:63]
.LBB2_3761:                             ;   in Loop: Header=BB2_3724 Depth=2
	s_or_b64 exec, exec, s[60:61]
                                        ; implicit-def: $vgpr1
.LBB2_3762:                             ;   in Loop: Header=BB2_3724 Depth=2
	s_andn2_saveexec_b64 s[20:21], s[58:59]
; %bb.3763:                             ;   in Loop: Header=BB2_3724 Depth=2
	v_or_b32_sdwa v0, v1, s69 dst_sel:DWORD dst_unused:UNUSED_PAD src0_sel:BYTE_3 src1_sel:DWORD
	v_cmp_eq_u64_e32 vcc, 0, v[52:53]
	v_cndmask_b32_e32 v35, v0, v35, vcc
; %bb.3764:                             ;   in Loop: Header=BB2_3724 Depth=2
	s_or_b64 exec, exec, s[20:21]
	v_lshrrev_b16_e32 v24, 8, v14
	s_waitcnt vmcnt(0)
	v_lshrrev_b16_e32 v2, 8, v10
	v_cmp_ne_u16_e64 s[20:21], 0, v24
	s_and_b64 vcc, exec, s[56:57]
	s_cbranch_vccz .LBB2_3778
; %bb.3765:                             ;   in Loop: Header=BB2_3724 Depth=2
	v_mov_b32_e32 v1, 0
	v_mov_b32_e32 v0, 0
	s_and_saveexec_b64 s[58:59], s[20:21]
	s_cbranch_execz .LBB2_3771
; %bb.3766:                             ;   in Loop: Header=BB2_3724 Depth=2
	v_cmp_ne_u16_e32 vcc, s68, v24
	v_bfrev_b32_e32 v0, 1
	s_and_saveexec_b64 s[60:61], vcc
	s_cbranch_execz .LBB2_3770
; %bb.3767:                             ;   in Loop: Header=BB2_3724 Depth=2
	v_and_b32_e32 v3, 0x7f, v24
	v_cmp_ne_u32_e32 vcc, s69, v3
	v_mov_b32_e32 v0, 0x7f800001
	s_and_saveexec_b64 s[62:63], vcc
	s_cbranch_execz .LBB2_3769
; %bb.3768:                             ;   in Loop: Header=BB2_3724 Depth=2
	v_and_b32_e32 v0, 7, v24
	v_ffbh_u32_e32 v4, v0
	v_min_u32_e32 v26, 32, v4
	v_lshrrev_b32_e32 v25, 3, v3
	v_subrev_u32_e32 v4, 28, v26
	v_lshlrev_b64 v[4:5], v4, v[24:25]
	v_sub_u32_e32 v5, 29, v26
	v_and_b32_e32 v4, 7, v4
	v_cmp_gt_u32_e32 vcc, 8, v3
	v_cndmask_b32_e32 v3, v25, v5, vcc
	v_cndmask_b32_e32 v0, v0, v4, vcc
	v_lshlrev_b32_e32 v4, 16, v14
	v_lshlrev_b32_e32 v0, 20, v0
	v_and_b32_e32 v4, 0x80000000, v4
	v_lshl_add_u32 v3, v3, 23, v49
	v_or3_b32 v0, v4, v3, v0
.LBB2_3769:                             ;   in Loop: Header=BB2_3724 Depth=2
	s_or_b64 exec, exec, s[62:63]
.LBB2_3770:                             ;   in Loop: Header=BB2_3724 Depth=2
	s_or_b64 exec, exec, s[60:61]
.LBB2_3771:                             ;   in Loop: Header=BB2_3724 Depth=2
	s_or_b64 exec, exec, s[58:59]
	v_cmp_ne_u16_e32 vcc, 0, v2
	s_and_saveexec_b64 s[58:59], vcc
	s_cbranch_execz .LBB2_3777
; %bb.3772:                             ;   in Loop: Header=BB2_3724 Depth=2
	v_cmp_ne_u16_e32 vcc, s68, v2
	v_bfrev_b32_e32 v1, 1
	s_and_saveexec_b64 s[60:61], vcc
	s_cbranch_execz .LBB2_3776
; %bb.3773:                             ;   in Loop: Header=BB2_3724 Depth=2
	v_and_b32_e32 v3, 0x7f, v2
	v_cmp_ne_u32_e32 vcc, s69, v3
	v_mov_b32_e32 v1, 0x7f800001
	s_and_saveexec_b64 s[62:63], vcc
	s_cbranch_execz .LBB2_3775
; %bb.3774:                             ;   in Loop: Header=BB2_3724 Depth=2
	v_and_b32_e32 v1, 7, v2
	v_ffbh_u32_e32 v4, v1
	v_min_u32_e32 v26, 32, v4
	v_subrev_u32_e32 v4, 28, v26
	v_lshlrev_b64 v[4:5], v4, v[2:3]
	v_lshrrev_b32_e32 v25, 3, v3
	v_sub_u32_e32 v5, 29, v26
	v_and_b32_e32 v4, 7, v4
	v_cmp_gt_u32_e32 vcc, 8, v3
	v_cndmask_b32_e32 v3, v25, v5, vcc
	v_cndmask_b32_e32 v1, v1, v4, vcc
	v_lshlrev_b32_e32 v4, 16, v10
	v_lshlrev_b32_e32 v1, 20, v1
	v_and_b32_e32 v4, 0x80000000, v4
	v_lshl_add_u32 v3, v3, 23, v49
	v_or3_b32 v1, v4, v3, v1
.LBB2_3775:                             ;   in Loop: Header=BB2_3724 Depth=2
	s_or_b64 exec, exec, s[62:63]
.LBB2_3776:                             ;   in Loop: Header=BB2_3724 Depth=2
	s_or_b64 exec, exec, s[60:61]
.LBB2_3777:                             ;   in Loop: Header=BB2_3724 Depth=2
	s_or_b64 exec, exec, s[58:59]
	v_max_f32_e32 v1, v1, v1
	v_max_f32_e32 v0, v0, v0
	;; [unrolled: 1-line block ×3, first 2 shown]
	s_branch .LBB2_3792
.LBB2_3778:                             ;   in Loop: Header=BB2_3724 Depth=2
                                        ; implicit-def: $vgpr1
	s_cbranch_execz .LBB2_3792
; %bb.3779:                             ;   in Loop: Header=BB2_3724 Depth=2
	v_mov_b32_e32 v1, 0
	v_mov_b32_e32 v0, 0
	s_and_saveexec_b64 s[58:59], s[20:21]
	s_cbranch_execz .LBB2_3785
; %bb.3780:                             ;   in Loop: Header=BB2_3724 Depth=2
	v_cmp_ne_u16_e32 vcc, s68, v24
	v_bfrev_b32_e32 v0, 1
	s_and_saveexec_b64 s[20:21], vcc
	s_cbranch_execz .LBB2_3784
; %bb.3781:                             ;   in Loop: Header=BB2_3724 Depth=2
	v_and_b32_e32 v3, 0x7f, v24
	v_cmp_ne_u32_e32 vcc, s69, v3
	v_mov_b32_e32 v0, 0x7f800001
	s_and_saveexec_b64 s[60:61], vcc
	s_cbranch_execz .LBB2_3783
; %bb.3782:                             ;   in Loop: Header=BB2_3724 Depth=2
	v_and_b32_e32 v0, 7, v24
	v_ffbh_u32_e32 v4, v0
	v_min_u32_e32 v26, 32, v4
	v_lshrrev_b32_e32 v25, 3, v3
	v_subrev_u32_e32 v4, 28, v26
	v_lshlrev_b64 v[4:5], v4, v[24:25]
	v_sub_u32_e32 v5, 29, v26
	v_and_b32_e32 v4, 7, v4
	v_cmp_gt_u32_e32 vcc, 8, v3
	v_cndmask_b32_e32 v3, v25, v5, vcc
	v_cndmask_b32_e32 v0, v0, v4, vcc
	v_lshlrev_b32_e32 v4, 16, v14
	v_lshlrev_b32_e32 v0, 20, v0
	v_and_b32_e32 v4, 0x80000000, v4
	v_lshl_add_u32 v3, v3, 23, v49
	v_or3_b32 v0, v4, v3, v0
.LBB2_3783:                             ;   in Loop: Header=BB2_3724 Depth=2
	s_or_b64 exec, exec, s[60:61]
.LBB2_3784:                             ;   in Loop: Header=BB2_3724 Depth=2
	s_or_b64 exec, exec, s[20:21]
.LBB2_3785:                             ;   in Loop: Header=BB2_3724 Depth=2
	s_or_b64 exec, exec, s[58:59]
	v_cmp_ne_u16_e32 vcc, 0, v2
	s_and_saveexec_b64 s[20:21], vcc
	s_cbranch_execz .LBB2_3791
; %bb.3786:                             ;   in Loop: Header=BB2_3724 Depth=2
	v_cmp_ne_u16_e32 vcc, s68, v2
	v_bfrev_b32_e32 v1, 1
	s_and_saveexec_b64 s[58:59], vcc
	s_cbranch_execz .LBB2_3790
; %bb.3787:                             ;   in Loop: Header=BB2_3724 Depth=2
	v_and_b32_e32 v3, 0x7f, v2
	v_cmp_ne_u32_e32 vcc, s69, v3
	v_mov_b32_e32 v1, 0x7f800001
	s_and_saveexec_b64 s[60:61], vcc
	s_cbranch_execz .LBB2_3789
; %bb.3788:                             ;   in Loop: Header=BB2_3724 Depth=2
	v_and_b32_e32 v1, 7, v2
	v_ffbh_u32_e32 v4, v1
	v_min_u32_e32 v25, 32, v4
	v_subrev_u32_e32 v4, 28, v25
	v_lshlrev_b64 v[4:5], v4, v[2:3]
	v_lshrrev_b32_e32 v24, 3, v3
	v_sub_u32_e32 v2, 29, v25
	v_and_b32_e32 v4, 7, v4
	v_cmp_gt_u32_e32 vcc, 8, v3
	v_cndmask_b32_e32 v2, v24, v2, vcc
	v_cndmask_b32_e32 v1, v1, v4, vcc
	v_lshlrev_b32_e32 v3, 16, v10
	v_lshlrev_b32_e32 v1, 20, v1
	v_and_b32_e32 v3, 0x80000000, v3
	v_lshl_add_u32 v2, v2, 23, v49
	v_or3_b32 v1, v3, v2, v1
.LBB2_3789:                             ;   in Loop: Header=BB2_3724 Depth=2
	s_or_b64 exec, exec, s[60:61]
.LBB2_3790:                             ;   in Loop: Header=BB2_3724 Depth=2
	s_or_b64 exec, exec, s[58:59]
.LBB2_3791:                             ;   in Loop: Header=BB2_3724 Depth=2
	s_or_b64 exec, exec, s[20:21]
	v_max_f32_e32 v1, v1, v1
	v_max_f32_e32 v0, v0, v0
	v_min_f32_e32 v1, v0, v1
.LBB2_3792:                             ;   in Loop: Header=BB2_3724 Depth=2
	v_and_b32_sdwa v0, v1, s68 dst_sel:DWORD dst_unused:UNUSED_PAD src0_sel:BYTE_3 src1_sel:DWORD
	v_and_b32_e32 v2, 0x7f800000, v1
	v_mov_b32_e32 v3, v53
	v_and_b32_e32 v52, 0x7fffff, v1
	v_or_b32_e32 v50, 0x7e, v0
	v_cmp_ne_u64_e32 vcc, s[40:41], v[2:3]
	s_and_saveexec_b64 s[20:21], vcc
	s_xor_b64 s[58:59], exec, s[20:21]
	s_cbranch_execz .LBB2_3802
; %bb.3793:                             ;   in Loop: Header=BB2_3724 Depth=2
	v_and_b32_e32 v2, 0x7fffffff, v1
	v_mov_b32_e32 v3, v53
	v_cmp_gt_u64_e32 vcc, s[42:43], v[2:3]
	s_and_saveexec_b64 s[60:61], vcc
	s_cbranch_execz .LBB2_3801
; %bb.3794:                             ;   in Loop: Header=BB2_3724 Depth=2
	v_cmp_ne_u32_e32 vcc, 0, v1
	v_mov_b32_e32 v50, 0
	s_and_saveexec_b64 s[62:63], vcc
	s_cbranch_execz .LBB2_3800
; %bb.3795:                             ;   in Loop: Header=BB2_3724 Depth=2
	v_bfe_u32 v1, v1, 23, 8
	v_sub_u32_e32 v3, 0x79, v1
	v_cmp_gt_u32_e32 vcc, s72, v1
	v_add_u32_e32 v2, 0xffffff81, v1
	v_cndmask_b32_e32 v3, 0, v3, vcc
	v_cmp_eq_u32_e32 vcc, 0, v1
	v_mov_b32_e32 v1, 0xffffff82
	v_cndmask_b32_e32 v1, v2, v1, vcc
	v_mov_b32_e32 v2, 0x78
	v_or_b32_e32 v4, 0x800000, v52
	v_cndmask_b32_e32 v5, v3, v2, vcc
	v_cndmask_b32_e32 v52, v4, v52, vcc
	v_add_u32_e32 v2, 20, v5
	v_lshlrev_b64 v[2:3], v2, -1
	v_add_u32_e32 v4, 19, v5
	v_lshrrev_b64 v[26:27], v5, v[52:53]
	v_not_b32_e32 v3, v3
	v_not_b32_e32 v2, v2
	v_lshlrev_b64 v[24:25], v4, 1
	v_lshrrev_b32_e32 v4, 23, v26
	v_and_b32_e32 v3, 0, v3
	v_and_b32_e32 v2, v52, v2
	v_add3_u32 v5, v5, v1, v4
	v_bfe_u32 v1, v26, 20, 1
	v_add_u32_e32 v1, -1, v1
	v_cmp_eq_u64_e32 vcc, v[2:3], v[24:25]
	v_cndmask_b32_e32 v1, 0, v1, vcc
	v_add_u32_e32 v1, v1, v26
	v_and_b32_e32 v1, 0xfffff, v1
	v_add_co_u32_e32 v2, vcc, v1, v26
	v_add_u32_e32 v4, 6, v5
	v_addc_co_u32_e32 v3, vcc, 0, v27, vcc
	v_cmp_ne_u32_e32 vcc, 0, v4
                                        ; implicit-def: $vgpr1
	s_and_saveexec_b64 s[20:21], vcc
	s_xor_b64 s[20:21], exec, s[20:21]
; %bb.3796:                             ;   in Loop: Header=BB2_3724 Depth=2
	v_add_u32_e32 v1, 7, v5
	v_cmp_lt_u64_e32 vcc, s[46:47], v[2:3]
	v_cndmask_b32_e32 v1, v4, v1, vcc
	v_cndmask_b32_e64 v4, 0, 1, vcc
	v_lshrrev_b64 v[2:3], v4, v[2:3]
; %bb.3797:                             ;   in Loop: Header=BB2_3724 Depth=2
	s_andn2_saveexec_b64 s[20:21], s[20:21]
; %bb.3798:                             ;   in Loop: Header=BB2_3724 Depth=2
	v_bfe_u32 v1, v2, 23, 1
; %bb.3799:                             ;   in Loop: Header=BB2_3724 Depth=2
	s_or_b64 exec, exec, s[20:21]
	v_lshrrev_b64 v[2:3], 20, v[2:3]
	v_cmp_gt_i32_e32 vcc, 16, v1
	v_cndmask_b32_e32 v3, 0, v3, vcc
	v_cndmask_b32_e32 v2, 7, v2, vcc
	v_cmp_eq_u32_e32 vcc, 0, v1
	v_min_i32_e32 v1, 15, v1
	v_cmp_eq_u64_e64 s[20:21], 0, v[2:3]
	v_lshlrev_b32_e32 v1, 3, v1
	v_and_or_b32 v1, v2, 7, v1
	s_and_b64 s[20:21], vcc, s[20:21]
	v_cndmask_b32_e64 v1, v1, 0, s[20:21]
	v_or_b32_e32 v50, v1, v0
.LBB2_3800:                             ;   in Loop: Header=BB2_3724 Depth=2
	s_or_b64 exec, exec, s[62:63]
.LBB2_3801:                             ;   in Loop: Header=BB2_3724 Depth=2
	s_or_b64 exec, exec, s[60:61]
                                        ; implicit-def: $vgpr1
.LBB2_3802:                             ;   in Loop: Header=BB2_3724 Depth=2
	s_andn2_saveexec_b64 s[20:21], s[58:59]
; %bb.3803:                             ;   in Loop: Header=BB2_3724 Depth=2
	v_or_b32_sdwa v0, v1, s69 dst_sel:DWORD dst_unused:UNUSED_PAD src0_sel:BYTE_3 src1_sel:DWORD
	v_cmp_eq_u64_e32 vcc, 0, v[52:53]
	v_cndmask_b32_e32 v50, v0, v50, vcc
; %bb.3804:                             ;   in Loop: Header=BB2_3724 Depth=2
	s_or_b64 exec, exec, s[20:21]
	v_lshrrev_b32_e32 v24, 16, v14
	v_lshrrev_b32_e32 v2, 16, v10
	v_cmp_ne_u16_sdwa s[20:21], v24, v53 src0_sel:BYTE_0 src1_sel:DWORD
	s_and_b64 vcc, exec, s[56:57]
	s_cbranch_vccz .LBB2_3818
; %bb.3805:                             ;   in Loop: Header=BB2_3724 Depth=2
	v_mov_b32_e32 v1, 0
	v_mov_b32_e32 v0, 0
	s_and_saveexec_b64 s[58:59], s[20:21]
	s_cbranch_execz .LBB2_3811
; %bb.3806:                             ;   in Loop: Header=BB2_3724 Depth=2
	v_cmp_ne_u16_sdwa vcc, v24, s68 src0_sel:BYTE_0 src1_sel:DWORD
	v_bfrev_b32_e32 v0, 1
	s_and_saveexec_b64 s[60:61], vcc
	s_cbranch_execz .LBB2_3810
; %bb.3807:                             ;   in Loop: Header=BB2_3724 Depth=2
	v_bfe_u32 v3, v14, 16, 7
	v_cmp_ne_u32_e32 vcc, s69, v3
	v_mov_b32_e32 v0, 0x7f800001
	s_and_saveexec_b64 s[62:63], vcc
	s_cbranch_execz .LBB2_3809
; %bb.3808:                             ;   in Loop: Header=BB2_3724 Depth=2
	v_and_b32_e32 v0, 7, v24
	v_ffbh_u32_e32 v4, v0
	v_min_u32_e32 v26, 32, v4
	v_lshrrev_b32_e32 v25, 3, v3
	v_subrev_u32_e32 v4, 28, v26
	v_lshlrev_b64 v[4:5], v4, v[24:25]
	v_sub_u32_e32 v5, 29, v26
	v_and_b32_e32 v4, 7, v4
	v_cmp_gt_u32_e32 vcc, 8, v3
	v_cndmask_b32_e32 v3, v25, v5, vcc
	v_cndmask_b32_e32 v0, v0, v4, vcc
	v_lshlrev_b32_e32 v4, 24, v24
	v_lshlrev_b32_e32 v0, 20, v0
	v_and_b32_e32 v4, 0x80000000, v4
	v_lshl_add_u32 v3, v3, 23, v49
	v_or3_b32 v0, v4, v3, v0
.LBB2_3809:                             ;   in Loop: Header=BB2_3724 Depth=2
	s_or_b64 exec, exec, s[62:63]
.LBB2_3810:                             ;   in Loop: Header=BB2_3724 Depth=2
	s_or_b64 exec, exec, s[60:61]
.LBB2_3811:                             ;   in Loop: Header=BB2_3724 Depth=2
	s_or_b64 exec, exec, s[58:59]
	v_cmp_ne_u16_sdwa vcc, v2, v53 src0_sel:BYTE_0 src1_sel:DWORD
	s_and_saveexec_b64 s[58:59], vcc
	s_cbranch_execz .LBB2_3817
; %bb.3812:                             ;   in Loop: Header=BB2_3724 Depth=2
	v_cmp_ne_u16_sdwa vcc, v2, s68 src0_sel:BYTE_0 src1_sel:DWORD
	v_bfrev_b32_e32 v1, 1
	s_and_saveexec_b64 s[60:61], vcc
	s_cbranch_execz .LBB2_3816
; %bb.3813:                             ;   in Loop: Header=BB2_3724 Depth=2
	v_bfe_u32 v3, v10, 16, 7
	v_cmp_ne_u32_e32 vcc, s69, v3
	v_mov_b32_e32 v1, 0x7f800001
	s_and_saveexec_b64 s[62:63], vcc
	s_cbranch_execz .LBB2_3815
; %bb.3814:                             ;   in Loop: Header=BB2_3724 Depth=2
	v_and_b32_e32 v1, 7, v2
	v_ffbh_u32_e32 v4, v1
	v_min_u32_e32 v26, 32, v4
	v_subrev_u32_e32 v4, 28, v26
	v_lshlrev_b64 v[4:5], v4, v[2:3]
	v_lshrrev_b32_e32 v25, 3, v3
	v_sub_u32_e32 v5, 29, v26
	v_and_b32_e32 v4, 7, v4
	v_cmp_gt_u32_e32 vcc, 8, v3
	v_cndmask_b32_e32 v3, v25, v5, vcc
	v_cndmask_b32_e32 v1, v1, v4, vcc
	v_lshlrev_b32_e32 v4, 24, v2
	v_lshlrev_b32_e32 v1, 20, v1
	v_and_b32_e32 v4, 0x80000000, v4
	v_lshl_add_u32 v3, v3, 23, v49
	v_or3_b32 v1, v4, v3, v1
.LBB2_3815:                             ;   in Loop: Header=BB2_3724 Depth=2
	s_or_b64 exec, exec, s[62:63]
.LBB2_3816:                             ;   in Loop: Header=BB2_3724 Depth=2
	s_or_b64 exec, exec, s[60:61]
.LBB2_3817:                             ;   in Loop: Header=BB2_3724 Depth=2
	s_or_b64 exec, exec, s[58:59]
	v_max_f32_e32 v1, v1, v1
	v_max_f32_e32 v0, v0, v0
	;; [unrolled: 1-line block ×3, first 2 shown]
	s_branch .LBB2_3832
.LBB2_3818:                             ;   in Loop: Header=BB2_3724 Depth=2
                                        ; implicit-def: $vgpr3
	s_cbranch_execz .LBB2_3832
; %bb.3819:                             ;   in Loop: Header=BB2_3724 Depth=2
	v_mov_b32_e32 v1, 0
	v_mov_b32_e32 v0, 0
	s_and_saveexec_b64 s[58:59], s[20:21]
	s_cbranch_execz .LBB2_3825
; %bb.3820:                             ;   in Loop: Header=BB2_3724 Depth=2
	v_cmp_ne_u16_sdwa vcc, v24, s68 src0_sel:BYTE_0 src1_sel:DWORD
	v_bfrev_b32_e32 v0, 1
	s_and_saveexec_b64 s[20:21], vcc
	s_cbranch_execz .LBB2_3824
; %bb.3821:                             ;   in Loop: Header=BB2_3724 Depth=2
	v_bfe_u32 v3, v14, 16, 7
	v_cmp_ne_u32_e32 vcc, s69, v3
	v_mov_b32_e32 v0, 0x7f800001
	s_and_saveexec_b64 s[60:61], vcc
	s_cbranch_execz .LBB2_3823
; %bb.3822:                             ;   in Loop: Header=BB2_3724 Depth=2
	v_and_b32_e32 v0, 7, v24
	v_ffbh_u32_e32 v4, v0
	v_min_u32_e32 v26, 32, v4
	v_lshrrev_b32_e32 v25, 3, v3
	v_subrev_u32_e32 v4, 28, v26
	v_lshlrev_b64 v[4:5], v4, v[24:25]
	v_sub_u32_e32 v5, 29, v26
	v_and_b32_e32 v4, 7, v4
	v_cmp_gt_u32_e32 vcc, 8, v3
	v_cndmask_b32_e32 v3, v25, v5, vcc
	v_cndmask_b32_e32 v0, v0, v4, vcc
	v_lshlrev_b32_e32 v4, 24, v24
	v_lshlrev_b32_e32 v0, 20, v0
	v_and_b32_e32 v4, 0x80000000, v4
	v_lshl_add_u32 v3, v3, 23, v49
	v_or3_b32 v0, v4, v3, v0
.LBB2_3823:                             ;   in Loop: Header=BB2_3724 Depth=2
	s_or_b64 exec, exec, s[60:61]
.LBB2_3824:                             ;   in Loop: Header=BB2_3724 Depth=2
	s_or_b64 exec, exec, s[20:21]
.LBB2_3825:                             ;   in Loop: Header=BB2_3724 Depth=2
	s_or_b64 exec, exec, s[58:59]
	v_cmp_ne_u16_sdwa vcc, v2, v53 src0_sel:BYTE_0 src1_sel:DWORD
	s_and_saveexec_b64 s[20:21], vcc
	s_cbranch_execz .LBB2_3831
; %bb.3826:                             ;   in Loop: Header=BB2_3724 Depth=2
	v_cmp_ne_u16_sdwa vcc, v2, s68 src0_sel:BYTE_0 src1_sel:DWORD
	v_bfrev_b32_e32 v1, 1
	s_and_saveexec_b64 s[58:59], vcc
	s_cbranch_execz .LBB2_3830
; %bb.3827:                             ;   in Loop: Header=BB2_3724 Depth=2
	v_bfe_u32 v3, v10, 16, 7
	v_cmp_ne_u32_e32 vcc, s69, v3
	v_mov_b32_e32 v1, 0x7f800001
	s_and_saveexec_b64 s[60:61], vcc
	s_cbranch_execz .LBB2_3829
; %bb.3828:                             ;   in Loop: Header=BB2_3724 Depth=2
	v_and_b32_e32 v1, 7, v2
	v_ffbh_u32_e32 v4, v1
	v_min_u32_e32 v25, 32, v4
	v_subrev_u32_e32 v4, 28, v25
	v_lshlrev_b64 v[4:5], v4, v[2:3]
	v_lshrrev_b32_e32 v24, 3, v3
	v_sub_u32_e32 v5, 29, v25
	v_and_b32_e32 v4, 7, v4
	v_cmp_gt_u32_e32 vcc, 8, v3
	v_cndmask_b32_e32 v3, v24, v5, vcc
	v_cndmask_b32_e32 v1, v1, v4, vcc
	v_lshlrev_b32_e32 v2, 24, v2
	v_lshlrev_b32_e32 v1, 20, v1
	v_and_b32_e32 v2, 0x80000000, v2
	v_lshl_add_u32 v3, v3, 23, v49
	v_or3_b32 v1, v2, v3, v1
.LBB2_3829:                             ;   in Loop: Header=BB2_3724 Depth=2
	s_or_b64 exec, exec, s[60:61]
.LBB2_3830:                             ;   in Loop: Header=BB2_3724 Depth=2
	s_or_b64 exec, exec, s[58:59]
.LBB2_3831:                             ;   in Loop: Header=BB2_3724 Depth=2
	s_or_b64 exec, exec, s[20:21]
	v_max_f32_e32 v1, v1, v1
	v_max_f32_e32 v0, v0, v0
	v_min_f32_e32 v3, v0, v1
.LBB2_3832:                             ;   in Loop: Header=BB2_3724 Depth=2
	v_and_b32_sdwa v1, v3, s68 dst_sel:DWORD dst_unused:UNUSED_PAD src0_sel:BYTE_3 src1_sel:DWORD
	v_and_b32_e32 v4, 0x7f800000, v3
	v_mov_b32_e32 v5, v53
	v_and_b32_e32 v52, 0x7fffff, v3
	v_or_b32_e32 v0, 0x7e, v1
	v_cmp_ne_u64_e32 vcc, s[40:41], v[4:5]
	s_and_saveexec_b64 s[20:21], vcc
	s_xor_b64 s[58:59], exec, s[20:21]
	s_cbranch_execz .LBB2_3842
; %bb.3833:                             ;   in Loop: Header=BB2_3724 Depth=2
	v_and_b32_e32 v4, 0x7fffffff, v3
	v_mov_b32_e32 v5, v53
	v_cmp_gt_u64_e32 vcc, s[42:43], v[4:5]
	s_and_saveexec_b64 s[60:61], vcc
	s_cbranch_execz .LBB2_3841
; %bb.3834:                             ;   in Loop: Header=BB2_3724 Depth=2
	v_cmp_ne_u32_e32 vcc, 0, v3
	v_mov_b32_e32 v0, 0
	s_and_saveexec_b64 s[62:63], vcc
	s_cbranch_execz .LBB2_3840
; %bb.3835:                             ;   in Loop: Header=BB2_3724 Depth=2
	v_bfe_u32 v0, v3, 23, 8
	v_sub_u32_e32 v3, 0x79, v0
	v_cmp_gt_u32_e32 vcc, s72, v0
	v_add_u32_e32 v2, 0xffffff81, v0
	v_cndmask_b32_e32 v3, 0, v3, vcc
	v_cmp_eq_u32_e32 vcc, 0, v0
	v_mov_b32_e32 v0, 0xffffff82
	v_cndmask_b32_e32 v0, v2, v0, vcc
	v_mov_b32_e32 v2, 0x78
	v_or_b32_e32 v4, 0x800000, v52
	v_cndmask_b32_e32 v5, v3, v2, vcc
	v_cndmask_b32_e32 v52, v4, v52, vcc
	v_add_u32_e32 v2, 20, v5
	v_lshlrev_b64 v[2:3], v2, -1
	v_add_u32_e32 v4, 19, v5
	v_lshrrev_b64 v[26:27], v5, v[52:53]
	v_not_b32_e32 v3, v3
	v_not_b32_e32 v2, v2
	v_lshlrev_b64 v[24:25], v4, 1
	v_lshrrev_b32_e32 v4, 23, v26
	v_and_b32_e32 v3, 0, v3
	v_and_b32_e32 v2, v52, v2
	v_add3_u32 v5, v5, v0, v4
	v_bfe_u32 v0, v26, 20, 1
	v_add_u32_e32 v0, -1, v0
	v_cmp_eq_u64_e32 vcc, v[2:3], v[24:25]
	v_cndmask_b32_e32 v0, 0, v0, vcc
	v_add_u32_e32 v0, v0, v26
	v_and_b32_e32 v0, 0xfffff, v0
	v_add_co_u32_e32 v2, vcc, v0, v26
	v_add_u32_e32 v4, 6, v5
	v_addc_co_u32_e32 v3, vcc, 0, v27, vcc
	v_cmp_ne_u32_e32 vcc, 0, v4
                                        ; implicit-def: $vgpr0
	s_and_saveexec_b64 s[20:21], vcc
	s_xor_b64 s[20:21], exec, s[20:21]
; %bb.3836:                             ;   in Loop: Header=BB2_3724 Depth=2
	v_add_u32_e32 v0, 7, v5
	v_cmp_lt_u64_e32 vcc, s[46:47], v[2:3]
	v_cndmask_b32_e32 v0, v4, v0, vcc
	v_cndmask_b32_e64 v4, 0, 1, vcc
	v_lshrrev_b64 v[2:3], v4, v[2:3]
; %bb.3837:                             ;   in Loop: Header=BB2_3724 Depth=2
	s_andn2_saveexec_b64 s[20:21], s[20:21]
; %bb.3838:                             ;   in Loop: Header=BB2_3724 Depth=2
	v_bfe_u32 v0, v2, 23, 1
; %bb.3839:                             ;   in Loop: Header=BB2_3724 Depth=2
	s_or_b64 exec, exec, s[20:21]
	v_lshrrev_b64 v[2:3], 20, v[2:3]
	v_cmp_gt_i32_e32 vcc, 16, v0
	v_cndmask_b32_e32 v3, 0, v3, vcc
	v_cndmask_b32_e32 v2, 7, v2, vcc
	v_cmp_eq_u32_e32 vcc, 0, v0
	v_min_i32_e32 v0, 15, v0
	v_cmp_eq_u64_e64 s[20:21], 0, v[2:3]
	v_lshlrev_b32_e32 v0, 3, v0
	v_and_or_b32 v0, v2, 7, v0
	s_and_b64 s[20:21], vcc, s[20:21]
	v_cndmask_b32_e64 v0, v0, 0, s[20:21]
	v_or_b32_e32 v0, v0, v1
.LBB2_3840:                             ;   in Loop: Header=BB2_3724 Depth=2
	s_or_b64 exec, exec, s[62:63]
.LBB2_3841:                             ;   in Loop: Header=BB2_3724 Depth=2
	s_or_b64 exec, exec, s[60:61]
                                        ; implicit-def: $vgpr3
.LBB2_3842:                             ;   in Loop: Header=BB2_3724 Depth=2
	s_andn2_saveexec_b64 s[20:21], s[58:59]
; %bb.3843:                             ;   in Loop: Header=BB2_3724 Depth=2
	v_or_b32_sdwa v1, v3, s69 dst_sel:DWORD dst_unused:UNUSED_PAD src0_sel:BYTE_3 src1_sel:DWORD
	v_cmp_eq_u64_e32 vcc, 0, v[52:53]
	v_cndmask_b32_e32 v0, v1, v0, vcc
; %bb.3844:                             ;   in Loop: Header=BB2_3724 Depth=2
	s_or_b64 exec, exec, s[20:21]
	v_lshrrev_b32_e32 v24, 24, v14
	v_lshrrev_b32_e32 v2, 24, v10
	v_cmp_lt_u32_e64 s[20:21], s45, v14
	s_and_b64 vcc, exec, s[56:57]
	s_cbranch_vccz .LBB2_3858
; %bb.3845:                             ;   in Loop: Header=BB2_3724 Depth=2
	v_mov_b32_e32 v3, 0
	v_mov_b32_e32 v1, 0
	s_and_saveexec_b64 s[58:59], s[20:21]
	s_cbranch_execz .LBB2_3851
; %bb.3846:                             ;   in Loop: Header=BB2_3724 Depth=2
	v_cmp_ne_u32_e32 vcc, s68, v24
	v_bfrev_b32_e32 v1, 1
	s_and_saveexec_b64 s[60:61], vcc
	s_cbranch_execz .LBB2_3850
; %bb.3847:                             ;   in Loop: Header=BB2_3724 Depth=2
	v_bfe_u32 v4, v14, 24, 7
	v_cmp_ne_u32_e32 vcc, s69, v4
	v_mov_b32_e32 v1, 0x7f800001
	s_and_saveexec_b64 s[62:63], vcc
	s_cbranch_execz .LBB2_3849
; %bb.3848:                             ;   in Loop: Header=BB2_3724 Depth=2
	v_and_b32_e32 v1, 7, v24
	v_ffbh_u32_e32 v25, v1
	v_min_u32_e32 v25, 32, v25
	v_subrev_u32_e32 v26, 28, v25
	v_lshlrev_b64 v[26:27], v26, v[24:25]
	v_lshrrev_b32_e32 v5, 3, v4
	v_sub_u32_e32 v25, 29, v25
	v_and_b32_e32 v26, 7, v26
	v_cmp_gt_u32_e32 vcc, 8, v4
	v_cndmask_b32_e32 v4, v5, v25, vcc
	v_cndmask_b32_e32 v1, v1, v26, vcc
	v_lshlrev_b32_e32 v5, 24, v24
	v_lshlrev_b32_e32 v1, 20, v1
	v_and_b32_e32 v5, 0x80000000, v5
	v_lshl_add_u32 v4, v4, 23, v49
	v_or3_b32 v1, v5, v4, v1
.LBB2_3849:                             ;   in Loop: Header=BB2_3724 Depth=2
	s_or_b64 exec, exec, s[62:63]
.LBB2_3850:                             ;   in Loop: Header=BB2_3724 Depth=2
	s_or_b64 exec, exec, s[60:61]
.LBB2_3851:                             ;   in Loop: Header=BB2_3724 Depth=2
	s_or_b64 exec, exec, s[58:59]
	v_cmp_lt_u32_e32 vcc, s45, v10
	s_and_saveexec_b64 s[58:59], vcc
	s_cbranch_execz .LBB2_3857
; %bb.3852:                             ;   in Loop: Header=BB2_3724 Depth=2
	v_cmp_ne_u32_e32 vcc, s68, v2
	v_bfrev_b32_e32 v3, 1
	s_and_saveexec_b64 s[60:61], vcc
	s_cbranch_execz .LBB2_3856
; %bb.3853:                             ;   in Loop: Header=BB2_3724 Depth=2
	v_bfe_u32 v4, v10, 24, 7
	v_cmp_ne_u32_e32 vcc, s69, v4
	v_mov_b32_e32 v3, 0x7f800001
	s_and_saveexec_b64 s[62:63], vcc
	s_cbranch_execz .LBB2_3855
; %bb.3854:                             ;   in Loop: Header=BB2_3724 Depth=2
	v_and_b32_e32 v3, 7, v2
	v_ffbh_u32_e32 v25, v3
	v_min_u32_e32 v25, 32, v25
	v_subrev_u32_e32 v26, 28, v25
	v_lshlrev_b64 v[26:27], v26, v[2:3]
	v_lshrrev_b32_e32 v5, 3, v4
	v_sub_u32_e32 v25, 29, v25
	v_and_b32_e32 v26, 7, v26
	v_cmp_gt_u32_e32 vcc, 8, v4
	v_cndmask_b32_e32 v4, v5, v25, vcc
	v_cndmask_b32_e32 v3, v3, v26, vcc
	v_lshlrev_b32_e32 v5, 24, v2
	v_lshlrev_b32_e32 v3, 20, v3
	v_and_b32_e32 v5, 0x80000000, v5
	v_lshl_add_u32 v4, v4, 23, v49
	v_or3_b32 v3, v5, v4, v3
.LBB2_3855:                             ;   in Loop: Header=BB2_3724 Depth=2
	s_or_b64 exec, exec, s[62:63]
.LBB2_3856:                             ;   in Loop: Header=BB2_3724 Depth=2
	s_or_b64 exec, exec, s[60:61]
.LBB2_3857:                             ;   in Loop: Header=BB2_3724 Depth=2
	s_or_b64 exec, exec, s[58:59]
	v_max_f32_e32 v3, v3, v3
	v_max_f32_e32 v1, v1, v1
	;; [unrolled: 1-line block ×3, first 2 shown]
	s_branch .LBB2_3872
.LBB2_3858:                             ;   in Loop: Header=BB2_3724 Depth=2
                                        ; implicit-def: $vgpr3
	s_cbranch_execz .LBB2_3872
; %bb.3859:                             ;   in Loop: Header=BB2_3724 Depth=2
	v_mov_b32_e32 v3, 0
	v_mov_b32_e32 v1, 0
	s_and_saveexec_b64 s[58:59], s[20:21]
	s_cbranch_execz .LBB2_3865
; %bb.3860:                             ;   in Loop: Header=BB2_3724 Depth=2
	v_cmp_ne_u32_e32 vcc, s68, v24
	v_bfrev_b32_e32 v1, 1
	s_and_saveexec_b64 s[20:21], vcc
	s_cbranch_execz .LBB2_3864
; %bb.3861:                             ;   in Loop: Header=BB2_3724 Depth=2
	v_bfe_u32 v4, v14, 24, 7
	v_cmp_ne_u32_e32 vcc, s69, v4
	v_mov_b32_e32 v1, 0x7f800001
	s_and_saveexec_b64 s[60:61], vcc
	s_cbranch_execz .LBB2_3863
; %bb.3862:                             ;   in Loop: Header=BB2_3724 Depth=2
	v_and_b32_e32 v1, 7, v24
	v_ffbh_u32_e32 v25, v1
	v_min_u32_e32 v25, 32, v25
	v_subrev_u32_e32 v26, 28, v25
	v_lshlrev_b64 v[26:27], v26, v[24:25]
	v_lshrrev_b32_e32 v5, 3, v4
	v_sub_u32_e32 v25, 29, v25
	v_and_b32_e32 v26, 7, v26
	v_cmp_gt_u32_e32 vcc, 8, v4
	v_cndmask_b32_e32 v4, v5, v25, vcc
	v_cndmask_b32_e32 v1, v1, v26, vcc
	v_lshlrev_b32_e32 v5, 24, v24
	v_lshlrev_b32_e32 v1, 20, v1
	v_and_b32_e32 v5, 0x80000000, v5
	v_lshl_add_u32 v4, v4, 23, v49
	v_or3_b32 v1, v5, v4, v1
.LBB2_3863:                             ;   in Loop: Header=BB2_3724 Depth=2
	s_or_b64 exec, exec, s[60:61]
.LBB2_3864:                             ;   in Loop: Header=BB2_3724 Depth=2
	s_or_b64 exec, exec, s[20:21]
.LBB2_3865:                             ;   in Loop: Header=BB2_3724 Depth=2
	s_or_b64 exec, exec, s[58:59]
	v_cmp_lt_u32_e32 vcc, s45, v10
	s_and_saveexec_b64 s[20:21], vcc
	s_cbranch_execz .LBB2_3871
; %bb.3866:                             ;   in Loop: Header=BB2_3724 Depth=2
	v_cmp_ne_u32_e32 vcc, s68, v2
	v_bfrev_b32_e32 v3, 1
	s_and_saveexec_b64 s[58:59], vcc
	s_cbranch_execz .LBB2_3870
; %bb.3867:                             ;   in Loop: Header=BB2_3724 Depth=2
	v_bfe_u32 v4, v10, 24, 7
	v_cmp_ne_u32_e32 vcc, s69, v4
	v_mov_b32_e32 v3, 0x7f800001
	s_and_saveexec_b64 s[60:61], vcc
	s_cbranch_execz .LBB2_3869
; %bb.3868:                             ;   in Loop: Header=BB2_3724 Depth=2
	v_and_b32_e32 v3, 7, v2
	v_ffbh_u32_e32 v24, v3
	v_min_u32_e32 v26, 32, v24
	v_subrev_u32_e32 v24, 28, v26
	v_lshlrev_b64 v[24:25], v24, v[2:3]
	v_lshrrev_b32_e32 v5, 3, v4
	v_sub_u32_e32 v25, 29, v26
	v_and_b32_e32 v24, 7, v24
	v_cmp_gt_u32_e32 vcc, 8, v4
	v_cndmask_b32_e32 v4, v5, v25, vcc
	v_cndmask_b32_e32 v3, v3, v24, vcc
	v_lshlrev_b32_e32 v2, 24, v2
	v_lshlrev_b32_e32 v3, 20, v3
	v_and_b32_e32 v2, 0x80000000, v2
	v_lshl_add_u32 v4, v4, 23, v49
	v_or3_b32 v3, v2, v4, v3
.LBB2_3869:                             ;   in Loop: Header=BB2_3724 Depth=2
	s_or_b64 exec, exec, s[60:61]
.LBB2_3870:                             ;   in Loop: Header=BB2_3724 Depth=2
	s_or_b64 exec, exec, s[58:59]
.LBB2_3871:                             ;   in Loop: Header=BB2_3724 Depth=2
	s_or_b64 exec, exec, s[20:21]
	v_max_f32_e32 v2, v3, v3
	v_max_f32_e32 v1, v1, v1
	v_min_f32_e32 v3, v1, v2
.LBB2_3872:                             ;   in Loop: Header=BB2_3724 Depth=2
	v_and_b32_sdwa v1, v3, s68 dst_sel:DWORD dst_unused:UNUSED_PAD src0_sel:BYTE_3 src1_sel:DWORD
	v_and_b32_e32 v4, 0x7f800000, v3
	v_mov_b32_e32 v5, v53
	v_and_b32_e32 v52, 0x7fffff, v3
	v_or_b32_e32 v26, 0x7e, v1
	v_cmp_ne_u64_e32 vcc, s[40:41], v[4:5]
	s_and_saveexec_b64 s[20:21], vcc
	s_xor_b64 s[58:59], exec, s[20:21]
	s_cbranch_execz .LBB2_3882
; %bb.3873:                             ;   in Loop: Header=BB2_3724 Depth=2
	v_and_b32_e32 v4, 0x7fffffff, v3
	v_mov_b32_e32 v5, v53
	v_cmp_gt_u64_e32 vcc, s[42:43], v[4:5]
	s_and_saveexec_b64 s[60:61], vcc
	s_cbranch_execz .LBB2_3881
; %bb.3874:                             ;   in Loop: Header=BB2_3724 Depth=2
	v_cmp_ne_u32_e32 vcc, 0, v3
	v_mov_b32_e32 v26, 0
	s_and_saveexec_b64 s[62:63], vcc
	s_cbranch_execz .LBB2_3880
; %bb.3875:                             ;   in Loop: Header=BB2_3724 Depth=2
	v_bfe_u32 v2, v3, 23, 8
	v_sub_u32_e32 v4, 0x79, v2
	v_cmp_gt_u32_e32 vcc, s72, v2
	v_add_u32_e32 v3, 0xffffff81, v2
	v_cndmask_b32_e32 v4, 0, v4, vcc
	v_cmp_eq_u32_e32 vcc, 0, v2
	v_mov_b32_e32 v2, 0xffffff82
	v_cndmask_b32_e32 v24, v3, v2, vcc
	v_mov_b32_e32 v2, 0x78
	v_or_b32_e32 v5, 0x800000, v52
	v_cndmask_b32_e32 v4, v4, v2, vcc
	v_cndmask_b32_e32 v52, v5, v52, vcc
	v_add_u32_e32 v2, 20, v4
	v_lshlrev_b64 v[2:3], v2, -1
	v_add_u32_e32 v5, 19, v4
	v_lshrrev_b64 v[38:39], v4, v[52:53]
	v_not_b32_e32 v3, v3
	v_not_b32_e32 v2, v2
	v_lshlrev_b64 v[26:27], v5, 1
	v_lshrrev_b32_e32 v5, 23, v38
	v_and_b32_e32 v3, 0, v3
	v_and_b32_e32 v2, v52, v2
	v_add3_u32 v24, v4, v24, v5
	v_bfe_u32 v4, v38, 20, 1
	v_add_u32_e32 v4, -1, v4
	v_cmp_eq_u64_e32 vcc, v[2:3], v[26:27]
	v_cndmask_b32_e32 v2, 0, v4, vcc
	v_add_u32_e32 v2, v2, v38
	v_and_b32_e32 v2, 0xfffff, v2
	v_add_co_u32_e32 v2, vcc, v2, v38
	v_add_u32_e32 v5, 6, v24
	v_addc_co_u32_e32 v3, vcc, 0, v39, vcc
	v_cmp_ne_u32_e32 vcc, 0, v5
                                        ; implicit-def: $vgpr4
	s_and_saveexec_b64 s[20:21], vcc
	s_xor_b64 s[20:21], exec, s[20:21]
; %bb.3876:                             ;   in Loop: Header=BB2_3724 Depth=2
	v_add_u32_e32 v4, 7, v24
	v_cmp_lt_u64_e32 vcc, s[46:47], v[2:3]
	v_cndmask_b32_e32 v4, v5, v4, vcc
	v_cndmask_b32_e64 v5, 0, 1, vcc
	v_lshrrev_b64 v[2:3], v5, v[2:3]
; %bb.3877:                             ;   in Loop: Header=BB2_3724 Depth=2
	s_andn2_saveexec_b64 s[20:21], s[20:21]
; %bb.3878:                             ;   in Loop: Header=BB2_3724 Depth=2
	v_bfe_u32 v4, v2, 23, 1
; %bb.3879:                             ;   in Loop: Header=BB2_3724 Depth=2
	s_or_b64 exec, exec, s[20:21]
	v_lshrrev_b64 v[2:3], 20, v[2:3]
	v_cmp_gt_i32_e32 vcc, 16, v4
	v_cndmask_b32_e32 v3, 0, v3, vcc
	v_cndmask_b32_e32 v2, 7, v2, vcc
	v_cmp_eq_u64_e64 s[20:21], 0, v[2:3]
	v_min_i32_e32 v3, 15, v4
	v_cmp_eq_u32_e32 vcc, 0, v4
	v_lshlrev_b32_e32 v3, 3, v3
	v_and_or_b32 v2, v2, 7, v3
	s_and_b64 s[20:21], vcc, s[20:21]
	v_cndmask_b32_e64 v2, v2, 0, s[20:21]
	v_or_b32_e32 v26, v2, v1
.LBB2_3880:                             ;   in Loop: Header=BB2_3724 Depth=2
	s_or_b64 exec, exec, s[62:63]
.LBB2_3881:                             ;   in Loop: Header=BB2_3724 Depth=2
	s_or_b64 exec, exec, s[60:61]
                                        ; implicit-def: $vgpr3
.LBB2_3882:                             ;   in Loop: Header=BB2_3724 Depth=2
	s_andn2_saveexec_b64 s[20:21], s[58:59]
; %bb.3883:                             ;   in Loop: Header=BB2_3724 Depth=2
	v_or_b32_sdwa v1, v3, s69 dst_sel:DWORD dst_unused:UNUSED_PAD src0_sel:BYTE_3 src1_sel:DWORD
	v_cmp_eq_u64_e32 vcc, 0, v[52:53]
	v_cndmask_b32_e32 v26, v1, v26, vcc
; %bb.3884:                             ;   in Loop: Header=BB2_3724 Depth=2
	s_or_b64 exec, exec, s[20:21]
	v_mov_b32_e32 v52, v15
	v_mov_b32_e32 v2, v11
	;; [unrolled: 1-line block ×3, first 2 shown]
	v_cmp_ne_u16_sdwa s[20:21], v15, v53 src0_sel:BYTE_0 src1_sel:DWORD
	s_and_b64 vcc, exec, s[56:57]
	s_cbranch_vccz .LBB2_3898
; %bb.3885:                             ;   in Loop: Header=BB2_3724 Depth=2
	v_mov_b32_e32 v4, 0
	v_mov_b32_e32 v1, 0
	s_and_saveexec_b64 s[58:59], s[20:21]
	s_cbranch_execz .LBB2_3891
; %bb.3886:                             ;   in Loop: Header=BB2_3724 Depth=2
	v_cmp_ne_u16_sdwa vcc, v15, s68 src0_sel:BYTE_0 src1_sel:DWORD
	v_bfrev_b32_e32 v1, 1
	s_and_saveexec_b64 s[60:61], vcc
	s_cbranch_execz .LBB2_3890
; %bb.3887:                             ;   in Loop: Header=BB2_3724 Depth=2
	v_and_b32_e32 v5, 0x7f, v15
	v_cmp_ne_u32_e32 vcc, s69, v5
	v_mov_b32_e32 v1, 0x7f800001
	s_and_saveexec_b64 s[62:63], vcc
	s_cbranch_execz .LBB2_3889
; %bb.3888:                             ;   in Loop: Header=BB2_3724 Depth=2
	v_and_b32_e32 v1, 7, v15
	v_ffbh_u32_e32 v1, v1
	v_min_u32_e32 v1, 32, v1
	v_subrev_u32_e32 v25, 28, v1
	v_cmp_gt_u32_e32 vcc, 8, v5
	v_lshrrev_b32_e32 v24, 3, v5
	v_sub_u32_e32 v1, 29, v1
	v_cndmask_b32_e32 v5, 0, v25, vcc
	v_cndmask_b32_e32 v1, v24, v1, vcc
	v_lshlrev_b64 v[24:25], v5, v[52:53]
	v_lshlrev_b32_e32 v5, 20, v24
	v_lshlrev_b32_e32 v24, 24, v52
	v_and_b32_e32 v5, 0x700000, v5
	v_and_b32_e32 v24, 0x80000000, v24
	v_lshl_add_u32 v1, v1, 23, v49
	v_or3_b32 v1, v24, v1, v5
.LBB2_3889:                             ;   in Loop: Header=BB2_3724 Depth=2
	s_or_b64 exec, exec, s[62:63]
.LBB2_3890:                             ;   in Loop: Header=BB2_3724 Depth=2
	s_or_b64 exec, exec, s[60:61]
.LBB2_3891:                             ;   in Loop: Header=BB2_3724 Depth=2
	s_or_b64 exec, exec, s[58:59]
	v_cmp_ne_u16_sdwa vcc, v11, v53 src0_sel:BYTE_0 src1_sel:DWORD
	s_and_saveexec_b64 s[58:59], vcc
	s_cbranch_execz .LBB2_3897
; %bb.3892:                             ;   in Loop: Header=BB2_3724 Depth=2
	v_cmp_ne_u16_sdwa vcc, v11, s68 src0_sel:BYTE_0 src1_sel:DWORD
	v_bfrev_b32_e32 v4, 1
	s_and_saveexec_b64 s[60:61], vcc
	s_cbranch_execz .LBB2_3896
; %bb.3893:                             ;   in Loop: Header=BB2_3724 Depth=2
	v_and_b32_e32 v5, 0x7f, v11
	v_cmp_ne_u32_e32 vcc, s69, v5
	v_mov_b32_e32 v4, 0x7f800001
	s_and_saveexec_b64 s[62:63], vcc
	s_cbranch_execz .LBB2_3895
; %bb.3894:                             ;   in Loop: Header=BB2_3724 Depth=2
	v_and_b32_e32 v4, 7, v11
	v_ffbh_u32_e32 v4, v4
	v_min_u32_e32 v4, 32, v4
	v_lshrrev_b32_e32 v24, 3, v5
	v_subrev_u32_e32 v25, 28, v4
	v_sub_u32_e32 v4, 29, v4
	v_cmp_gt_u32_e32 vcc, 8, v5
	v_cndmask_b32_e32 v24, v24, v4, vcc
	v_cndmask_b32_e32 v4, 0, v25, vcc
	v_lshlrev_b64 v[4:5], v4, v[2:3]
	v_lshlrev_b32_e32 v4, 20, v4
	v_lshlrev_b32_e32 v5, 24, v2
	v_and_b32_e32 v4, 0x700000, v4
	v_and_b32_e32 v5, 0x80000000, v5
	v_lshl_add_u32 v24, v24, 23, v49
	v_or3_b32 v4, v5, v24, v4
.LBB2_3895:                             ;   in Loop: Header=BB2_3724 Depth=2
	s_or_b64 exec, exec, s[62:63]
.LBB2_3896:                             ;   in Loop: Header=BB2_3724 Depth=2
	s_or_b64 exec, exec, s[60:61]
.LBB2_3897:                             ;   in Loop: Header=BB2_3724 Depth=2
	s_or_b64 exec, exec, s[58:59]
	v_max_f32_e32 v4, v4, v4
	v_max_f32_e32 v1, v1, v1
	;; [unrolled: 1-line block ×3, first 2 shown]
	s_branch .LBB2_3912
.LBB2_3898:                             ;   in Loop: Header=BB2_3724 Depth=2
                                        ; implicit-def: $vgpr4
	s_cbranch_execz .LBB2_3912
; %bb.3899:                             ;   in Loop: Header=BB2_3724 Depth=2
	v_mov_b32_e32 v4, 0
	v_mov_b32_e32 v1, 0
	s_and_saveexec_b64 s[58:59], s[20:21]
	s_cbranch_execz .LBB2_3905
; %bb.3900:                             ;   in Loop: Header=BB2_3724 Depth=2
	v_cmp_ne_u16_sdwa vcc, v15, s68 src0_sel:BYTE_0 src1_sel:DWORD
	v_bfrev_b32_e32 v1, 1
	s_and_saveexec_b64 s[20:21], vcc
	s_cbranch_execz .LBB2_3904
; %bb.3901:                             ;   in Loop: Header=BB2_3724 Depth=2
	v_and_b32_e32 v5, 0x7f, v15
	v_cmp_ne_u32_e32 vcc, s69, v5
	v_mov_b32_e32 v1, 0x7f800001
	s_and_saveexec_b64 s[60:61], vcc
	s_cbranch_execz .LBB2_3903
; %bb.3902:                             ;   in Loop: Header=BB2_3724 Depth=2
	v_and_b32_e32 v1, 7, v15
	v_ffbh_u32_e32 v1, v1
	v_min_u32_e32 v1, 32, v1
	v_subrev_u32_e32 v25, 28, v1
	v_cmp_gt_u32_e32 vcc, 8, v5
	v_lshrrev_b32_e32 v24, 3, v5
	v_sub_u32_e32 v1, 29, v1
	v_cndmask_b32_e32 v5, 0, v25, vcc
	v_cndmask_b32_e32 v1, v24, v1, vcc
	v_lshlrev_b64 v[24:25], v5, v[52:53]
	v_lshlrev_b32_e32 v5, 20, v24
	v_lshlrev_b32_e32 v24, 24, v52
	v_and_b32_e32 v5, 0x700000, v5
	v_and_b32_e32 v24, 0x80000000, v24
	v_lshl_add_u32 v1, v1, 23, v49
	v_or3_b32 v1, v24, v1, v5
.LBB2_3903:                             ;   in Loop: Header=BB2_3724 Depth=2
	s_or_b64 exec, exec, s[60:61]
.LBB2_3904:                             ;   in Loop: Header=BB2_3724 Depth=2
	s_or_b64 exec, exec, s[20:21]
.LBB2_3905:                             ;   in Loop: Header=BB2_3724 Depth=2
	s_or_b64 exec, exec, s[58:59]
	v_cmp_ne_u16_sdwa vcc, v11, v53 src0_sel:BYTE_0 src1_sel:DWORD
	s_and_saveexec_b64 s[20:21], vcc
	s_cbranch_execz .LBB2_3911
; %bb.3906:                             ;   in Loop: Header=BB2_3724 Depth=2
	v_cmp_ne_u16_sdwa vcc, v11, s68 src0_sel:BYTE_0 src1_sel:DWORD
	v_bfrev_b32_e32 v4, 1
	s_and_saveexec_b64 s[58:59], vcc
	s_cbranch_execz .LBB2_3910
; %bb.3907:                             ;   in Loop: Header=BB2_3724 Depth=2
	v_and_b32_e32 v5, 0x7f, v11
	v_cmp_ne_u32_e32 vcc, s69, v5
	v_mov_b32_e32 v4, 0x7f800001
	s_and_saveexec_b64 s[60:61], vcc
	s_cbranch_execz .LBB2_3909
; %bb.3908:                             ;   in Loop: Header=BB2_3724 Depth=2
	v_and_b32_e32 v4, 7, v11
	v_ffbh_u32_e32 v4, v4
	v_min_u32_e32 v4, 32, v4
	v_lshrrev_b32_e32 v24, 3, v5
	v_subrev_u32_e32 v25, 28, v4
	v_sub_u32_e32 v4, 29, v4
	v_cmp_gt_u32_e32 vcc, 8, v5
	v_cndmask_b32_e32 v24, v24, v4, vcc
	v_cndmask_b32_e32 v4, 0, v25, vcc
	v_lshlrev_b64 v[4:5], v4, v[2:3]
	v_lshlrev_b32_e32 v3, 20, v4
	v_lshlrev_b32_e32 v4, 24, v2
	v_and_b32_e32 v3, 0x700000, v3
	v_and_b32_e32 v4, 0x80000000, v4
	v_lshl_add_u32 v5, v24, 23, v49
	v_or3_b32 v4, v4, v5, v3
.LBB2_3909:                             ;   in Loop: Header=BB2_3724 Depth=2
	s_or_b64 exec, exec, s[60:61]
.LBB2_3910:                             ;   in Loop: Header=BB2_3724 Depth=2
	s_or_b64 exec, exec, s[58:59]
.LBB2_3911:                             ;   in Loop: Header=BB2_3724 Depth=2
	s_or_b64 exec, exec, s[20:21]
	v_max_f32_e32 v3, v4, v4
	v_max_f32_e32 v1, v1, v1
	v_min_f32_e32 v4, v1, v3
.LBB2_3912:                             ;   in Loop: Header=BB2_3724 Depth=2
	v_and_b32_sdwa v1, v4, s68 dst_sel:DWORD dst_unused:UNUSED_PAD src0_sel:BYTE_3 src1_sel:DWORD
	v_and_b32_e32 v38, 0x7f800000, v4
	v_mov_b32_e32 v39, v53
	v_and_b32_e32 v24, 0x7fffff, v4
	v_mov_b32_e32 v25, v53
	v_or_b32_e32 v27, 0x7e, v1
	v_cmp_ne_u64_e32 vcc, s[40:41], v[38:39]
	s_and_saveexec_b64 s[20:21], vcc
	s_xor_b64 s[58:59], exec, s[20:21]
	s_cbranch_execz .LBB2_3922
; %bb.3913:                             ;   in Loop: Header=BB2_3724 Depth=2
	v_and_b32_e32 v38, 0x7fffffff, v4
	v_mov_b32_e32 v39, v53
	v_cmp_gt_u64_e32 vcc, s[42:43], v[38:39]
	s_and_saveexec_b64 s[60:61], vcc
	s_cbranch_execz .LBB2_3921
; %bb.3914:                             ;   in Loop: Header=BB2_3724 Depth=2
	v_cmp_ne_u32_e32 vcc, 0, v4
	v_mov_b32_e32 v27, 0
	s_and_saveexec_b64 s[62:63], vcc
	s_cbranch_execz .LBB2_3920
; %bb.3915:                             ;   in Loop: Header=BB2_3724 Depth=2
	v_bfe_u32 v3, v4, 23, 8
	v_sub_u32_e32 v5, 0x79, v3
	v_cmp_gt_u32_e32 vcc, s72, v3
	v_add_u32_e32 v4, 0xffffff81, v3
	v_cndmask_b32_e32 v5, 0, v5, vcc
	v_cmp_eq_u32_e32 vcc, 0, v3
	v_mov_b32_e32 v3, 0xffffff82
	v_cndmask_b32_e32 v3, v4, v3, vcc
	v_mov_b32_e32 v4, 0x78
	v_cndmask_b32_e32 v28, v5, v4, vcc
	v_add_u32_e32 v4, 20, v28
	v_or_b32_e32 v27, 0x800000, v24
	v_lshlrev_b64 v[4:5], v4, -1
	v_cndmask_b32_e32 v24, v27, v24, vcc
	v_not_b32_e32 v4, v4
	v_and_b32_e32 v38, v24, v4
	v_add_u32_e32 v4, 19, v28
	v_lshrrev_b64 v[24:25], v28, v[24:25]
	v_not_b32_e32 v5, v5
	v_lshlrev_b64 v[48:49], v4, 1
	v_lshrrev_b32_e32 v4, 23, v24
	v_and_b32_e32 v39, 0, v5
	v_add3_u32 v5, v28, v3, v4
	v_bfe_u32 v3, v24, 20, 1
	v_add_u32_e32 v3, -1, v3
	v_cmp_eq_u64_e32 vcc, v[38:39], v[48:49]
	v_cndmask_b32_e32 v3, 0, v3, vcc
	v_add_u32_e32 v3, v3, v24
	v_and_b32_e32 v3, 0xfffff, v3
	v_add_co_u32_e32 v24, vcc, v3, v24
	v_add_u32_e32 v4, 6, v5
	v_addc_co_u32_e32 v25, vcc, 0, v25, vcc
	v_cmp_ne_u32_e32 vcc, 0, v4
                                        ; implicit-def: $vgpr3
	s_and_saveexec_b64 s[20:21], vcc
	s_xor_b64 s[20:21], exec, s[20:21]
; %bb.3916:                             ;   in Loop: Header=BB2_3724 Depth=2
	v_add_u32_e32 v3, 7, v5
	v_cmp_lt_u64_e32 vcc, s[46:47], v[24:25]
	v_cndmask_b32_e32 v3, v4, v3, vcc
	v_cndmask_b32_e64 v4, 0, 1, vcc
	v_lshrrev_b64 v[24:25], v4, v[24:25]
; %bb.3917:                             ;   in Loop: Header=BB2_3724 Depth=2
	s_andn2_saveexec_b64 s[20:21], s[20:21]
; %bb.3918:                             ;   in Loop: Header=BB2_3724 Depth=2
	v_bfe_u32 v3, v24, 23, 1
; %bb.3919:                             ;   in Loop: Header=BB2_3724 Depth=2
	s_or_b64 exec, exec, s[20:21]
	v_lshrrev_b64 v[4:5], 20, v[24:25]
	v_cmp_gt_i32_e32 vcc, 16, v3
	v_cndmask_b32_e32 v5, 0, v5, vcc
	v_cndmask_b32_e32 v4, 7, v4, vcc
	v_cmp_eq_u32_e32 vcc, 0, v3
	v_min_i32_e32 v3, 15, v3
	v_cmp_eq_u64_e64 s[20:21], 0, v[4:5]
	v_lshlrev_b32_e32 v3, 3, v3
	v_and_or_b32 v3, v4, 7, v3
	s_and_b64 s[20:21], vcc, s[20:21]
	v_cndmask_b32_e64 v3, v3, 0, s[20:21]
	v_or_b32_e32 v27, v3, v1
	v_bfrev_b32_e32 v49, 60
.LBB2_3920:                             ;   in Loop: Header=BB2_3724 Depth=2
	s_or_b64 exec, exec, s[62:63]
.LBB2_3921:                             ;   in Loop: Header=BB2_3724 Depth=2
	s_or_b64 exec, exec, s[60:61]
                                        ; implicit-def: $vgpr4
                                        ; implicit-def: $vgpr24_vgpr25
.LBB2_3922:                             ;   in Loop: Header=BB2_3724 Depth=2
	s_andn2_saveexec_b64 s[20:21], s[58:59]
; %bb.3923:                             ;   in Loop: Header=BB2_3724 Depth=2
	v_or_b32_sdwa v1, v4, s69 dst_sel:DWORD dst_unused:UNUSED_PAD src0_sel:BYTE_3 src1_sel:DWORD
	v_cmp_eq_u64_e32 vcc, 0, v[24:25]
	v_cndmask_b32_e32 v27, v1, v27, vcc
; %bb.3924:                             ;   in Loop: Header=BB2_3724 Depth=2
	s_or_b64 exec, exec, s[20:21]
	v_lshrrev_b16_e32 v28, 8, v52
	v_lshrrev_b16_e32 v24, 8, v2
	v_cmp_ne_u16_e64 s[20:21], 0, v28
	s_and_b64 vcc, exec, s[56:57]
	s_cbranch_vccz .LBB2_3938
; %bb.3925:                             ;   in Loop: Header=BB2_3724 Depth=2
	v_mov_b32_e32 v3, 0
	v_mov_b32_e32 v1, 0
	s_and_saveexec_b64 s[58:59], s[20:21]
	s_cbranch_execz .LBB2_3931
; %bb.3926:                             ;   in Loop: Header=BB2_3724 Depth=2
	v_cmp_ne_u16_e32 vcc, s68, v28
	v_bfrev_b32_e32 v1, 1
	s_and_saveexec_b64 s[60:61], vcc
	s_cbranch_execz .LBB2_3930
; %bb.3927:                             ;   in Loop: Header=BB2_3724 Depth=2
	v_and_b32_e32 v4, 0x7f, v28
	v_cmp_ne_u32_e32 vcc, s69, v4
	v_mov_b32_e32 v1, 0x7f800001
	s_and_saveexec_b64 s[62:63], vcc
	s_cbranch_execz .LBB2_3929
; %bb.3928:                             ;   in Loop: Header=BB2_3724 Depth=2
	v_and_b32_e32 v1, 7, v28
	v_ffbh_u32_e32 v25, v1
	v_min_u32_e32 v25, 32, v25
	v_subrev_u32_e32 v38, 28, v25
	v_lshlrev_b64 v[38:39], v38, v[28:29]
	v_lshrrev_b32_e32 v5, 3, v4
	v_sub_u32_e32 v25, 29, v25
	v_and_b32_e32 v38, 7, v38
	v_cmp_gt_u32_e32 vcc, 8, v4
	v_cndmask_b32_e32 v4, v5, v25, vcc
	v_cndmask_b32_e32 v1, v1, v38, vcc
	v_lshlrev_b32_e32 v5, 16, v52
	v_lshlrev_b32_e32 v1, 20, v1
	v_and_b32_e32 v5, 0x80000000, v5
	v_lshl_add_u32 v4, v4, 23, v49
	v_or3_b32 v1, v5, v4, v1
.LBB2_3929:                             ;   in Loop: Header=BB2_3724 Depth=2
	s_or_b64 exec, exec, s[62:63]
.LBB2_3930:                             ;   in Loop: Header=BB2_3724 Depth=2
	s_or_b64 exec, exec, s[60:61]
.LBB2_3931:                             ;   in Loop: Header=BB2_3724 Depth=2
	s_or_b64 exec, exec, s[58:59]
	v_cmp_ne_u16_e32 vcc, 0, v24
	s_and_saveexec_b64 s[58:59], vcc
	s_cbranch_execz .LBB2_3937
; %bb.3932:                             ;   in Loop: Header=BB2_3724 Depth=2
	v_cmp_ne_u16_e32 vcc, s68, v24
	v_bfrev_b32_e32 v3, 1
	s_and_saveexec_b64 s[60:61], vcc
	s_cbranch_execz .LBB2_3936
; %bb.3933:                             ;   in Loop: Header=BB2_3724 Depth=2
	v_and_b32_e32 v4, 0x7f, v24
	v_cmp_ne_u32_e32 vcc, s69, v4
	v_mov_b32_e32 v3, 0x7f800001
	s_and_saveexec_b64 s[62:63], vcc
	s_cbranch_execz .LBB2_3935
; %bb.3934:                             ;   in Loop: Header=BB2_3724 Depth=2
	v_and_b32_e32 v3, 7, v24
	v_ffbh_u32_e32 v25, v3
	v_min_u32_e32 v25, 32, v25
	v_subrev_u32_e32 v38, 28, v25
	v_lshlrev_b64 v[38:39], v38, v[24:25]
	v_lshrrev_b32_e32 v5, 3, v4
	v_sub_u32_e32 v25, 29, v25
	v_and_b32_e32 v38, 7, v38
	v_cmp_gt_u32_e32 vcc, 8, v4
	v_cndmask_b32_e32 v4, v5, v25, vcc
	v_cndmask_b32_e32 v3, v3, v38, vcc
	v_lshlrev_b32_e32 v5, 16, v2
	v_lshlrev_b32_e32 v3, 20, v3
	v_and_b32_e32 v5, 0x80000000, v5
	v_lshl_add_u32 v4, v4, 23, v49
	v_or3_b32 v3, v5, v4, v3
.LBB2_3935:                             ;   in Loop: Header=BB2_3724 Depth=2
	s_or_b64 exec, exec, s[62:63]
.LBB2_3936:                             ;   in Loop: Header=BB2_3724 Depth=2
	s_or_b64 exec, exec, s[60:61]
.LBB2_3937:                             ;   in Loop: Header=BB2_3724 Depth=2
	s_or_b64 exec, exec, s[58:59]
	v_max_f32_e32 v3, v3, v3
	v_max_f32_e32 v1, v1, v1
	;; [unrolled: 1-line block ×3, first 2 shown]
	s_branch .LBB2_3952
.LBB2_3938:                             ;   in Loop: Header=BB2_3724 Depth=2
                                        ; implicit-def: $vgpr3
	s_cbranch_execz .LBB2_3952
; %bb.3939:                             ;   in Loop: Header=BB2_3724 Depth=2
	v_mov_b32_e32 v3, 0
	v_mov_b32_e32 v1, 0
	s_and_saveexec_b64 s[58:59], s[20:21]
	s_cbranch_execz .LBB2_3945
; %bb.3940:                             ;   in Loop: Header=BB2_3724 Depth=2
	v_cmp_ne_u16_e32 vcc, s68, v28
	v_bfrev_b32_e32 v1, 1
	s_and_saveexec_b64 s[20:21], vcc
	s_cbranch_execz .LBB2_3944
; %bb.3941:                             ;   in Loop: Header=BB2_3724 Depth=2
	v_and_b32_e32 v4, 0x7f, v28
	v_cmp_ne_u32_e32 vcc, s69, v4
	v_mov_b32_e32 v1, 0x7f800001
	s_and_saveexec_b64 s[60:61], vcc
	s_cbranch_execz .LBB2_3943
; %bb.3942:                             ;   in Loop: Header=BB2_3724 Depth=2
	v_and_b32_e32 v1, 7, v28
	v_ffbh_u32_e32 v25, v1
	v_min_u32_e32 v25, 32, v25
	v_subrev_u32_e32 v38, 28, v25
	v_lshlrev_b64 v[38:39], v38, v[28:29]
	v_lshrrev_b32_e32 v5, 3, v4
	v_sub_u32_e32 v25, 29, v25
	v_and_b32_e32 v28, 7, v38
	v_cmp_gt_u32_e32 vcc, 8, v4
	v_cndmask_b32_e32 v4, v5, v25, vcc
	v_cndmask_b32_e32 v1, v1, v28, vcc
	v_lshlrev_b32_e32 v5, 16, v52
	v_lshlrev_b32_e32 v1, 20, v1
	v_and_b32_e32 v5, 0x80000000, v5
	v_lshl_add_u32 v4, v4, 23, v49
	v_or3_b32 v1, v5, v4, v1
.LBB2_3943:                             ;   in Loop: Header=BB2_3724 Depth=2
	s_or_b64 exec, exec, s[60:61]
.LBB2_3944:                             ;   in Loop: Header=BB2_3724 Depth=2
	s_or_b64 exec, exec, s[20:21]
.LBB2_3945:                             ;   in Loop: Header=BB2_3724 Depth=2
	s_or_b64 exec, exec, s[58:59]
	v_cmp_ne_u16_e32 vcc, 0, v24
	s_and_saveexec_b64 s[20:21], vcc
	s_cbranch_execz .LBB2_3951
; %bb.3946:                             ;   in Loop: Header=BB2_3724 Depth=2
	v_cmp_ne_u16_e32 vcc, s68, v24
	v_bfrev_b32_e32 v3, 1
	s_and_saveexec_b64 s[58:59], vcc
	s_cbranch_execz .LBB2_3950
; %bb.3947:                             ;   in Loop: Header=BB2_3724 Depth=2
	v_and_b32_e32 v4, 0x7f, v24
	v_cmp_ne_u32_e32 vcc, s69, v4
	v_mov_b32_e32 v3, 0x7f800001
	s_and_saveexec_b64 s[60:61], vcc
	s_cbranch_execz .LBB2_3949
; %bb.3948:                             ;   in Loop: Header=BB2_3724 Depth=2
	v_and_b32_e32 v3, 7, v24
	v_ffbh_u32_e32 v25, v3
	v_min_u32_e32 v28, 32, v25
	v_subrev_u32_e32 v25, 28, v28
	v_lshlrev_b64 v[24:25], v25, v[24:25]
	v_lshrrev_b32_e32 v5, 3, v4
	v_sub_u32_e32 v25, 29, v28
	v_and_b32_e32 v24, 7, v24
	v_cmp_gt_u32_e32 vcc, 8, v4
	v_cndmask_b32_e32 v4, v5, v25, vcc
	v_cndmask_b32_e32 v3, v3, v24, vcc
	v_lshlrev_b32_e32 v2, 16, v2
	v_lshlrev_b32_e32 v3, 20, v3
	v_and_b32_e32 v2, 0x80000000, v2
	v_lshl_add_u32 v4, v4, 23, v49
	v_or3_b32 v3, v2, v4, v3
.LBB2_3949:                             ;   in Loop: Header=BB2_3724 Depth=2
	s_or_b64 exec, exec, s[60:61]
.LBB2_3950:                             ;   in Loop: Header=BB2_3724 Depth=2
	s_or_b64 exec, exec, s[58:59]
.LBB2_3951:                             ;   in Loop: Header=BB2_3724 Depth=2
	s_or_b64 exec, exec, s[20:21]
	v_max_f32_e32 v2, v3, v3
	v_max_f32_e32 v1, v1, v1
	v_min_f32_e32 v3, v1, v2
.LBB2_3952:                             ;   in Loop: Header=BB2_3724 Depth=2
	v_and_b32_sdwa v1, v3, s68 dst_sel:DWORD dst_unused:UNUSED_PAD src0_sel:BYTE_3 src1_sel:DWORD
	v_and_b32_e32 v4, 0x7f800000, v3
	v_mov_b32_e32 v5, v53
	v_and_b32_e32 v52, 0x7fffff, v3
	v_or_b32_e32 v25, 0x7e, v1
	v_cmp_ne_u64_e32 vcc, s[40:41], v[4:5]
	s_and_saveexec_b64 s[20:21], vcc
	s_xor_b64 s[58:59], exec, s[20:21]
	s_cbranch_execz .LBB2_3962
; %bb.3953:                             ;   in Loop: Header=BB2_3724 Depth=2
	v_and_b32_e32 v4, 0x7fffffff, v3
	v_mov_b32_e32 v5, v53
	v_cmp_gt_u64_e32 vcc, s[42:43], v[4:5]
	s_and_saveexec_b64 s[60:61], vcc
	s_cbranch_execz .LBB2_3961
; %bb.3954:                             ;   in Loop: Header=BB2_3724 Depth=2
	v_cmp_ne_u32_e32 vcc, 0, v3
	v_mov_b32_e32 v25, 0
	s_and_saveexec_b64 s[62:63], vcc
	s_cbranch_execz .LBB2_3960
; %bb.3955:                             ;   in Loop: Header=BB2_3724 Depth=2
	v_bfe_u32 v2, v3, 23, 8
	v_sub_u32_e32 v4, 0x79, v2
	v_cmp_gt_u32_e32 vcc, s72, v2
	v_add_u32_e32 v3, 0xffffff81, v2
	v_cndmask_b32_e32 v4, 0, v4, vcc
	v_cmp_eq_u32_e32 vcc, 0, v2
	v_mov_b32_e32 v2, 0xffffff82
	v_cndmask_b32_e32 v24, v3, v2, vcc
	v_mov_b32_e32 v2, 0x78
	v_or_b32_e32 v5, 0x800000, v52
	v_cndmask_b32_e32 v4, v4, v2, vcc
	v_cndmask_b32_e32 v52, v5, v52, vcc
	v_add_u32_e32 v2, 20, v4
	v_lshlrev_b64 v[2:3], v2, -1
	v_add_u32_e32 v5, 19, v4
	v_lshrrev_b64 v[48:49], v4, v[52:53]
	v_not_b32_e32 v3, v3
	v_not_b32_e32 v2, v2
	v_lshlrev_b64 v[38:39], v5, 1
	v_lshrrev_b32_e32 v5, 23, v48
	v_and_b32_e32 v3, 0, v3
	v_and_b32_e32 v2, v52, v2
	v_add3_u32 v24, v4, v24, v5
	v_bfe_u32 v4, v48, 20, 1
	v_add_u32_e32 v4, -1, v4
	v_cmp_eq_u64_e32 vcc, v[2:3], v[38:39]
	v_cndmask_b32_e32 v2, 0, v4, vcc
	v_add_u32_e32 v2, v2, v48
	v_and_b32_e32 v2, 0xfffff, v2
	v_add_co_u32_e32 v2, vcc, v2, v48
	v_add_u32_e32 v5, 6, v24
	v_addc_co_u32_e32 v3, vcc, 0, v49, vcc
	v_cmp_ne_u32_e32 vcc, 0, v5
                                        ; implicit-def: $vgpr4
	s_and_saveexec_b64 s[20:21], vcc
	s_xor_b64 s[20:21], exec, s[20:21]
; %bb.3956:                             ;   in Loop: Header=BB2_3724 Depth=2
	v_add_u32_e32 v4, 7, v24
	v_cmp_lt_u64_e32 vcc, s[46:47], v[2:3]
	v_cndmask_b32_e32 v4, v5, v4, vcc
	v_cndmask_b32_e64 v5, 0, 1, vcc
	v_lshrrev_b64 v[2:3], v5, v[2:3]
; %bb.3957:                             ;   in Loop: Header=BB2_3724 Depth=2
	s_andn2_saveexec_b64 s[20:21], s[20:21]
; %bb.3958:                             ;   in Loop: Header=BB2_3724 Depth=2
	v_bfe_u32 v4, v2, 23, 1
; %bb.3959:                             ;   in Loop: Header=BB2_3724 Depth=2
	s_or_b64 exec, exec, s[20:21]
	v_lshrrev_b64 v[2:3], 20, v[2:3]
	v_cmp_gt_i32_e32 vcc, 16, v4
	v_cndmask_b32_e32 v3, 0, v3, vcc
	v_cndmask_b32_e32 v2, 7, v2, vcc
	v_cmp_eq_u64_e64 s[20:21], 0, v[2:3]
	v_min_i32_e32 v3, 15, v4
	v_cmp_eq_u32_e32 vcc, 0, v4
	v_lshlrev_b32_e32 v3, 3, v3
	v_and_or_b32 v2, v2, 7, v3
	s_and_b64 s[20:21], vcc, s[20:21]
	v_cndmask_b32_e64 v2, v2, 0, s[20:21]
	v_or_b32_e32 v25, v2, v1
	v_bfrev_b32_e32 v49, 60
.LBB2_3960:                             ;   in Loop: Header=BB2_3724 Depth=2
	s_or_b64 exec, exec, s[62:63]
.LBB2_3961:                             ;   in Loop: Header=BB2_3724 Depth=2
	s_or_b64 exec, exec, s[60:61]
                                        ; implicit-def: $vgpr3
.LBB2_3962:                             ;   in Loop: Header=BB2_3724 Depth=2
	s_andn2_saveexec_b64 s[20:21], s[58:59]
; %bb.3963:                             ;   in Loop: Header=BB2_3724 Depth=2
	v_or_b32_sdwa v1, v3, s69 dst_sel:DWORD dst_unused:UNUSED_PAD src0_sel:BYTE_3 src1_sel:DWORD
	v_cmp_eq_u64_e32 vcc, 0, v[52:53]
	v_cndmask_b32_e32 v25, v1, v25, vcc
; %bb.3964:                             ;   in Loop: Header=BB2_3724 Depth=2
	s_or_b64 exec, exec, s[20:21]
	v_lshrrev_b32_e32 v24, 16, v15
	v_lshrrev_b32_e32 v2, 16, v11
	v_cmp_ne_u16_sdwa s[20:21], v24, v53 src0_sel:BYTE_0 src1_sel:DWORD
	s_and_b64 vcc, exec, s[56:57]
	s_cbranch_vccz .LBB2_3978
; %bb.3965:                             ;   in Loop: Header=BB2_3724 Depth=2
	v_mov_b32_e32 v3, 0
	v_mov_b32_e32 v1, 0
	s_and_saveexec_b64 s[58:59], s[20:21]
	s_cbranch_execz .LBB2_3971
; %bb.3966:                             ;   in Loop: Header=BB2_3724 Depth=2
	v_cmp_ne_u16_sdwa vcc, v24, s68 src0_sel:BYTE_0 src1_sel:DWORD
	v_bfrev_b32_e32 v1, 1
	s_and_saveexec_b64 s[60:61], vcc
	s_cbranch_execz .LBB2_3970
; %bb.3967:                             ;   in Loop: Header=BB2_3724 Depth=2
	v_bfe_u32 v4, v15, 16, 7
	v_cmp_ne_u32_e32 vcc, s69, v4
	v_mov_b32_e32 v1, 0x7f800001
	s_and_saveexec_b64 s[62:63], vcc
	s_cbranch_execz .LBB2_3969
; %bb.3968:                             ;   in Loop: Header=BB2_3724 Depth=2
	v_and_b32_e32 v1, 7, v24
	v_ffbh_u32_e32 v28, v1
	v_min_u32_e32 v28, 32, v28
	v_subrev_u32_e32 v38, 28, v28
	v_lshlrev_b64 v[38:39], v38, v[24:25]
	v_lshrrev_b32_e32 v5, 3, v4
	v_sub_u32_e32 v28, 29, v28
	v_and_b32_e32 v38, 7, v38
	v_cmp_gt_u32_e32 vcc, 8, v4
	v_cndmask_b32_e32 v4, v5, v28, vcc
	v_cndmask_b32_e32 v1, v1, v38, vcc
	v_lshlrev_b32_e32 v5, 24, v24
	v_lshlrev_b32_e32 v1, 20, v1
	v_and_b32_e32 v5, 0x80000000, v5
	v_lshl_add_u32 v4, v4, 23, v49
	v_or3_b32 v1, v5, v4, v1
.LBB2_3969:                             ;   in Loop: Header=BB2_3724 Depth=2
	s_or_b64 exec, exec, s[62:63]
.LBB2_3970:                             ;   in Loop: Header=BB2_3724 Depth=2
	s_or_b64 exec, exec, s[60:61]
.LBB2_3971:                             ;   in Loop: Header=BB2_3724 Depth=2
	s_or_b64 exec, exec, s[58:59]
	v_cmp_ne_u16_sdwa vcc, v2, v53 src0_sel:BYTE_0 src1_sel:DWORD
	s_and_saveexec_b64 s[58:59], vcc
	s_cbranch_execz .LBB2_3977
; %bb.3972:                             ;   in Loop: Header=BB2_3724 Depth=2
	v_cmp_ne_u16_sdwa vcc, v2, s68 src0_sel:BYTE_0 src1_sel:DWORD
	v_bfrev_b32_e32 v3, 1
	s_and_saveexec_b64 s[60:61], vcc
	s_cbranch_execz .LBB2_3976
; %bb.3973:                             ;   in Loop: Header=BB2_3724 Depth=2
	v_bfe_u32 v4, v11, 16, 7
	v_cmp_ne_u32_e32 vcc, s69, v4
	v_mov_b32_e32 v3, 0x7f800001
	s_and_saveexec_b64 s[62:63], vcc
	s_cbranch_execz .LBB2_3975
; %bb.3974:                             ;   in Loop: Header=BB2_3724 Depth=2
	v_and_b32_e32 v3, 7, v2
	v_ffbh_u32_e32 v28, v3
	v_min_u32_e32 v28, 32, v28
	v_subrev_u32_e32 v38, 28, v28
	v_lshlrev_b64 v[38:39], v38, v[2:3]
	v_lshrrev_b32_e32 v5, 3, v4
	v_sub_u32_e32 v28, 29, v28
	v_and_b32_e32 v38, 7, v38
	v_cmp_gt_u32_e32 vcc, 8, v4
	v_cndmask_b32_e32 v4, v5, v28, vcc
	v_cndmask_b32_e32 v3, v3, v38, vcc
	v_lshlrev_b32_e32 v5, 24, v2
	v_lshlrev_b32_e32 v3, 20, v3
	v_and_b32_e32 v5, 0x80000000, v5
	v_lshl_add_u32 v4, v4, 23, v49
	v_or3_b32 v3, v5, v4, v3
.LBB2_3975:                             ;   in Loop: Header=BB2_3724 Depth=2
	s_or_b64 exec, exec, s[62:63]
.LBB2_3976:                             ;   in Loop: Header=BB2_3724 Depth=2
	s_or_b64 exec, exec, s[60:61]
.LBB2_3977:                             ;   in Loop: Header=BB2_3724 Depth=2
	s_or_b64 exec, exec, s[58:59]
	v_max_f32_e32 v3, v3, v3
	v_max_f32_e32 v1, v1, v1
	;; [unrolled: 1-line block ×3, first 2 shown]
	s_branch .LBB2_3992
.LBB2_3978:                             ;   in Loop: Header=BB2_3724 Depth=2
                                        ; implicit-def: $vgpr3
	s_cbranch_execz .LBB2_3992
; %bb.3979:                             ;   in Loop: Header=BB2_3724 Depth=2
	v_mov_b32_e32 v3, 0
	v_mov_b32_e32 v1, 0
	s_and_saveexec_b64 s[58:59], s[20:21]
	s_cbranch_execz .LBB2_3985
; %bb.3980:                             ;   in Loop: Header=BB2_3724 Depth=2
	v_cmp_ne_u16_sdwa vcc, v24, s68 src0_sel:BYTE_0 src1_sel:DWORD
	v_bfrev_b32_e32 v1, 1
	s_and_saveexec_b64 s[20:21], vcc
	s_cbranch_execz .LBB2_3984
; %bb.3981:                             ;   in Loop: Header=BB2_3724 Depth=2
	v_bfe_u32 v4, v15, 16, 7
	v_cmp_ne_u32_e32 vcc, s69, v4
	v_mov_b32_e32 v1, 0x7f800001
	s_and_saveexec_b64 s[60:61], vcc
	s_cbranch_execz .LBB2_3983
; %bb.3982:                             ;   in Loop: Header=BB2_3724 Depth=2
	v_and_b32_e32 v1, 7, v24
	v_ffbh_u32_e32 v28, v1
	v_min_u32_e32 v28, 32, v28
	v_subrev_u32_e32 v38, 28, v28
	v_lshlrev_b64 v[38:39], v38, v[24:25]
	v_lshrrev_b32_e32 v5, 3, v4
	v_sub_u32_e32 v28, 29, v28
	v_and_b32_e32 v38, 7, v38
	v_cmp_gt_u32_e32 vcc, 8, v4
	v_cndmask_b32_e32 v4, v5, v28, vcc
	v_cndmask_b32_e32 v1, v1, v38, vcc
	v_lshlrev_b32_e32 v5, 24, v24
	v_lshlrev_b32_e32 v1, 20, v1
	v_and_b32_e32 v5, 0x80000000, v5
	v_lshl_add_u32 v4, v4, 23, v49
	v_or3_b32 v1, v5, v4, v1
.LBB2_3983:                             ;   in Loop: Header=BB2_3724 Depth=2
	s_or_b64 exec, exec, s[60:61]
.LBB2_3984:                             ;   in Loop: Header=BB2_3724 Depth=2
	s_or_b64 exec, exec, s[20:21]
.LBB2_3985:                             ;   in Loop: Header=BB2_3724 Depth=2
	s_or_b64 exec, exec, s[58:59]
	v_cmp_ne_u16_sdwa vcc, v2, v53 src0_sel:BYTE_0 src1_sel:DWORD
	s_and_saveexec_b64 s[20:21], vcc
	s_cbranch_execz .LBB2_3991
; %bb.3986:                             ;   in Loop: Header=BB2_3724 Depth=2
	v_cmp_ne_u16_sdwa vcc, v2, s68 src0_sel:BYTE_0 src1_sel:DWORD
	v_bfrev_b32_e32 v3, 1
	s_and_saveexec_b64 s[58:59], vcc
	s_cbranch_execz .LBB2_3990
; %bb.3987:                             ;   in Loop: Header=BB2_3724 Depth=2
	v_bfe_u32 v4, v11, 16, 7
	v_cmp_ne_u32_e32 vcc, s69, v4
	v_mov_b32_e32 v3, 0x7f800001
	s_and_saveexec_b64 s[60:61], vcc
	s_cbranch_execz .LBB2_3989
; %bb.3988:                             ;   in Loop: Header=BB2_3724 Depth=2
	v_and_b32_e32 v3, 7, v2
	v_ffbh_u32_e32 v24, v3
	v_min_u32_e32 v24, 32, v24
	v_subrev_u32_e32 v28, 28, v24
	v_lshlrev_b64 v[38:39], v28, v[2:3]
	v_lshrrev_b32_e32 v5, 3, v4
	v_sub_u32_e32 v24, 29, v24
	v_and_b32_e32 v28, 7, v38
	v_cmp_gt_u32_e32 vcc, 8, v4
	v_cndmask_b32_e32 v4, v5, v24, vcc
	v_cndmask_b32_e32 v3, v3, v28, vcc
	v_lshlrev_b32_e32 v2, 24, v2
	v_lshlrev_b32_e32 v3, 20, v3
	v_and_b32_e32 v2, 0x80000000, v2
	v_lshl_add_u32 v4, v4, 23, v49
	v_or3_b32 v3, v2, v4, v3
.LBB2_3989:                             ;   in Loop: Header=BB2_3724 Depth=2
	s_or_b64 exec, exec, s[60:61]
.LBB2_3990:                             ;   in Loop: Header=BB2_3724 Depth=2
	s_or_b64 exec, exec, s[58:59]
.LBB2_3991:                             ;   in Loop: Header=BB2_3724 Depth=2
	s_or_b64 exec, exec, s[20:21]
	v_max_f32_e32 v2, v3, v3
	v_max_f32_e32 v1, v1, v1
	v_min_f32_e32 v3, v1, v2
.LBB2_3992:                             ;   in Loop: Header=BB2_3724 Depth=2
	v_and_b32_sdwa v1, v3, s68 dst_sel:DWORD dst_unused:UNUSED_PAD src0_sel:BYTE_3 src1_sel:DWORD
	v_and_b32_e32 v4, 0x7f800000, v3
	v_mov_b32_e32 v5, v53
	v_and_b32_e32 v52, 0x7fffff, v3
	v_or_b32_e32 v28, 0x7e, v1
	v_cmp_ne_u64_e32 vcc, s[40:41], v[4:5]
	s_and_saveexec_b64 s[20:21], vcc
	s_xor_b64 s[58:59], exec, s[20:21]
	s_cbranch_execz .LBB2_4002
; %bb.3993:                             ;   in Loop: Header=BB2_3724 Depth=2
	v_and_b32_e32 v4, 0x7fffffff, v3
	v_mov_b32_e32 v5, v53
	v_cmp_gt_u64_e32 vcc, s[42:43], v[4:5]
	s_and_saveexec_b64 s[60:61], vcc
	s_cbranch_execz .LBB2_4001
; %bb.3994:                             ;   in Loop: Header=BB2_3724 Depth=2
	v_cmp_ne_u32_e32 vcc, 0, v3
	v_mov_b32_e32 v28, 0
	s_and_saveexec_b64 s[62:63], vcc
	s_cbranch_execz .LBB2_4000
; %bb.3995:                             ;   in Loop: Header=BB2_3724 Depth=2
	v_bfe_u32 v2, v3, 23, 8
	v_sub_u32_e32 v4, 0x79, v2
	v_cmp_gt_u32_e32 vcc, s72, v2
	v_add_u32_e32 v3, 0xffffff81, v2
	v_cndmask_b32_e32 v4, 0, v4, vcc
	v_cmp_eq_u32_e32 vcc, 0, v2
	v_mov_b32_e32 v2, 0xffffff82
	v_cndmask_b32_e32 v24, v3, v2, vcc
	v_mov_b32_e32 v2, 0x78
	v_or_b32_e32 v5, 0x800000, v52
	v_cndmask_b32_e32 v4, v4, v2, vcc
	v_cndmask_b32_e32 v52, v5, v52, vcc
	v_add_u32_e32 v2, 20, v4
	v_lshlrev_b64 v[2:3], v2, -1
	v_add_u32_e32 v5, 19, v4
	v_lshrrev_b64 v[48:49], v4, v[52:53]
	v_not_b32_e32 v3, v3
	v_not_b32_e32 v2, v2
	v_lshlrev_b64 v[38:39], v5, 1
	v_lshrrev_b32_e32 v5, 23, v48
	v_and_b32_e32 v3, 0, v3
	v_and_b32_e32 v2, v52, v2
	v_add3_u32 v24, v4, v24, v5
	v_bfe_u32 v4, v48, 20, 1
	v_add_u32_e32 v4, -1, v4
	v_cmp_eq_u64_e32 vcc, v[2:3], v[38:39]
	v_cndmask_b32_e32 v2, 0, v4, vcc
	v_add_u32_e32 v2, v2, v48
	v_and_b32_e32 v2, 0xfffff, v2
	v_add_co_u32_e32 v2, vcc, v2, v48
	v_add_u32_e32 v5, 6, v24
	v_addc_co_u32_e32 v3, vcc, 0, v49, vcc
	v_cmp_ne_u32_e32 vcc, 0, v5
                                        ; implicit-def: $vgpr4
	s_and_saveexec_b64 s[20:21], vcc
	s_xor_b64 s[20:21], exec, s[20:21]
; %bb.3996:                             ;   in Loop: Header=BB2_3724 Depth=2
	v_add_u32_e32 v4, 7, v24
	v_cmp_lt_u64_e32 vcc, s[46:47], v[2:3]
	v_cndmask_b32_e32 v4, v5, v4, vcc
	v_cndmask_b32_e64 v5, 0, 1, vcc
	v_lshrrev_b64 v[2:3], v5, v[2:3]
; %bb.3997:                             ;   in Loop: Header=BB2_3724 Depth=2
	s_andn2_saveexec_b64 s[20:21], s[20:21]
; %bb.3998:                             ;   in Loop: Header=BB2_3724 Depth=2
	v_bfe_u32 v4, v2, 23, 1
; %bb.3999:                             ;   in Loop: Header=BB2_3724 Depth=2
	s_or_b64 exec, exec, s[20:21]
	v_lshrrev_b64 v[2:3], 20, v[2:3]
	v_cmp_gt_i32_e32 vcc, 16, v4
	v_cndmask_b32_e32 v3, 0, v3, vcc
	v_cndmask_b32_e32 v2, 7, v2, vcc
	v_cmp_eq_u64_e64 s[20:21], 0, v[2:3]
	v_min_i32_e32 v3, 15, v4
	v_lshlrev_b32_e32 v3, 3, v3
	v_cmp_eq_u32_e32 vcc, 0, v4
	v_and_b32_e32 v3, 0xf8, v3
	v_and_or_b32 v2, v2, 7, v3
	s_and_b64 s[20:21], vcc, s[20:21]
	v_cndmask_b32_e64 v2, v2, 0, s[20:21]
	v_or_b32_e32 v28, v2, v1
	v_bfrev_b32_e32 v49, 60
.LBB2_4000:                             ;   in Loop: Header=BB2_3724 Depth=2
	s_or_b64 exec, exec, s[62:63]
.LBB2_4001:                             ;   in Loop: Header=BB2_3724 Depth=2
	s_or_b64 exec, exec, s[60:61]
                                        ; implicit-def: $vgpr3
.LBB2_4002:                             ;   in Loop: Header=BB2_3724 Depth=2
	s_andn2_saveexec_b64 s[20:21], s[58:59]
; %bb.4003:                             ;   in Loop: Header=BB2_3724 Depth=2
	v_or_b32_sdwa v1, v3, s69 dst_sel:DWORD dst_unused:UNUSED_PAD src0_sel:BYTE_3 src1_sel:DWORD
	v_cmp_eq_u64_e32 vcc, 0, v[52:53]
	v_cndmask_b32_e32 v28, v1, v28, vcc
; %bb.4004:                             ;   in Loop: Header=BB2_3724 Depth=2
	s_or_b64 exec, exec, s[20:21]
	v_lshrrev_b32_e32 v24, 24, v15
	v_lshrrev_b32_e32 v2, 24, v11
	v_cmp_lt_u64_e64 s[20:21], s[44:45], v[14:15]
	s_and_b64 vcc, exec, s[56:57]
	s_cbranch_vccz .LBB2_4018
; %bb.4005:                             ;   in Loop: Header=BB2_3724 Depth=2
	v_mov_b32_e32 v3, 0
	v_mov_b32_e32 v1, 0
	s_and_saveexec_b64 s[58:59], s[20:21]
	s_cbranch_execz .LBB2_4011
; %bb.4006:                             ;   in Loop: Header=BB2_3724 Depth=2
	v_cmp_ne_u32_e32 vcc, s68, v24
	v_bfrev_b32_e32 v1, 1
	s_and_saveexec_b64 s[60:61], vcc
	s_cbranch_execz .LBB2_4010
; %bb.4007:                             ;   in Loop: Header=BB2_3724 Depth=2
	v_bfe_u32 v4, v15, 24, 7
	v_cmp_ne_u32_e32 vcc, s69, v4
	v_mov_b32_e32 v1, 0x7f800001
	s_and_saveexec_b64 s[62:63], vcc
	s_cbranch_execz .LBB2_4009
; %bb.4008:                             ;   in Loop: Header=BB2_3724 Depth=2
	v_and_b32_e32 v1, 7, v24
	v_ffbh_u32_e32 v14, v1
	v_min_u32_e32 v14, 32, v14
	v_subrev_u32_e32 v38, 28, v14
	v_lshlrev_b64 v[38:39], v38, v[24:25]
	v_lshrrev_b32_e32 v5, 3, v4
	v_sub_u32_e32 v14, 29, v14
	v_and_b32_e32 v38, 7, v38
	v_cmp_gt_u32_e32 vcc, 8, v4
	v_cndmask_b32_e32 v4, v5, v14, vcc
	v_cndmask_b32_e32 v1, v1, v38, vcc
	v_lshlrev_b32_e32 v5, 24, v24
	v_lshlrev_b32_e32 v1, 20, v1
	v_and_b32_e32 v5, 0x80000000, v5
	v_lshl_add_u32 v4, v4, 23, v49
	v_or3_b32 v1, v5, v4, v1
.LBB2_4009:                             ;   in Loop: Header=BB2_3724 Depth=2
	s_or_b64 exec, exec, s[62:63]
.LBB2_4010:                             ;   in Loop: Header=BB2_3724 Depth=2
	s_or_b64 exec, exec, s[60:61]
.LBB2_4011:                             ;   in Loop: Header=BB2_3724 Depth=2
	s_or_b64 exec, exec, s[58:59]
	v_cmp_lt_u64_e32 vcc, s[44:45], v[10:11]
	s_and_saveexec_b64 s[58:59], vcc
	s_cbranch_execz .LBB2_4017
; %bb.4012:                             ;   in Loop: Header=BB2_3724 Depth=2
	v_cmp_ne_u32_e32 vcc, s68, v2
	v_bfrev_b32_e32 v3, 1
	s_and_saveexec_b64 s[60:61], vcc
	s_cbranch_execz .LBB2_4016
; %bb.4013:                             ;   in Loop: Header=BB2_3724 Depth=2
	v_bfe_u32 v4, v11, 24, 7
	v_cmp_ne_u32_e32 vcc, s69, v4
	v_mov_b32_e32 v3, 0x7f800001
	s_and_saveexec_b64 s[62:63], vcc
	s_cbranch_execz .LBB2_4015
; %bb.4014:                             ;   in Loop: Header=BB2_3724 Depth=2
	v_and_b32_e32 v3, 7, v2
	v_ffbh_u32_e32 v14, v3
	v_min_u32_e32 v14, 32, v14
	v_subrev_u32_e32 v38, 28, v14
	v_lshlrev_b64 v[38:39], v38, v[2:3]
	v_lshrrev_b32_e32 v5, 3, v4
	v_sub_u32_e32 v14, 29, v14
	v_and_b32_e32 v38, 7, v38
	v_cmp_gt_u32_e32 vcc, 8, v4
	v_cndmask_b32_e32 v4, v5, v14, vcc
	v_cndmask_b32_e32 v3, v3, v38, vcc
	v_lshlrev_b32_e32 v5, 24, v2
	v_lshlrev_b32_e32 v3, 20, v3
	v_and_b32_e32 v5, 0x80000000, v5
	v_lshl_add_u32 v4, v4, 23, v49
	v_or3_b32 v3, v5, v4, v3
.LBB2_4015:                             ;   in Loop: Header=BB2_3724 Depth=2
	s_or_b64 exec, exec, s[62:63]
.LBB2_4016:                             ;   in Loop: Header=BB2_3724 Depth=2
	s_or_b64 exec, exec, s[60:61]
.LBB2_4017:                             ;   in Loop: Header=BB2_3724 Depth=2
	s_or_b64 exec, exec, s[58:59]
	v_max_f32_e32 v3, v3, v3
	v_max_f32_e32 v1, v1, v1
	;; [unrolled: 1-line block ×3, first 2 shown]
	s_branch .LBB2_4032
.LBB2_4018:                             ;   in Loop: Header=BB2_3724 Depth=2
                                        ; implicit-def: $vgpr3
	s_cbranch_execz .LBB2_4032
; %bb.4019:                             ;   in Loop: Header=BB2_3724 Depth=2
	v_mov_b32_e32 v3, 0
	v_mov_b32_e32 v1, 0
	s_and_saveexec_b64 s[58:59], s[20:21]
	s_cbranch_execz .LBB2_4025
; %bb.4020:                             ;   in Loop: Header=BB2_3724 Depth=2
	v_cmp_ne_u32_e32 vcc, s68, v24
	v_bfrev_b32_e32 v1, 1
	s_and_saveexec_b64 s[20:21], vcc
	s_cbranch_execz .LBB2_4024
; %bb.4021:                             ;   in Loop: Header=BB2_3724 Depth=2
	v_bfe_u32 v4, v15, 24, 7
	v_cmp_ne_u32_e32 vcc, s69, v4
	v_mov_b32_e32 v1, 0x7f800001
	s_and_saveexec_b64 s[60:61], vcc
	s_cbranch_execz .LBB2_4023
; %bb.4022:                             ;   in Loop: Header=BB2_3724 Depth=2
	v_and_b32_e32 v1, 7, v24
	v_ffbh_u32_e32 v14, v1
	v_min_u32_e32 v38, 32, v14
	v_subrev_u32_e32 v14, 28, v38
	v_lshlrev_b64 v[14:15], v14, v[24:25]
	v_lshrrev_b32_e32 v5, 3, v4
	v_sub_u32_e32 v15, 29, v38
	v_and_b32_e32 v14, 7, v14
	v_cmp_gt_u32_e32 vcc, 8, v4
	v_cndmask_b32_e32 v4, v5, v15, vcc
	v_cndmask_b32_e32 v1, v1, v14, vcc
	v_lshlrev_b32_e32 v5, 24, v24
	v_lshlrev_b32_e32 v1, 20, v1
	v_and_b32_e32 v5, 0x80000000, v5
	v_lshl_add_u32 v4, v4, 23, v49
	v_or3_b32 v1, v5, v4, v1
.LBB2_4023:                             ;   in Loop: Header=BB2_3724 Depth=2
	s_or_b64 exec, exec, s[60:61]
.LBB2_4024:                             ;   in Loop: Header=BB2_3724 Depth=2
	s_or_b64 exec, exec, s[20:21]
.LBB2_4025:                             ;   in Loop: Header=BB2_3724 Depth=2
	s_or_b64 exec, exec, s[58:59]
	v_cmp_lt_u64_e32 vcc, s[44:45], v[10:11]
	s_and_saveexec_b64 s[20:21], vcc
	s_cbranch_execz .LBB2_4031
; %bb.4026:                             ;   in Loop: Header=BB2_3724 Depth=2
	v_cmp_ne_u32_e32 vcc, s68, v2
	v_bfrev_b32_e32 v3, 1
	s_and_saveexec_b64 s[58:59], vcc
	s_cbranch_execz .LBB2_4030
; %bb.4027:                             ;   in Loop: Header=BB2_3724 Depth=2
	v_bfe_u32 v4, v11, 24, 7
	v_cmp_ne_u32_e32 vcc, s69, v4
	v_mov_b32_e32 v3, 0x7f800001
	s_and_saveexec_b64 s[60:61], vcc
	s_cbranch_execz .LBB2_4029
; %bb.4028:                             ;   in Loop: Header=BB2_3724 Depth=2
	v_and_b32_e32 v3, 7, v2
	v_ffbh_u32_e32 v10, v3
	v_min_u32_e32 v14, 32, v10
	v_subrev_u32_e32 v10, 28, v14
	v_lshlrev_b64 v[10:11], v10, v[2:3]
	v_lshrrev_b32_e32 v5, 3, v4
	v_sub_u32_e32 v11, 29, v14
	v_and_b32_e32 v10, 7, v10
	v_cmp_gt_u32_e32 vcc, 8, v4
	v_cndmask_b32_e32 v4, v5, v11, vcc
	v_cndmask_b32_e32 v3, v3, v10, vcc
	v_lshlrev_b32_e32 v2, 24, v2
	v_lshlrev_b32_e32 v3, 20, v3
	v_and_b32_e32 v2, 0x80000000, v2
	v_lshl_add_u32 v4, v4, 23, v49
	v_or3_b32 v3, v2, v4, v3
.LBB2_4029:                             ;   in Loop: Header=BB2_3724 Depth=2
	s_or_b64 exec, exec, s[60:61]
.LBB2_4030:                             ;   in Loop: Header=BB2_3724 Depth=2
	s_or_b64 exec, exec, s[58:59]
.LBB2_4031:                             ;   in Loop: Header=BB2_3724 Depth=2
	s_or_b64 exec, exec, s[20:21]
	v_max_f32_e32 v2, v3, v3
	v_max_f32_e32 v1, v1, v1
	v_min_f32_e32 v3, v1, v2
.LBB2_4032:                             ;   in Loop: Header=BB2_3724 Depth=2
	v_and_b32_sdwa v1, v3, s68 dst_sel:DWORD dst_unused:UNUSED_PAD src0_sel:BYTE_3 src1_sel:DWORD
	v_and_b32_e32 v4, 0x7f800000, v3
	v_mov_b32_e32 v5, v53
	v_and_b32_e32 v52, 0x7fffff, v3
	v_or_b32_e32 v15, 0x7e, v1
	v_cmp_ne_u64_e32 vcc, s[40:41], v[4:5]
	s_and_saveexec_b64 s[20:21], vcc
	s_xor_b64 s[58:59], exec, s[20:21]
	s_cbranch_execnz .LBB2_4048
; %bb.4033:                             ;   in Loop: Header=BB2_3724 Depth=2
	s_andn2_saveexec_b64 s[20:21], s[58:59]
	s_cbranch_execnz .LBB2_4057
.LBB2_4034:                             ;   in Loop: Header=BB2_3724 Depth=2
	s_or_b64 exec, exec, s[20:21]
	v_cmp_ne_u16_sdwa s[20:21], v16, v53 src0_sel:BYTE_0 src1_sel:DWORD
	s_and_b64 vcc, exec, s[56:57]
	s_cbranch_vccz .LBB2_4058
.LBB2_4035:                             ;   in Loop: Header=BB2_3724 Depth=2
	v_mov_b32_e32 v2, 0
	v_mov_b32_e32 v1, 0
	s_and_saveexec_b64 s[58:59], s[20:21]
	s_cbranch_execz .LBB2_4041
; %bb.4036:                             ;   in Loop: Header=BB2_3724 Depth=2
	v_cmp_ne_u16_sdwa vcc, v16, s68 src0_sel:BYTE_0 src1_sel:DWORD
	v_bfrev_b32_e32 v1, 1
	s_and_saveexec_b64 s[60:61], vcc
	s_cbranch_execz .LBB2_4040
; %bb.4037:                             ;   in Loop: Header=BB2_3724 Depth=2
	v_and_b32_e32 v3, 0x7f, v16
	v_cmp_ne_u32_e32 vcc, s69, v3
	v_mov_b32_e32 v1, 0x7f800001
	s_and_saveexec_b64 s[62:63], vcc
	s_cbranch_execz .LBB2_4039
; %bb.4038:                             ;   in Loop: Header=BB2_3724 Depth=2
	v_and_b32_e32 v1, 7, v16
	v_ffbh_u32_e32 v1, v1
	v_min_u32_e32 v1, 32, v1
	v_subrev_u32_e32 v5, 28, v1
	v_cmp_gt_u32_e32 vcc, 8, v3
	v_lshrrev_b32_e32 v4, 3, v3
	v_sub_u32_e32 v1, 29, v1
	v_cndmask_b32_e32 v3, 0, v5, vcc
	v_cndmask_b32_e32 v1, v4, v1, vcc
	v_lshlrev_b64 v[4:5], v3, v[16:17]
	v_lshlrev_b32_e32 v3, 20, v4
	v_lshlrev_b32_e32 v4, 24, v16
	v_and_b32_e32 v3, 0x700000, v3
	v_and_b32_e32 v4, 0x80000000, v4
	v_lshl_add_u32 v1, v1, 23, v49
	v_or3_b32 v1, v4, v1, v3
.LBB2_4039:                             ;   in Loop: Header=BB2_3724 Depth=2
	s_or_b64 exec, exec, s[62:63]
.LBB2_4040:                             ;   in Loop: Header=BB2_3724 Depth=2
	s_or_b64 exec, exec, s[60:61]
.LBB2_4041:                             ;   in Loop: Header=BB2_3724 Depth=2
	s_or_b64 exec, exec, s[58:59]
	v_cmp_ne_u16_sdwa vcc, v12, v53 src0_sel:BYTE_0 src1_sel:DWORD
	s_and_saveexec_b64 s[58:59], vcc
	s_cbranch_execz .LBB2_4047
; %bb.4042:                             ;   in Loop: Header=BB2_3724 Depth=2
	v_cmp_ne_u16_sdwa vcc, v12, s68 src0_sel:BYTE_0 src1_sel:DWORD
	v_bfrev_b32_e32 v2, 1
	s_and_saveexec_b64 s[60:61], vcc
	s_cbranch_execz .LBB2_4046
; %bb.4043:                             ;   in Loop: Header=BB2_3724 Depth=2
	v_and_b32_e32 v3, 0x7f, v12
	v_cmp_ne_u32_e32 vcc, s69, v3
	v_mov_b32_e32 v2, 0x7f800001
	s_and_saveexec_b64 s[62:63], vcc
	s_cbranch_execz .LBB2_4045
; %bb.4044:                             ;   in Loop: Header=BB2_3724 Depth=2
	v_and_b32_e32 v2, 7, v12
	v_ffbh_u32_e32 v2, v2
	v_min_u32_e32 v2, 32, v2
	v_lshrrev_b32_e32 v4, 3, v3
	v_subrev_u32_e32 v5, 28, v2
	v_sub_u32_e32 v2, 29, v2
	v_cmp_gt_u32_e32 vcc, 8, v3
	v_cndmask_b32_e32 v4, v4, v2, vcc
	v_cndmask_b32_e32 v2, 0, v5, vcc
	v_lshlrev_b64 v[2:3], v2, v[12:13]
	v_lshlrev_b32_e32 v2, 20, v2
	v_lshlrev_b32_e32 v3, 24, v12
	v_and_b32_e32 v2, 0x700000, v2
	v_and_b32_e32 v3, 0x80000000, v3
	v_lshl_add_u32 v4, v4, 23, v49
	v_or3_b32 v2, v3, v4, v2
.LBB2_4045:                             ;   in Loop: Header=BB2_3724 Depth=2
	s_or_b64 exec, exec, s[62:63]
.LBB2_4046:                             ;   in Loop: Header=BB2_3724 Depth=2
	s_or_b64 exec, exec, s[60:61]
.LBB2_4047:                             ;   in Loop: Header=BB2_3724 Depth=2
	s_or_b64 exec, exec, s[58:59]
	v_max_f32_e32 v2, v2, v2
	v_max_f32_e32 v1, v1, v1
	;; [unrolled: 1-line block ×3, first 2 shown]
	s_branch .LBB2_4072
.LBB2_4048:                             ;   in Loop: Header=BB2_3724 Depth=2
	v_and_b32_e32 v4, 0x7fffffff, v3
	v_mov_b32_e32 v5, v53
	v_cmp_gt_u64_e32 vcc, s[42:43], v[4:5]
	s_and_saveexec_b64 s[60:61], vcc
	s_cbranch_execz .LBB2_4056
; %bb.4049:                             ;   in Loop: Header=BB2_3724 Depth=2
	v_cmp_ne_u32_e32 vcc, 0, v3
	v_mov_b32_e32 v15, 0
	s_and_saveexec_b64 s[62:63], vcc
	s_cbranch_execz .LBB2_4055
; %bb.4050:                             ;   in Loop: Header=BB2_3724 Depth=2
	v_bfe_u32 v2, v3, 23, 8
	v_sub_u32_e32 v4, 0x79, v2
	v_cmp_gt_u32_e32 vcc, s72, v2
	v_add_u32_e32 v3, 0xffffff81, v2
	v_cndmask_b32_e32 v4, 0, v4, vcc
	v_cmp_eq_u32_e32 vcc, 0, v2
	v_mov_b32_e32 v2, 0xffffff82
	v_cndmask_b32_e32 v10, v3, v2, vcc
	v_mov_b32_e32 v2, 0x78
	v_or_b32_e32 v5, 0x800000, v52
	v_cndmask_b32_e32 v4, v4, v2, vcc
	v_cndmask_b32_e32 v52, v5, v52, vcc
	v_add_u32_e32 v2, 20, v4
	v_lshlrev_b64 v[2:3], v2, -1
	v_add_u32_e32 v5, 19, v4
	v_lshrrev_b64 v[38:39], v4, v[52:53]
	v_not_b32_e32 v3, v3
	v_not_b32_e32 v2, v2
	v_lshlrev_b64 v[14:15], v5, 1
	v_lshrrev_b32_e32 v5, 23, v38
	v_and_b32_e32 v3, 0, v3
	v_and_b32_e32 v2, v52, v2
	v_add3_u32 v10, v4, v10, v5
	v_bfe_u32 v4, v38, 20, 1
	v_add_u32_e32 v4, -1, v4
	v_cmp_eq_u64_e32 vcc, v[2:3], v[14:15]
	v_cndmask_b32_e32 v2, 0, v4, vcc
	v_add_u32_e32 v2, v2, v38
	v_and_b32_e32 v2, 0xfffff, v2
	v_add_co_u32_e32 v2, vcc, v2, v38
	v_add_u32_e32 v5, 6, v10
	v_addc_co_u32_e32 v3, vcc, 0, v39, vcc
	v_cmp_ne_u32_e32 vcc, 0, v5
                                        ; implicit-def: $vgpr4
	s_and_saveexec_b64 s[20:21], vcc
	s_xor_b64 s[20:21], exec, s[20:21]
; %bb.4051:                             ;   in Loop: Header=BB2_3724 Depth=2
	v_add_u32_e32 v4, 7, v10
	v_cmp_lt_u64_e32 vcc, s[46:47], v[2:3]
	v_cndmask_b32_e32 v4, v5, v4, vcc
	v_cndmask_b32_e64 v5, 0, 1, vcc
	v_lshrrev_b64 v[2:3], v5, v[2:3]
; %bb.4052:                             ;   in Loop: Header=BB2_3724 Depth=2
	s_andn2_saveexec_b64 s[20:21], s[20:21]
; %bb.4053:                             ;   in Loop: Header=BB2_3724 Depth=2
	v_bfe_u32 v4, v2, 23, 1
; %bb.4054:                             ;   in Loop: Header=BB2_3724 Depth=2
	s_or_b64 exec, exec, s[20:21]
	v_lshrrev_b64 v[2:3], 20, v[2:3]
	v_cmp_gt_i32_e32 vcc, 16, v4
	v_cndmask_b32_e32 v3, 0, v3, vcc
	v_cndmask_b32_e32 v2, 7, v2, vcc
	v_cmp_eq_u64_e64 s[20:21], 0, v[2:3]
	v_min_i32_e32 v3, 15, v4
	v_lshlrev_b32_e32 v3, 3, v3
	v_cmp_eq_u32_e32 vcc, 0, v4
	v_and_b32_e32 v3, 0xf8, v3
	v_and_or_b32 v2, v2, 7, v3
	s_and_b64 s[20:21], vcc, s[20:21]
	v_cndmask_b32_e64 v2, v2, 0, s[20:21]
	v_or_b32_e32 v15, v2, v1
.LBB2_4055:                             ;   in Loop: Header=BB2_3724 Depth=2
	s_or_b64 exec, exec, s[62:63]
.LBB2_4056:                             ;   in Loop: Header=BB2_3724 Depth=2
	s_or_b64 exec, exec, s[60:61]
                                        ; implicit-def: $vgpr3
	s_andn2_saveexec_b64 s[20:21], s[58:59]
	s_cbranch_execz .LBB2_4034
.LBB2_4057:                             ;   in Loop: Header=BB2_3724 Depth=2
	v_or_b32_sdwa v1, v3, s69 dst_sel:DWORD dst_unused:UNUSED_PAD src0_sel:BYTE_3 src1_sel:DWORD
	v_cmp_eq_u64_e32 vcc, 0, v[52:53]
	v_cndmask_b32_e32 v15, v1, v15, vcc
	s_or_b64 exec, exec, s[20:21]
	v_cmp_ne_u16_sdwa s[20:21], v16, v53 src0_sel:BYTE_0 src1_sel:DWORD
	s_and_b64 vcc, exec, s[56:57]
	s_cbranch_vccnz .LBB2_4035
.LBB2_4058:                             ;   in Loop: Header=BB2_3724 Depth=2
                                        ; implicit-def: $vgpr2
	s_cbranch_execz .LBB2_4072
; %bb.4059:                             ;   in Loop: Header=BB2_3724 Depth=2
	v_mov_b32_e32 v2, 0
	v_mov_b32_e32 v1, 0
	s_and_saveexec_b64 s[58:59], s[20:21]
	s_cbranch_execz .LBB2_4065
; %bb.4060:                             ;   in Loop: Header=BB2_3724 Depth=2
	v_cmp_ne_u16_sdwa vcc, v16, s68 src0_sel:BYTE_0 src1_sel:DWORD
	v_bfrev_b32_e32 v1, 1
	s_and_saveexec_b64 s[20:21], vcc
	s_cbranch_execz .LBB2_4064
; %bb.4061:                             ;   in Loop: Header=BB2_3724 Depth=2
	v_and_b32_e32 v3, 0x7f, v16
	v_cmp_ne_u32_e32 vcc, s69, v3
	v_mov_b32_e32 v1, 0x7f800001
	s_and_saveexec_b64 s[60:61], vcc
	s_cbranch_execz .LBB2_4063
; %bb.4062:                             ;   in Loop: Header=BB2_3724 Depth=2
	v_and_b32_e32 v1, 7, v16
	v_ffbh_u32_e32 v1, v1
	v_min_u32_e32 v1, 32, v1
	v_subrev_u32_e32 v5, 28, v1
	v_cmp_gt_u32_e32 vcc, 8, v3
	v_lshrrev_b32_e32 v4, 3, v3
	v_sub_u32_e32 v1, 29, v1
	v_cndmask_b32_e32 v3, 0, v5, vcc
	v_cndmask_b32_e32 v1, v4, v1, vcc
	v_lshlrev_b64 v[4:5], v3, v[16:17]
	v_lshlrev_b32_e32 v3, 20, v4
	v_lshlrev_b32_e32 v4, 24, v16
	v_and_b32_e32 v3, 0x700000, v3
	v_and_b32_e32 v4, 0x80000000, v4
	v_lshl_add_u32 v1, v1, 23, v49
	v_or3_b32 v1, v4, v1, v3
.LBB2_4063:                             ;   in Loop: Header=BB2_3724 Depth=2
	s_or_b64 exec, exec, s[60:61]
.LBB2_4064:                             ;   in Loop: Header=BB2_3724 Depth=2
	s_or_b64 exec, exec, s[20:21]
.LBB2_4065:                             ;   in Loop: Header=BB2_3724 Depth=2
	s_or_b64 exec, exec, s[58:59]
	v_cmp_ne_u16_sdwa vcc, v12, v53 src0_sel:BYTE_0 src1_sel:DWORD
	s_and_saveexec_b64 s[20:21], vcc
	s_cbranch_execz .LBB2_4071
; %bb.4066:                             ;   in Loop: Header=BB2_3724 Depth=2
	v_cmp_ne_u16_sdwa vcc, v12, s68 src0_sel:BYTE_0 src1_sel:DWORD
	v_bfrev_b32_e32 v2, 1
	s_and_saveexec_b64 s[58:59], vcc
	s_cbranch_execz .LBB2_4070
; %bb.4067:                             ;   in Loop: Header=BB2_3724 Depth=2
	v_and_b32_e32 v3, 0x7f, v12
	v_cmp_ne_u32_e32 vcc, s69, v3
	v_mov_b32_e32 v2, 0x7f800001
	s_and_saveexec_b64 s[60:61], vcc
	s_cbranch_execz .LBB2_4069
; %bb.4068:                             ;   in Loop: Header=BB2_3724 Depth=2
	v_and_b32_e32 v2, 7, v12
	v_ffbh_u32_e32 v2, v2
	v_min_u32_e32 v2, 32, v2
	v_lshrrev_b32_e32 v4, 3, v3
	v_subrev_u32_e32 v5, 28, v2
	v_sub_u32_e32 v2, 29, v2
	v_cmp_gt_u32_e32 vcc, 8, v3
	v_cndmask_b32_e32 v4, v4, v2, vcc
	v_cndmask_b32_e32 v2, 0, v5, vcc
	v_lshlrev_b64 v[2:3], v2, v[12:13]
	v_lshlrev_b32_e32 v2, 20, v2
	v_lshlrev_b32_e32 v3, 24, v12
	v_and_b32_e32 v2, 0x700000, v2
	v_and_b32_e32 v3, 0x80000000, v3
	v_lshl_add_u32 v4, v4, 23, v49
	v_or3_b32 v2, v3, v4, v2
.LBB2_4069:                             ;   in Loop: Header=BB2_3724 Depth=2
	s_or_b64 exec, exec, s[60:61]
.LBB2_4070:                             ;   in Loop: Header=BB2_3724 Depth=2
	s_or_b64 exec, exec, s[58:59]
.LBB2_4071:                             ;   in Loop: Header=BB2_3724 Depth=2
	s_or_b64 exec, exec, s[20:21]
	v_max_f32_e32 v2, v2, v2
	v_max_f32_e32 v1, v1, v1
	v_min_f32_e32 v2, v1, v2
.LBB2_4072:                             ;   in Loop: Header=BB2_3724 Depth=2
	v_and_b32_sdwa v1, v2, s68 dst_sel:DWORD dst_unused:UNUSED_PAD src0_sel:BYTE_3 src1_sel:DWORD
	v_and_b32_e32 v4, 0x7f800000, v2
	v_mov_b32_e32 v5, v53
	v_and_b32_e32 v52, 0x7fffff, v2
	v_or_b32_e32 v24, 0x7e, v1
	v_cmp_ne_u64_e32 vcc, s[40:41], v[4:5]
	s_and_saveexec_b64 s[20:21], vcc
	s_xor_b64 s[58:59], exec, s[20:21]
	s_cbranch_execz .LBB2_4082
; %bb.4073:                             ;   in Loop: Header=BB2_3724 Depth=2
	v_and_b32_e32 v4, 0x7fffffff, v2
	v_mov_b32_e32 v5, v53
	v_cmp_gt_u64_e32 vcc, s[42:43], v[4:5]
	s_and_saveexec_b64 s[60:61], vcc
	s_cbranch_execz .LBB2_4081
; %bb.4074:                             ;   in Loop: Header=BB2_3724 Depth=2
	v_cmp_ne_u32_e32 vcc, 0, v2
	v_mov_b32_e32 v24, 0
	s_and_saveexec_b64 s[62:63], vcc
	s_cbranch_execz .LBB2_4080
; %bb.4075:                             ;   in Loop: Header=BB2_3724 Depth=2
	v_bfe_u32 v2, v2, 23, 8
	v_sub_u32_e32 v4, 0x79, v2
	v_cmp_gt_u32_e32 vcc, s72, v2
	v_add_u32_e32 v3, 0xffffff81, v2
	v_cndmask_b32_e32 v4, 0, v4, vcc
	v_cmp_eq_u32_e32 vcc, 0, v2
	v_mov_b32_e32 v2, 0xffffff82
	v_cndmask_b32_e32 v10, v3, v2, vcc
	v_mov_b32_e32 v2, 0x78
	v_or_b32_e32 v5, 0x800000, v52
	v_cndmask_b32_e32 v4, v4, v2, vcc
	v_cndmask_b32_e32 v52, v5, v52, vcc
	v_add_u32_e32 v2, 20, v4
	v_lshlrev_b64 v[2:3], v2, -1
	v_add_u32_e32 v5, 19, v4
	v_lshrrev_b64 v[48:49], v4, v[52:53]
	v_not_b32_e32 v3, v3
	v_not_b32_e32 v2, v2
	v_lshlrev_b64 v[38:39], v5, 1
	v_lshrrev_b32_e32 v5, 23, v48
	v_and_b32_e32 v3, 0, v3
	v_and_b32_e32 v2, v52, v2
	v_add3_u32 v10, v4, v10, v5
	v_bfe_u32 v4, v48, 20, 1
	v_add_u32_e32 v4, -1, v4
	v_cmp_eq_u64_e32 vcc, v[2:3], v[38:39]
	v_cndmask_b32_e32 v2, 0, v4, vcc
	v_add_u32_e32 v2, v2, v48
	v_and_b32_e32 v2, 0xfffff, v2
	v_add_co_u32_e32 v2, vcc, v2, v48
	v_add_u32_e32 v5, 6, v10
	v_addc_co_u32_e32 v3, vcc, 0, v49, vcc
	v_cmp_ne_u32_e32 vcc, 0, v5
                                        ; implicit-def: $vgpr4
	s_and_saveexec_b64 s[20:21], vcc
	s_xor_b64 s[20:21], exec, s[20:21]
; %bb.4076:                             ;   in Loop: Header=BB2_3724 Depth=2
	v_add_u32_e32 v4, 7, v10
	v_cmp_lt_u64_e32 vcc, s[46:47], v[2:3]
	v_cndmask_b32_e32 v4, v5, v4, vcc
	v_cndmask_b32_e64 v5, 0, 1, vcc
	v_lshrrev_b64 v[2:3], v5, v[2:3]
; %bb.4077:                             ;   in Loop: Header=BB2_3724 Depth=2
	s_andn2_saveexec_b64 s[20:21], s[20:21]
; %bb.4078:                             ;   in Loop: Header=BB2_3724 Depth=2
	v_bfe_u32 v4, v2, 23, 1
; %bb.4079:                             ;   in Loop: Header=BB2_3724 Depth=2
	s_or_b64 exec, exec, s[20:21]
	v_lshrrev_b64 v[2:3], 20, v[2:3]
	v_cmp_gt_i32_e32 vcc, 16, v4
	v_cndmask_b32_e32 v3, 0, v3, vcc
	v_cndmask_b32_e32 v2, 7, v2, vcc
	v_cmp_eq_u64_e64 s[20:21], 0, v[2:3]
	v_min_i32_e32 v3, 15, v4
	v_cmp_eq_u32_e32 vcc, 0, v4
	v_lshlrev_b32_e32 v3, 3, v3
	v_and_or_b32 v2, v2, 7, v3
	s_and_b64 s[20:21], vcc, s[20:21]
	v_cndmask_b32_e64 v2, v2, 0, s[20:21]
	v_or_b32_e32 v24, v2, v1
	v_bfrev_b32_e32 v49, 60
.LBB2_4080:                             ;   in Loop: Header=BB2_3724 Depth=2
	s_or_b64 exec, exec, s[62:63]
.LBB2_4081:                             ;   in Loop: Header=BB2_3724 Depth=2
	s_or_b64 exec, exec, s[60:61]
                                        ; implicit-def: $vgpr2
.LBB2_4082:                             ;   in Loop: Header=BB2_3724 Depth=2
	s_andn2_saveexec_b64 s[20:21], s[58:59]
; %bb.4083:                             ;   in Loop: Header=BB2_3724 Depth=2
	v_or_b32_sdwa v1, v2, s69 dst_sel:DWORD dst_unused:UNUSED_PAD src0_sel:BYTE_3 src1_sel:DWORD
	v_cmp_eq_u64_e32 vcc, 0, v[52:53]
	v_cndmask_b32_e32 v24, v1, v24, vcc
; %bb.4084:                             ;   in Loop: Header=BB2_3724 Depth=2
	s_or_b64 exec, exec, s[20:21]
	v_lshrrev_b16_e32 v10, 8, v16
	v_lshrrev_b16_e32 v2, 8, v12
	v_cmp_ne_u16_e64 s[20:21], 0, v10
	s_and_b64 vcc, exec, s[56:57]
	s_cbranch_vccz .LBB2_4098
; %bb.4085:                             ;   in Loop: Header=BB2_3724 Depth=2
	v_mov_b32_e32 v3, 0
	v_mov_b32_e32 v1, 0
	s_and_saveexec_b64 s[58:59], s[20:21]
	s_cbranch_execz .LBB2_4091
; %bb.4086:                             ;   in Loop: Header=BB2_3724 Depth=2
	v_cmp_ne_u16_e32 vcc, s68, v10
	v_bfrev_b32_e32 v1, 1
	s_and_saveexec_b64 s[60:61], vcc
	s_cbranch_execz .LBB2_4090
; %bb.4087:                             ;   in Loop: Header=BB2_3724 Depth=2
	v_and_b32_e32 v4, 0x7f, v10
	v_cmp_ne_u32_e32 vcc, s69, v4
	v_mov_b32_e32 v1, 0x7f800001
	s_and_saveexec_b64 s[62:63], vcc
	s_cbranch_execz .LBB2_4089
; %bb.4088:                             ;   in Loop: Header=BB2_3724 Depth=2
	v_and_b32_e32 v1, 7, v10
	v_ffbh_u32_e32 v11, v1
	v_min_u32_e32 v11, 32, v11
	v_subrev_u32_e32 v14, 28, v11
	v_lshlrev_b64 v[38:39], v14, v[10:11]
	v_lshrrev_b32_e32 v5, 3, v4
	v_sub_u32_e32 v11, 29, v11
	v_and_b32_e32 v14, 7, v38
	v_cmp_gt_u32_e32 vcc, 8, v4
	v_cndmask_b32_e32 v4, v5, v11, vcc
	v_cndmask_b32_e32 v1, v1, v14, vcc
	v_lshlrev_b32_e32 v5, 16, v16
	v_lshlrev_b32_e32 v1, 20, v1
	v_and_b32_e32 v5, 0x80000000, v5
	v_lshl_add_u32 v4, v4, 23, v49
	v_or3_b32 v1, v5, v4, v1
.LBB2_4089:                             ;   in Loop: Header=BB2_3724 Depth=2
	s_or_b64 exec, exec, s[62:63]
.LBB2_4090:                             ;   in Loop: Header=BB2_3724 Depth=2
	s_or_b64 exec, exec, s[60:61]
.LBB2_4091:                             ;   in Loop: Header=BB2_3724 Depth=2
	s_or_b64 exec, exec, s[58:59]
	v_cmp_ne_u16_e32 vcc, 0, v2
	s_and_saveexec_b64 s[58:59], vcc
	s_cbranch_execz .LBB2_4097
; %bb.4092:                             ;   in Loop: Header=BB2_3724 Depth=2
	v_cmp_ne_u16_e32 vcc, s68, v2
	v_bfrev_b32_e32 v3, 1
	s_and_saveexec_b64 s[60:61], vcc
	s_cbranch_execz .LBB2_4096
; %bb.4093:                             ;   in Loop: Header=BB2_3724 Depth=2
	v_and_b32_e32 v4, 0x7f, v2
	v_cmp_ne_u32_e32 vcc, s69, v4
	v_mov_b32_e32 v3, 0x7f800001
	s_and_saveexec_b64 s[62:63], vcc
	s_cbranch_execz .LBB2_4095
; %bb.4094:                             ;   in Loop: Header=BB2_3724 Depth=2
	v_and_b32_e32 v3, 7, v2
	v_ffbh_u32_e32 v11, v3
	v_min_u32_e32 v11, 32, v11
	v_subrev_u32_e32 v14, 28, v11
	v_lshlrev_b64 v[38:39], v14, v[2:3]
	v_lshrrev_b32_e32 v5, 3, v4
	v_sub_u32_e32 v11, 29, v11
	v_and_b32_e32 v14, 7, v38
	v_cmp_gt_u32_e32 vcc, 8, v4
	v_cndmask_b32_e32 v4, v5, v11, vcc
	v_cndmask_b32_e32 v3, v3, v14, vcc
	v_lshlrev_b32_e32 v5, 16, v12
	v_lshlrev_b32_e32 v3, 20, v3
	v_and_b32_e32 v5, 0x80000000, v5
	v_lshl_add_u32 v4, v4, 23, v49
	v_or3_b32 v3, v5, v4, v3
.LBB2_4095:                             ;   in Loop: Header=BB2_3724 Depth=2
	s_or_b64 exec, exec, s[62:63]
.LBB2_4096:                             ;   in Loop: Header=BB2_3724 Depth=2
	s_or_b64 exec, exec, s[60:61]
.LBB2_4097:                             ;   in Loop: Header=BB2_3724 Depth=2
	s_or_b64 exec, exec, s[58:59]
	v_max_f32_e32 v3, v3, v3
	v_max_f32_e32 v1, v1, v1
	;; [unrolled: 1-line block ×3, first 2 shown]
	s_branch .LBB2_4112
.LBB2_4098:                             ;   in Loop: Header=BB2_3724 Depth=2
                                        ; implicit-def: $vgpr3
	s_cbranch_execz .LBB2_4112
; %bb.4099:                             ;   in Loop: Header=BB2_3724 Depth=2
	v_mov_b32_e32 v3, 0
	v_mov_b32_e32 v1, 0
	s_and_saveexec_b64 s[58:59], s[20:21]
	s_cbranch_execz .LBB2_4105
; %bb.4100:                             ;   in Loop: Header=BB2_3724 Depth=2
	v_cmp_ne_u16_e32 vcc, s68, v10
	v_bfrev_b32_e32 v1, 1
	s_and_saveexec_b64 s[20:21], vcc
	s_cbranch_execz .LBB2_4104
; %bb.4101:                             ;   in Loop: Header=BB2_3724 Depth=2
	v_and_b32_e32 v4, 0x7f, v10
	v_cmp_ne_u32_e32 vcc, s69, v4
	v_mov_b32_e32 v1, 0x7f800001
	s_and_saveexec_b64 s[60:61], vcc
	s_cbranch_execz .LBB2_4103
; %bb.4102:                             ;   in Loop: Header=BB2_3724 Depth=2
	v_and_b32_e32 v1, 7, v10
	v_ffbh_u32_e32 v11, v1
	v_min_u32_e32 v14, 32, v11
	v_subrev_u32_e32 v11, 28, v14
	v_lshlrev_b64 v[10:11], v11, v[10:11]
	v_lshrrev_b32_e32 v5, 3, v4
	v_sub_u32_e32 v11, 29, v14
	v_and_b32_e32 v10, 7, v10
	v_cmp_gt_u32_e32 vcc, 8, v4
	v_cndmask_b32_e32 v4, v5, v11, vcc
	v_cndmask_b32_e32 v1, v1, v10, vcc
	v_lshlrev_b32_e32 v5, 16, v16
	v_lshlrev_b32_e32 v1, 20, v1
	v_and_b32_e32 v5, 0x80000000, v5
	v_lshl_add_u32 v4, v4, 23, v49
	v_or3_b32 v1, v5, v4, v1
.LBB2_4103:                             ;   in Loop: Header=BB2_3724 Depth=2
	s_or_b64 exec, exec, s[60:61]
.LBB2_4104:                             ;   in Loop: Header=BB2_3724 Depth=2
	s_or_b64 exec, exec, s[20:21]
.LBB2_4105:                             ;   in Loop: Header=BB2_3724 Depth=2
	s_or_b64 exec, exec, s[58:59]
	v_cmp_ne_u16_e32 vcc, 0, v2
	s_and_saveexec_b64 s[20:21], vcc
	s_cbranch_execz .LBB2_4111
; %bb.4106:                             ;   in Loop: Header=BB2_3724 Depth=2
	v_cmp_ne_u16_e32 vcc, s68, v2
	v_bfrev_b32_e32 v3, 1
	s_and_saveexec_b64 s[58:59], vcc
	s_cbranch_execz .LBB2_4110
; %bb.4107:                             ;   in Loop: Header=BB2_3724 Depth=2
	v_and_b32_e32 v4, 0x7f, v2
	v_cmp_ne_u32_e32 vcc, s69, v4
	v_mov_b32_e32 v3, 0x7f800001
	s_and_saveexec_b64 s[60:61], vcc
	s_cbranch_execz .LBB2_4109
; %bb.4108:                             ;   in Loop: Header=BB2_3724 Depth=2
	v_and_b32_e32 v5, 7, v2
	v_ffbh_u32_e32 v3, v5
	v_min_u32_e32 v11, 32, v3
	v_subrev_u32_e32 v3, 28, v11
	v_lshlrev_b64 v[2:3], v3, v[2:3]
	v_lshrrev_b32_e32 v10, 3, v4
	v_sub_u32_e32 v3, 29, v11
	v_and_b32_e32 v2, 7, v2
	v_cmp_gt_u32_e32 vcc, 8, v4
	v_cndmask_b32_e32 v3, v10, v3, vcc
	v_cndmask_b32_e32 v2, v5, v2, vcc
	v_lshlrev_b32_e32 v4, 16, v12
	v_lshlrev_b32_e32 v2, 20, v2
	v_and_b32_e32 v4, 0x80000000, v4
	v_lshl_add_u32 v3, v3, 23, v49
	v_or3_b32 v3, v4, v3, v2
.LBB2_4109:                             ;   in Loop: Header=BB2_3724 Depth=2
	s_or_b64 exec, exec, s[60:61]
.LBB2_4110:                             ;   in Loop: Header=BB2_3724 Depth=2
	s_or_b64 exec, exec, s[58:59]
.LBB2_4111:                             ;   in Loop: Header=BB2_3724 Depth=2
	s_or_b64 exec, exec, s[20:21]
	v_max_f32_e32 v2, v3, v3
	v_max_f32_e32 v1, v1, v1
	v_min_f32_e32 v3, v1, v2
.LBB2_4112:                             ;   in Loop: Header=BB2_3724 Depth=2
	v_and_b32_sdwa v1, v3, s68 dst_sel:DWORD dst_unused:UNUSED_PAD src0_sel:BYTE_3 src1_sel:DWORD
	v_and_b32_e32 v4, 0x7f800000, v3
	v_mov_b32_e32 v5, v53
	v_and_b32_e32 v52, 0x7fffff, v3
	v_or_b32_e32 v54, 0x7e, v1
	v_cmp_ne_u64_e32 vcc, s[40:41], v[4:5]
	s_and_saveexec_b64 s[20:21], vcc
	s_xor_b64 s[58:59], exec, s[20:21]
	s_cbranch_execz .LBB2_4122
; %bb.4113:                             ;   in Loop: Header=BB2_3724 Depth=2
	v_and_b32_e32 v4, 0x7fffffff, v3
	v_mov_b32_e32 v5, v53
	v_cmp_gt_u64_e32 vcc, s[42:43], v[4:5]
	s_and_saveexec_b64 s[60:61], vcc
	s_cbranch_execz .LBB2_4121
; %bb.4114:                             ;   in Loop: Header=BB2_3724 Depth=2
	v_cmp_ne_u32_e32 vcc, 0, v3
	v_mov_b32_e32 v54, 0
	s_and_saveexec_b64 s[62:63], vcc
	s_cbranch_execz .LBB2_4120
; %bb.4115:                             ;   in Loop: Header=BB2_3724 Depth=2
	v_bfe_u32 v2, v3, 23, 8
	v_sub_u32_e32 v4, 0x79, v2
	v_cmp_gt_u32_e32 vcc, s72, v2
	v_add_u32_e32 v3, 0xffffff81, v2
	v_cndmask_b32_e32 v4, 0, v4, vcc
	v_cmp_eq_u32_e32 vcc, 0, v2
	v_mov_b32_e32 v2, 0xffffff82
	v_cndmask_b32_e32 v10, v3, v2, vcc
	v_mov_b32_e32 v2, 0x78
	v_or_b32_e32 v5, 0x800000, v52
	v_cndmask_b32_e32 v4, v4, v2, vcc
	v_cndmask_b32_e32 v52, v5, v52, vcc
	v_add_u32_e32 v2, 20, v4
	v_lshlrev_b64 v[2:3], v2, -1
	v_add_u32_e32 v5, 19, v4
	v_lshrrev_b64 v[48:49], v4, v[52:53]
	v_not_b32_e32 v3, v3
	v_not_b32_e32 v2, v2
	v_lshlrev_b64 v[38:39], v5, 1
	v_lshrrev_b32_e32 v5, 23, v48
	v_and_b32_e32 v3, 0, v3
	v_and_b32_e32 v2, v52, v2
	v_add3_u32 v10, v4, v10, v5
	v_bfe_u32 v4, v48, 20, 1
	v_add_u32_e32 v4, -1, v4
	v_cmp_eq_u64_e32 vcc, v[2:3], v[38:39]
	v_cndmask_b32_e32 v2, 0, v4, vcc
	v_add_u32_e32 v2, v2, v48
	v_and_b32_e32 v2, 0xfffff, v2
	v_add_co_u32_e32 v2, vcc, v2, v48
	v_add_u32_e32 v5, 6, v10
	v_addc_co_u32_e32 v3, vcc, 0, v49, vcc
	v_cmp_ne_u32_e32 vcc, 0, v5
                                        ; implicit-def: $vgpr4
	s_and_saveexec_b64 s[20:21], vcc
	s_xor_b64 s[20:21], exec, s[20:21]
; %bb.4116:                             ;   in Loop: Header=BB2_3724 Depth=2
	v_add_u32_e32 v4, 7, v10
	v_cmp_lt_u64_e32 vcc, s[46:47], v[2:3]
	v_cndmask_b32_e32 v4, v5, v4, vcc
	v_cndmask_b32_e64 v5, 0, 1, vcc
	v_lshrrev_b64 v[2:3], v5, v[2:3]
; %bb.4117:                             ;   in Loop: Header=BB2_3724 Depth=2
	s_andn2_saveexec_b64 s[20:21], s[20:21]
; %bb.4118:                             ;   in Loop: Header=BB2_3724 Depth=2
	v_bfe_u32 v4, v2, 23, 1
; %bb.4119:                             ;   in Loop: Header=BB2_3724 Depth=2
	s_or_b64 exec, exec, s[20:21]
	v_lshrrev_b64 v[2:3], 20, v[2:3]
	v_cmp_gt_i32_e32 vcc, 16, v4
	v_cndmask_b32_e32 v3, 0, v3, vcc
	v_cndmask_b32_e32 v2, 7, v2, vcc
	v_cmp_eq_u64_e64 s[20:21], 0, v[2:3]
	v_min_i32_e32 v3, 15, v4
	v_cmp_eq_u32_e32 vcc, 0, v4
	v_lshlrev_b32_e32 v3, 3, v3
	v_and_or_b32 v2, v2, 7, v3
	s_and_b64 s[20:21], vcc, s[20:21]
	v_cndmask_b32_e64 v2, v2, 0, s[20:21]
	v_or_b32_e32 v54, v2, v1
	v_bfrev_b32_e32 v49, 60
.LBB2_4120:                             ;   in Loop: Header=BB2_3724 Depth=2
	s_or_b64 exec, exec, s[62:63]
.LBB2_4121:                             ;   in Loop: Header=BB2_3724 Depth=2
	s_or_b64 exec, exec, s[60:61]
                                        ; implicit-def: $vgpr3
.LBB2_4122:                             ;   in Loop: Header=BB2_3724 Depth=2
	s_andn2_saveexec_b64 s[20:21], s[58:59]
; %bb.4123:                             ;   in Loop: Header=BB2_3724 Depth=2
	v_or_b32_sdwa v1, v3, s69 dst_sel:DWORD dst_unused:UNUSED_PAD src0_sel:BYTE_3 src1_sel:DWORD
	v_cmp_eq_u64_e32 vcc, 0, v[52:53]
	v_cndmask_b32_e32 v54, v1, v54, vcc
; %bb.4124:                             ;   in Loop: Header=BB2_3724 Depth=2
	s_or_b64 exec, exec, s[20:21]
	v_lshrrev_b32_e32 v10, 16, v16
	v_lshrrev_b32_e32 v2, 16, v12
	v_cmp_ne_u16_sdwa s[20:21], v10, v53 src0_sel:BYTE_0 src1_sel:DWORD
	s_and_b64 vcc, exec, s[56:57]
	s_cbranch_vccz .LBB2_4138
; %bb.4125:                             ;   in Loop: Header=BB2_3724 Depth=2
	v_mov_b32_e32 v3, 0
	v_mov_b32_e32 v1, 0
	s_and_saveexec_b64 s[58:59], s[20:21]
	s_cbranch_execz .LBB2_4131
; %bb.4126:                             ;   in Loop: Header=BB2_3724 Depth=2
	v_cmp_ne_u16_sdwa vcc, v10, s68 src0_sel:BYTE_0 src1_sel:DWORD
	v_bfrev_b32_e32 v1, 1
	s_and_saveexec_b64 s[60:61], vcc
	s_cbranch_execz .LBB2_4130
; %bb.4127:                             ;   in Loop: Header=BB2_3724 Depth=2
	v_bfe_u32 v4, v16, 16, 7
	v_cmp_ne_u32_e32 vcc, s69, v4
	v_mov_b32_e32 v1, 0x7f800001
	s_and_saveexec_b64 s[62:63], vcc
	s_cbranch_execz .LBB2_4129
; %bb.4128:                             ;   in Loop: Header=BB2_3724 Depth=2
	v_and_b32_e32 v1, 7, v10
	v_ffbh_u32_e32 v11, v1
	v_min_u32_e32 v11, 32, v11
	v_subrev_u32_e32 v14, 28, v11
	v_lshlrev_b64 v[38:39], v14, v[10:11]
	v_lshrrev_b32_e32 v5, 3, v4
	v_sub_u32_e32 v11, 29, v11
	v_and_b32_e32 v14, 7, v38
	v_cmp_gt_u32_e32 vcc, 8, v4
	v_cndmask_b32_e32 v4, v5, v11, vcc
	v_cndmask_b32_e32 v1, v1, v14, vcc
	v_lshlrev_b32_e32 v5, 24, v10
	v_lshlrev_b32_e32 v1, 20, v1
	v_and_b32_e32 v5, 0x80000000, v5
	v_lshl_add_u32 v4, v4, 23, v49
	v_or3_b32 v1, v5, v4, v1
.LBB2_4129:                             ;   in Loop: Header=BB2_3724 Depth=2
	s_or_b64 exec, exec, s[62:63]
.LBB2_4130:                             ;   in Loop: Header=BB2_3724 Depth=2
	s_or_b64 exec, exec, s[60:61]
.LBB2_4131:                             ;   in Loop: Header=BB2_3724 Depth=2
	s_or_b64 exec, exec, s[58:59]
	v_cmp_ne_u16_sdwa vcc, v2, v53 src0_sel:BYTE_0 src1_sel:DWORD
	s_and_saveexec_b64 s[58:59], vcc
	s_cbranch_execz .LBB2_4137
; %bb.4132:                             ;   in Loop: Header=BB2_3724 Depth=2
	v_cmp_ne_u16_sdwa vcc, v2, s68 src0_sel:BYTE_0 src1_sel:DWORD
	v_bfrev_b32_e32 v3, 1
	s_and_saveexec_b64 s[60:61], vcc
	s_cbranch_execz .LBB2_4136
; %bb.4133:                             ;   in Loop: Header=BB2_3724 Depth=2
	v_bfe_u32 v4, v12, 16, 7
	v_cmp_ne_u32_e32 vcc, s69, v4
	v_mov_b32_e32 v3, 0x7f800001
	s_and_saveexec_b64 s[62:63], vcc
	s_cbranch_execz .LBB2_4135
; %bb.4134:                             ;   in Loop: Header=BB2_3724 Depth=2
	v_and_b32_e32 v3, 7, v2
	v_ffbh_u32_e32 v11, v3
	v_min_u32_e32 v11, 32, v11
	v_subrev_u32_e32 v14, 28, v11
	v_lshlrev_b64 v[38:39], v14, v[2:3]
	v_lshrrev_b32_e32 v5, 3, v4
	v_sub_u32_e32 v11, 29, v11
	v_and_b32_e32 v14, 7, v38
	v_cmp_gt_u32_e32 vcc, 8, v4
	v_cndmask_b32_e32 v4, v5, v11, vcc
	v_cndmask_b32_e32 v3, v3, v14, vcc
	v_lshlrev_b32_e32 v5, 24, v2
	v_lshlrev_b32_e32 v3, 20, v3
	v_and_b32_e32 v5, 0x80000000, v5
	v_lshl_add_u32 v4, v4, 23, v49
	v_or3_b32 v3, v5, v4, v3
.LBB2_4135:                             ;   in Loop: Header=BB2_3724 Depth=2
	s_or_b64 exec, exec, s[62:63]
.LBB2_4136:                             ;   in Loop: Header=BB2_3724 Depth=2
	s_or_b64 exec, exec, s[60:61]
.LBB2_4137:                             ;   in Loop: Header=BB2_3724 Depth=2
	s_or_b64 exec, exec, s[58:59]
	v_max_f32_e32 v3, v3, v3
	v_max_f32_e32 v1, v1, v1
	;; [unrolled: 1-line block ×3, first 2 shown]
	s_branch .LBB2_4152
.LBB2_4138:                             ;   in Loop: Header=BB2_3724 Depth=2
                                        ; implicit-def: $vgpr3
	s_cbranch_execz .LBB2_4152
; %bb.4139:                             ;   in Loop: Header=BB2_3724 Depth=2
	v_mov_b32_e32 v3, 0
	v_mov_b32_e32 v1, 0
	s_and_saveexec_b64 s[58:59], s[20:21]
	s_cbranch_execz .LBB2_4145
; %bb.4140:                             ;   in Loop: Header=BB2_3724 Depth=2
	v_cmp_ne_u16_sdwa vcc, v10, s68 src0_sel:BYTE_0 src1_sel:DWORD
	v_bfrev_b32_e32 v1, 1
	s_and_saveexec_b64 s[20:21], vcc
	s_cbranch_execz .LBB2_4144
; %bb.4141:                             ;   in Loop: Header=BB2_3724 Depth=2
	v_bfe_u32 v4, v16, 16, 7
	v_cmp_ne_u32_e32 vcc, s69, v4
	v_mov_b32_e32 v1, 0x7f800001
	s_and_saveexec_b64 s[60:61], vcc
	s_cbranch_execz .LBB2_4143
; %bb.4142:                             ;   in Loop: Header=BB2_3724 Depth=2
	v_and_b32_e32 v1, 7, v10
	v_ffbh_u32_e32 v11, v1
	v_min_u32_e32 v11, 32, v11
	v_subrev_u32_e32 v14, 28, v11
	v_lshlrev_b64 v[38:39], v14, v[10:11]
	v_lshrrev_b32_e32 v5, 3, v4
	v_sub_u32_e32 v11, 29, v11
	v_and_b32_e32 v14, 7, v38
	v_cmp_gt_u32_e32 vcc, 8, v4
	v_cndmask_b32_e32 v4, v5, v11, vcc
	v_cndmask_b32_e32 v1, v1, v14, vcc
	v_lshlrev_b32_e32 v5, 24, v10
	v_lshlrev_b32_e32 v1, 20, v1
	v_and_b32_e32 v5, 0x80000000, v5
	v_lshl_add_u32 v4, v4, 23, v49
	v_or3_b32 v1, v5, v4, v1
.LBB2_4143:                             ;   in Loop: Header=BB2_3724 Depth=2
	s_or_b64 exec, exec, s[60:61]
.LBB2_4144:                             ;   in Loop: Header=BB2_3724 Depth=2
	s_or_b64 exec, exec, s[20:21]
.LBB2_4145:                             ;   in Loop: Header=BB2_3724 Depth=2
	s_or_b64 exec, exec, s[58:59]
	v_cmp_ne_u16_sdwa vcc, v2, v53 src0_sel:BYTE_0 src1_sel:DWORD
	s_and_saveexec_b64 s[20:21], vcc
	s_cbranch_execz .LBB2_4151
; %bb.4146:                             ;   in Loop: Header=BB2_3724 Depth=2
	v_cmp_ne_u16_sdwa vcc, v2, s68 src0_sel:BYTE_0 src1_sel:DWORD
	v_bfrev_b32_e32 v3, 1
	s_and_saveexec_b64 s[58:59], vcc
	s_cbranch_execz .LBB2_4150
; %bb.4147:                             ;   in Loop: Header=BB2_3724 Depth=2
	v_bfe_u32 v4, v12, 16, 7
	v_cmp_ne_u32_e32 vcc, s69, v4
	v_mov_b32_e32 v3, 0x7f800001
	s_and_saveexec_b64 s[60:61], vcc
	s_cbranch_execz .LBB2_4149
; %bb.4148:                             ;   in Loop: Header=BB2_3724 Depth=2
	v_and_b32_e32 v3, 7, v2
	v_ffbh_u32_e32 v10, v3
	v_min_u32_e32 v14, 32, v10
	v_subrev_u32_e32 v10, 28, v14
	v_lshlrev_b64 v[10:11], v10, v[2:3]
	v_lshrrev_b32_e32 v5, 3, v4
	v_sub_u32_e32 v11, 29, v14
	v_and_b32_e32 v10, 7, v10
	v_cmp_gt_u32_e32 vcc, 8, v4
	v_cndmask_b32_e32 v4, v5, v11, vcc
	v_cndmask_b32_e32 v3, v3, v10, vcc
	v_lshlrev_b32_e32 v2, 24, v2
	v_lshlrev_b32_e32 v3, 20, v3
	v_and_b32_e32 v2, 0x80000000, v2
	v_lshl_add_u32 v4, v4, 23, v49
	v_or3_b32 v3, v2, v4, v3
.LBB2_4149:                             ;   in Loop: Header=BB2_3724 Depth=2
	s_or_b64 exec, exec, s[60:61]
.LBB2_4150:                             ;   in Loop: Header=BB2_3724 Depth=2
	s_or_b64 exec, exec, s[58:59]
.LBB2_4151:                             ;   in Loop: Header=BB2_3724 Depth=2
	s_or_b64 exec, exec, s[20:21]
	v_max_f32_e32 v2, v3, v3
	v_max_f32_e32 v1, v1, v1
	v_min_f32_e32 v3, v1, v2
.LBB2_4152:                             ;   in Loop: Header=BB2_3724 Depth=2
	v_and_b32_sdwa v4, v3, s68 dst_sel:DWORD dst_unused:UNUSED_PAD src0_sel:BYTE_3 src1_sel:DWORD
	v_and_b32_e32 v10, 0x7f800000, v3
	v_mov_b32_e32 v11, v53
	v_and_b32_e32 v52, 0x7fffff, v3
	v_or_b32_e32 v1, 0x7e, v4
	v_cmp_ne_u64_e32 vcc, s[40:41], v[10:11]
	s_and_saveexec_b64 s[20:21], vcc
	s_xor_b64 s[58:59], exec, s[20:21]
	s_cbranch_execz .LBB2_4162
; %bb.4153:                             ;   in Loop: Header=BB2_3724 Depth=2
	v_and_b32_e32 v10, 0x7fffffff, v3
	v_mov_b32_e32 v11, v53
	v_cmp_gt_u64_e32 vcc, s[42:43], v[10:11]
	s_and_saveexec_b64 s[60:61], vcc
	s_cbranch_execz .LBB2_4161
; %bb.4154:                             ;   in Loop: Header=BB2_3724 Depth=2
	v_cmp_ne_u32_e32 vcc, 0, v3
	v_mov_b32_e32 v1, 0
	s_and_saveexec_b64 s[62:63], vcc
	s_cbranch_execz .LBB2_4160
; %bb.4155:                             ;   in Loop: Header=BB2_3724 Depth=2
	v_bfe_u32 v1, v3, 23, 8
	v_sub_u32_e32 v3, 0x79, v1
	v_cmp_gt_u32_e32 vcc, s72, v1
	v_add_u32_e32 v2, 0xffffff81, v1
	v_cndmask_b32_e32 v3, 0, v3, vcc
	v_cmp_eq_u32_e32 vcc, 0, v1
	v_mov_b32_e32 v1, 0xffffff82
	v_cndmask_b32_e32 v1, v2, v1, vcc
	v_mov_b32_e32 v2, 0x78
	v_or_b32_e32 v5, 0x800000, v52
	v_cndmask_b32_e32 v10, v3, v2, vcc
	v_cndmask_b32_e32 v52, v5, v52, vcc
	v_add_u32_e32 v2, 20, v10
	v_lshlrev_b64 v[2:3], v2, -1
	v_add_u32_e32 v5, 19, v10
	v_lshrrev_b64 v[48:49], v10, v[52:53]
	v_not_b32_e32 v3, v3
	v_not_b32_e32 v2, v2
	v_lshlrev_b64 v[38:39], v5, 1
	v_lshrrev_b32_e32 v5, 23, v48
	v_and_b32_e32 v3, 0, v3
	v_and_b32_e32 v2, v52, v2
	v_add3_u32 v10, v10, v1, v5
	v_bfe_u32 v1, v48, 20, 1
	v_add_u32_e32 v1, -1, v1
	v_cmp_eq_u64_e32 vcc, v[2:3], v[38:39]
	v_cndmask_b32_e32 v1, 0, v1, vcc
	v_add_u32_e32 v1, v1, v48
	v_and_b32_e32 v1, 0xfffff, v1
	v_add_co_u32_e32 v2, vcc, v1, v48
	v_add_u32_e32 v5, 6, v10
	v_addc_co_u32_e32 v3, vcc, 0, v49, vcc
	v_cmp_ne_u32_e32 vcc, 0, v5
                                        ; implicit-def: $vgpr1
	s_and_saveexec_b64 s[20:21], vcc
	s_xor_b64 s[20:21], exec, s[20:21]
; %bb.4156:                             ;   in Loop: Header=BB2_3724 Depth=2
	v_add_u32_e32 v1, 7, v10
	v_cmp_lt_u64_e32 vcc, s[46:47], v[2:3]
	v_cndmask_b32_e32 v1, v5, v1, vcc
	v_cndmask_b32_e64 v5, 0, 1, vcc
	v_lshrrev_b64 v[2:3], v5, v[2:3]
; %bb.4157:                             ;   in Loop: Header=BB2_3724 Depth=2
	s_andn2_saveexec_b64 s[20:21], s[20:21]
; %bb.4158:                             ;   in Loop: Header=BB2_3724 Depth=2
	v_bfe_u32 v1, v2, 23, 1
; %bb.4159:                             ;   in Loop: Header=BB2_3724 Depth=2
	s_or_b64 exec, exec, s[20:21]
	v_lshrrev_b64 v[2:3], 20, v[2:3]
	v_cmp_gt_i32_e32 vcc, 16, v1
	v_cndmask_b32_e32 v3, 0, v3, vcc
	v_cndmask_b32_e32 v2, 7, v2, vcc
	v_cmp_eq_u32_e32 vcc, 0, v1
	v_min_i32_e32 v1, 15, v1
	v_cmp_eq_u64_e64 s[20:21], 0, v[2:3]
	v_lshlrev_b32_e32 v1, 3, v1
	v_and_or_b32 v1, v2, 7, v1
	s_and_b64 s[20:21], vcc, s[20:21]
	v_cndmask_b32_e64 v1, v1, 0, s[20:21]
	v_or_b32_e32 v1, v1, v4
	v_bfrev_b32_e32 v49, 60
.LBB2_4160:                             ;   in Loop: Header=BB2_3724 Depth=2
	s_or_b64 exec, exec, s[62:63]
.LBB2_4161:                             ;   in Loop: Header=BB2_3724 Depth=2
	s_or_b64 exec, exec, s[60:61]
                                        ; implicit-def: $vgpr3
.LBB2_4162:                             ;   in Loop: Header=BB2_3724 Depth=2
	s_andn2_saveexec_b64 s[20:21], s[58:59]
; %bb.4163:                             ;   in Loop: Header=BB2_3724 Depth=2
	v_or_b32_sdwa v2, v3, s69 dst_sel:DWORD dst_unused:UNUSED_PAD src0_sel:BYTE_3 src1_sel:DWORD
	v_cmp_eq_u64_e32 vcc, 0, v[52:53]
	v_cndmask_b32_e32 v1, v2, v1, vcc
; %bb.4164:                             ;   in Loop: Header=BB2_3724 Depth=2
	s_or_b64 exec, exec, s[20:21]
	v_lshrrev_b32_e32 v10, 24, v16
	v_lshrrev_b32_e32 v2, 24, v12
	v_cmp_lt_u32_e64 s[20:21], s45, v16
	s_and_b64 vcc, exec, s[56:57]
	s_cbranch_vccz .LBB2_4178
; %bb.4165:                             ;   in Loop: Header=BB2_3724 Depth=2
	v_mov_b32_e32 v4, 0
	v_mov_b32_e32 v3, 0
	s_and_saveexec_b64 s[58:59], s[20:21]
	s_cbranch_execz .LBB2_4171
; %bb.4166:                             ;   in Loop: Header=BB2_3724 Depth=2
	v_cmp_ne_u32_e32 vcc, s68, v10
	v_bfrev_b32_e32 v3, 1
	s_and_saveexec_b64 s[60:61], vcc
	s_cbranch_execz .LBB2_4170
; %bb.4167:                             ;   in Loop: Header=BB2_3724 Depth=2
	v_bfe_u32 v5, v16, 24, 7
	v_cmp_ne_u32_e32 vcc, s69, v5
	v_mov_b32_e32 v3, 0x7f800001
	s_and_saveexec_b64 s[62:63], vcc
	s_cbranch_execz .LBB2_4169
; %bb.4168:                             ;   in Loop: Header=BB2_3724 Depth=2
	v_and_b32_e32 v3, 7, v10
	v_ffbh_u32_e32 v14, v3
	v_min_u32_e32 v14, 32, v14
	v_lshrrev_b32_e32 v11, 3, v5
	v_subrev_u32_e32 v38, 28, v14
	v_lshlrev_b64 v[38:39], v38, v[10:11]
	v_sub_u32_e32 v14, 29, v14
	v_and_b32_e32 v38, 7, v38
	v_cmp_gt_u32_e32 vcc, 8, v5
	v_cndmask_b32_e32 v5, v11, v14, vcc
	v_cndmask_b32_e32 v3, v3, v38, vcc
	v_lshlrev_b32_e32 v11, 24, v10
	v_lshlrev_b32_e32 v3, 20, v3
	v_and_b32_e32 v11, 0x80000000, v11
	v_lshl_add_u32 v5, v5, 23, v49
	v_or3_b32 v3, v11, v5, v3
.LBB2_4169:                             ;   in Loop: Header=BB2_3724 Depth=2
	s_or_b64 exec, exec, s[62:63]
.LBB2_4170:                             ;   in Loop: Header=BB2_3724 Depth=2
	s_or_b64 exec, exec, s[60:61]
.LBB2_4171:                             ;   in Loop: Header=BB2_3724 Depth=2
	s_or_b64 exec, exec, s[58:59]
	v_cmp_lt_u32_e32 vcc, s45, v12
	s_and_saveexec_b64 s[58:59], vcc
	s_cbranch_execz .LBB2_4177
; %bb.4172:                             ;   in Loop: Header=BB2_3724 Depth=2
	v_cmp_ne_u32_e32 vcc, s68, v2
	v_bfrev_b32_e32 v4, 1
	s_and_saveexec_b64 s[60:61], vcc
	s_cbranch_execz .LBB2_4176
; %bb.4173:                             ;   in Loop: Header=BB2_3724 Depth=2
	v_bfe_u32 v5, v12, 24, 7
	v_cmp_ne_u32_e32 vcc, s69, v5
	v_mov_b32_e32 v4, 0x7f800001
	s_and_saveexec_b64 s[62:63], vcc
	s_cbranch_execz .LBB2_4175
; %bb.4174:                             ;   in Loop: Header=BB2_3724 Depth=2
	v_and_b32_e32 v4, 7, v2
	v_ffbh_u32_e32 v14, v4
	v_min_u32_e32 v14, 32, v14
	v_subrev_u32_e32 v38, 28, v14
	v_lshlrev_b64 v[38:39], v38, v[2:3]
	v_lshrrev_b32_e32 v11, 3, v5
	v_sub_u32_e32 v14, 29, v14
	v_and_b32_e32 v38, 7, v38
	v_cmp_gt_u32_e32 vcc, 8, v5
	v_cndmask_b32_e32 v5, v11, v14, vcc
	v_cndmask_b32_e32 v4, v4, v38, vcc
	v_lshlrev_b32_e32 v11, 24, v2
	v_lshlrev_b32_e32 v4, 20, v4
	v_and_b32_e32 v11, 0x80000000, v11
	v_lshl_add_u32 v5, v5, 23, v49
	v_or3_b32 v4, v11, v5, v4
.LBB2_4175:                             ;   in Loop: Header=BB2_3724 Depth=2
	s_or_b64 exec, exec, s[62:63]
.LBB2_4176:                             ;   in Loop: Header=BB2_3724 Depth=2
	s_or_b64 exec, exec, s[60:61]
.LBB2_4177:                             ;   in Loop: Header=BB2_3724 Depth=2
	s_or_b64 exec, exec, s[58:59]
	v_max_f32_e32 v4, v4, v4
	v_max_f32_e32 v3, v3, v3
	;; [unrolled: 1-line block ×3, first 2 shown]
	s_branch .LBB2_4192
.LBB2_4178:                             ;   in Loop: Header=BB2_3724 Depth=2
                                        ; implicit-def: $vgpr3
	s_cbranch_execz .LBB2_4192
; %bb.4179:                             ;   in Loop: Header=BB2_3724 Depth=2
	v_mov_b32_e32 v4, 0
	v_mov_b32_e32 v3, 0
	s_and_saveexec_b64 s[58:59], s[20:21]
	s_cbranch_execz .LBB2_4185
; %bb.4180:                             ;   in Loop: Header=BB2_3724 Depth=2
	v_cmp_ne_u32_e32 vcc, s68, v10
	v_bfrev_b32_e32 v3, 1
	s_and_saveexec_b64 s[20:21], vcc
	s_cbranch_execz .LBB2_4184
; %bb.4181:                             ;   in Loop: Header=BB2_3724 Depth=2
	v_bfe_u32 v5, v16, 24, 7
	v_cmp_ne_u32_e32 vcc, s69, v5
	v_mov_b32_e32 v3, 0x7f800001
	s_and_saveexec_b64 s[60:61], vcc
	s_cbranch_execz .LBB2_4183
; %bb.4182:                             ;   in Loop: Header=BB2_3724 Depth=2
	v_and_b32_e32 v3, 7, v10
	v_ffbh_u32_e32 v14, v3
	v_min_u32_e32 v14, 32, v14
	v_lshrrev_b32_e32 v11, 3, v5
	v_subrev_u32_e32 v38, 28, v14
	v_lshlrev_b64 v[38:39], v38, v[10:11]
	v_sub_u32_e32 v14, 29, v14
	v_and_b32_e32 v38, 7, v38
	v_cmp_gt_u32_e32 vcc, 8, v5
	v_cndmask_b32_e32 v5, v11, v14, vcc
	v_cndmask_b32_e32 v3, v3, v38, vcc
	v_lshlrev_b32_e32 v10, 24, v10
	v_lshlrev_b32_e32 v3, 20, v3
	v_and_b32_e32 v10, 0x80000000, v10
	v_lshl_add_u32 v5, v5, 23, v49
	v_or3_b32 v3, v10, v5, v3
.LBB2_4183:                             ;   in Loop: Header=BB2_3724 Depth=2
	s_or_b64 exec, exec, s[60:61]
.LBB2_4184:                             ;   in Loop: Header=BB2_3724 Depth=2
	s_or_b64 exec, exec, s[20:21]
.LBB2_4185:                             ;   in Loop: Header=BB2_3724 Depth=2
	s_or_b64 exec, exec, s[58:59]
	v_cmp_lt_u32_e32 vcc, s45, v12
	s_and_saveexec_b64 s[20:21], vcc
	s_cbranch_execz .LBB2_4191
; %bb.4186:                             ;   in Loop: Header=BB2_3724 Depth=2
	v_cmp_ne_u32_e32 vcc, s68, v2
	v_bfrev_b32_e32 v4, 1
	s_and_saveexec_b64 s[58:59], vcc
	s_cbranch_execz .LBB2_4190
; %bb.4187:                             ;   in Loop: Header=BB2_3724 Depth=2
	v_bfe_u32 v5, v12, 24, 7
	v_cmp_ne_u32_e32 vcc, s69, v5
	v_mov_b32_e32 v4, 0x7f800001
	s_and_saveexec_b64 s[60:61], vcc
	s_cbranch_execz .LBB2_4189
; %bb.4188:                             ;   in Loop: Header=BB2_3724 Depth=2
	v_and_b32_e32 v4, 7, v2
	v_ffbh_u32_e32 v10, v4
	v_min_u32_e32 v38, 32, v10
	v_subrev_u32_e32 v10, 28, v38
	v_lshlrev_b64 v[10:11], v10, v[2:3]
	v_lshrrev_b32_e32 v14, 3, v5
	v_sub_u32_e32 v11, 29, v38
	v_and_b32_e32 v10, 7, v10
	v_cmp_gt_u32_e32 vcc, 8, v5
	v_cndmask_b32_e32 v5, v14, v11, vcc
	v_cndmask_b32_e32 v4, v4, v10, vcc
	v_lshlrev_b32_e32 v2, 24, v2
	v_lshlrev_b32_e32 v4, 20, v4
	v_and_b32_e32 v2, 0x80000000, v2
	v_lshl_add_u32 v5, v5, 23, v49
	v_or3_b32 v4, v2, v5, v4
.LBB2_4189:                             ;   in Loop: Header=BB2_3724 Depth=2
	s_or_b64 exec, exec, s[60:61]
.LBB2_4190:                             ;   in Loop: Header=BB2_3724 Depth=2
	s_or_b64 exec, exec, s[58:59]
.LBB2_4191:                             ;   in Loop: Header=BB2_3724 Depth=2
	s_or_b64 exec, exec, s[20:21]
	v_max_f32_e32 v2, v4, v4
	v_max_f32_e32 v3, v3, v3
	v_min_f32_e32 v3, v3, v2
.LBB2_4192:                             ;   in Loop: Header=BB2_3724 Depth=2
	v_and_b32_sdwa v5, v3, s68 dst_sel:DWORD dst_unused:UNUSED_PAD src0_sel:BYTE_3 src1_sel:DWORD
	v_and_b32_e32 v10, 0x7f800000, v3
	v_mov_b32_e32 v11, v53
	v_and_b32_e32 v52, 0x7fffff, v3
	v_or_b32_e32 v4, 0x7e, v5
	v_cmp_ne_u64_e32 vcc, s[40:41], v[10:11]
	s_and_saveexec_b64 s[20:21], vcc
	s_xor_b64 s[58:59], exec, s[20:21]
	s_cbranch_execz .LBB2_4202
; %bb.4193:                             ;   in Loop: Header=BB2_3724 Depth=2
	v_and_b32_e32 v10, 0x7fffffff, v3
	v_mov_b32_e32 v11, v53
	v_cmp_gt_u64_e32 vcc, s[42:43], v[10:11]
	s_and_saveexec_b64 s[60:61], vcc
	s_cbranch_execz .LBB2_4201
; %bb.4194:                             ;   in Loop: Header=BB2_3724 Depth=2
	v_cmp_ne_u32_e32 vcc, 0, v3
	v_mov_b32_e32 v4, 0
	s_and_saveexec_b64 s[62:63], vcc
	s_cbranch_execz .LBB2_4200
; %bb.4195:                             ;   in Loop: Header=BB2_3724 Depth=2
	v_bfe_u32 v2, v3, 23, 8
	v_sub_u32_e32 v4, 0x79, v2
	v_cmp_gt_u32_e32 vcc, s72, v2
	v_add_u32_e32 v3, 0xffffff81, v2
	v_cndmask_b32_e32 v4, 0, v4, vcc
	v_cmp_eq_u32_e32 vcc, 0, v2
	v_mov_b32_e32 v2, 0xffffff82
	v_cndmask_b32_e32 v11, v3, v2, vcc
	v_mov_b32_e32 v2, 0x78
	v_or_b32_e32 v10, 0x800000, v52
	v_cndmask_b32_e32 v4, v4, v2, vcc
	v_cndmask_b32_e32 v52, v10, v52, vcc
	v_add_u32_e32 v2, 20, v4
	v_lshlrev_b64 v[2:3], v2, -1
	v_add_u32_e32 v10, 19, v4
	v_lshrrev_b64 v[48:49], v4, v[52:53]
	v_not_b32_e32 v3, v3
	v_not_b32_e32 v2, v2
	v_lshlrev_b64 v[38:39], v10, 1
	v_lshrrev_b32_e32 v10, 23, v48
	v_and_b32_e32 v3, 0, v3
	v_and_b32_e32 v2, v52, v2
	v_add3_u32 v11, v4, v11, v10
	v_bfe_u32 v4, v48, 20, 1
	v_add_u32_e32 v4, -1, v4
	v_cmp_eq_u64_e32 vcc, v[2:3], v[38:39]
	v_cndmask_b32_e32 v2, 0, v4, vcc
	v_add_u32_e32 v2, v2, v48
	v_and_b32_e32 v2, 0xfffff, v2
	v_add_co_u32_e32 v2, vcc, v2, v48
	v_add_u32_e32 v10, 6, v11
	v_addc_co_u32_e32 v3, vcc, 0, v49, vcc
	v_cmp_ne_u32_e32 vcc, 0, v10
                                        ; implicit-def: $vgpr4
	s_and_saveexec_b64 s[20:21], vcc
	s_xor_b64 s[20:21], exec, s[20:21]
; %bb.4196:                             ;   in Loop: Header=BB2_3724 Depth=2
	v_add_u32_e32 v4, 7, v11
	v_cmp_lt_u64_e32 vcc, s[46:47], v[2:3]
	v_cndmask_b32_e32 v4, v10, v4, vcc
	v_cndmask_b32_e64 v10, 0, 1, vcc
	v_lshrrev_b64 v[2:3], v10, v[2:3]
; %bb.4197:                             ;   in Loop: Header=BB2_3724 Depth=2
	s_andn2_saveexec_b64 s[20:21], s[20:21]
; %bb.4198:                             ;   in Loop: Header=BB2_3724 Depth=2
	v_bfe_u32 v4, v2, 23, 1
; %bb.4199:                             ;   in Loop: Header=BB2_3724 Depth=2
	s_or_b64 exec, exec, s[20:21]
	v_lshrrev_b64 v[2:3], 20, v[2:3]
	v_cmp_gt_i32_e32 vcc, 16, v4
	v_cndmask_b32_e32 v3, 0, v3, vcc
	v_cndmask_b32_e32 v2, 7, v2, vcc
	v_cmp_eq_u64_e64 s[20:21], 0, v[2:3]
	v_min_i32_e32 v3, 15, v4
	v_cmp_eq_u32_e32 vcc, 0, v4
	v_lshlrev_b32_e32 v3, 3, v3
	v_and_or_b32 v2, v2, 7, v3
	s_and_b64 s[20:21], vcc, s[20:21]
	v_cndmask_b32_e64 v2, v2, 0, s[20:21]
	v_or_b32_e32 v4, v2, v5
	v_bfrev_b32_e32 v49, 60
.LBB2_4200:                             ;   in Loop: Header=BB2_3724 Depth=2
	s_or_b64 exec, exec, s[62:63]
.LBB2_4201:                             ;   in Loop: Header=BB2_3724 Depth=2
	s_or_b64 exec, exec, s[60:61]
                                        ; implicit-def: $vgpr3
.LBB2_4202:                             ;   in Loop: Header=BB2_3724 Depth=2
	s_andn2_saveexec_b64 s[20:21], s[58:59]
; %bb.4203:                             ;   in Loop: Header=BB2_3724 Depth=2
	v_or_b32_sdwa v2, v3, s69 dst_sel:DWORD dst_unused:UNUSED_PAD src0_sel:BYTE_3 src1_sel:DWORD
	v_cmp_eq_u64_e32 vcc, 0, v[52:53]
	v_cndmask_b32_e32 v4, v2, v4, vcc
; %bb.4204:                             ;   in Loop: Header=BB2_3724 Depth=2
	s_or_b64 exec, exec, s[20:21]
	v_mov_b32_e32 v52, v17
	v_mov_b32_e32 v2, v13
	;; [unrolled: 1-line block ×3, first 2 shown]
	v_cmp_ne_u16_sdwa s[20:21], v17, v53 src0_sel:BYTE_0 src1_sel:DWORD
	s_and_b64 vcc, exec, s[56:57]
	s_cbranch_vccz .LBB2_4218
; %bb.4205:                             ;   in Loop: Header=BB2_3724 Depth=2
	v_mov_b32_e32 v10, 0
	v_mov_b32_e32 v5, 0
	s_and_saveexec_b64 s[58:59], s[20:21]
	s_cbranch_execz .LBB2_4211
; %bb.4206:                             ;   in Loop: Header=BB2_3724 Depth=2
	v_cmp_ne_u16_sdwa vcc, v17, s68 src0_sel:BYTE_0 src1_sel:DWORD
	v_bfrev_b32_e32 v5, 1
	s_and_saveexec_b64 s[60:61], vcc
	s_cbranch_execz .LBB2_4210
; %bb.4207:                             ;   in Loop: Header=BB2_3724 Depth=2
	v_and_b32_e32 v11, 0x7f, v17
	v_cmp_ne_u32_e32 vcc, s69, v11
	v_mov_b32_e32 v5, 0x7f800001
	s_and_saveexec_b64 s[62:63], vcc
	s_cbranch_execz .LBB2_4209
; %bb.4208:                             ;   in Loop: Header=BB2_3724 Depth=2
	v_and_b32_e32 v5, 7, v17
	v_ffbh_u32_e32 v5, v5
	v_min_u32_e32 v5, 32, v5
	v_subrev_u32_e32 v38, 28, v5
	v_cmp_gt_u32_e32 vcc, 8, v11
	v_lshrrev_b32_e32 v14, 3, v11
	v_cndmask_b32_e32 v11, 0, v38, vcc
	v_sub_u32_e32 v5, 29, v5
	v_lshlrev_b64 v[38:39], v11, v[52:53]
	v_cndmask_b32_e32 v5, v14, v5, vcc
	v_lshlrev_b32_e32 v11, 20, v38
	v_lshlrev_b32_e32 v14, 24, v52
	v_and_b32_e32 v11, 0x700000, v11
	v_and_b32_e32 v14, 0x80000000, v14
	v_lshl_add_u32 v5, v5, 23, v49
	v_or3_b32 v5, v14, v5, v11
.LBB2_4209:                             ;   in Loop: Header=BB2_3724 Depth=2
	s_or_b64 exec, exec, s[62:63]
.LBB2_4210:                             ;   in Loop: Header=BB2_3724 Depth=2
	s_or_b64 exec, exec, s[60:61]
.LBB2_4211:                             ;   in Loop: Header=BB2_3724 Depth=2
	s_or_b64 exec, exec, s[58:59]
	v_cmp_ne_u16_sdwa vcc, v13, v53 src0_sel:BYTE_0 src1_sel:DWORD
	s_and_saveexec_b64 s[58:59], vcc
	s_cbranch_execz .LBB2_4217
; %bb.4212:                             ;   in Loop: Header=BB2_3724 Depth=2
	v_cmp_ne_u16_sdwa vcc, v13, s68 src0_sel:BYTE_0 src1_sel:DWORD
	v_bfrev_b32_e32 v10, 1
	s_and_saveexec_b64 s[60:61], vcc
	s_cbranch_execz .LBB2_4216
; %bb.4213:                             ;   in Loop: Header=BB2_3724 Depth=2
	v_and_b32_e32 v11, 0x7f, v13
	v_cmp_ne_u32_e32 vcc, s69, v11
	v_mov_b32_e32 v10, 0x7f800001
	s_and_saveexec_b64 s[62:63], vcc
	s_cbranch_execz .LBB2_4215
; %bb.4214:                             ;   in Loop: Header=BB2_3724 Depth=2
	v_and_b32_e32 v10, 7, v13
	v_ffbh_u32_e32 v10, v10
	v_min_u32_e32 v10, 32, v10
	v_lshrrev_b32_e32 v14, 3, v11
	v_subrev_u32_e32 v38, 28, v10
	v_sub_u32_e32 v10, 29, v10
	v_cmp_gt_u32_e32 vcc, 8, v11
	v_cndmask_b32_e32 v14, v14, v10, vcc
	v_cndmask_b32_e32 v10, 0, v38, vcc
	v_lshlrev_b64 v[10:11], v10, v[2:3]
	v_lshlrev_b32_e32 v10, 20, v10
	v_lshlrev_b32_e32 v11, 24, v2
	v_and_b32_e32 v10, 0x700000, v10
	v_and_b32_e32 v11, 0x80000000, v11
	v_lshl_add_u32 v14, v14, 23, v49
	v_or3_b32 v10, v11, v14, v10
.LBB2_4215:                             ;   in Loop: Header=BB2_3724 Depth=2
	s_or_b64 exec, exec, s[62:63]
.LBB2_4216:                             ;   in Loop: Header=BB2_3724 Depth=2
	s_or_b64 exec, exec, s[60:61]
.LBB2_4217:                             ;   in Loop: Header=BB2_3724 Depth=2
	s_or_b64 exec, exec, s[58:59]
	v_max_f32_e32 v10, v10, v10
	v_max_f32_e32 v5, v5, v5
	v_max_f32_e32 v14, v5, v10
	s_branch .LBB2_4232
.LBB2_4218:                             ;   in Loop: Header=BB2_3724 Depth=2
                                        ; implicit-def: $vgpr14
	s_cbranch_execz .LBB2_4232
; %bb.4219:                             ;   in Loop: Header=BB2_3724 Depth=2
	v_mov_b32_e32 v10, 0
	v_mov_b32_e32 v5, 0
	s_and_saveexec_b64 s[58:59], s[20:21]
	s_cbranch_execz .LBB2_4225
; %bb.4220:                             ;   in Loop: Header=BB2_3724 Depth=2
	v_cmp_ne_u16_sdwa vcc, v17, s68 src0_sel:BYTE_0 src1_sel:DWORD
	v_bfrev_b32_e32 v5, 1
	s_and_saveexec_b64 s[20:21], vcc
	s_cbranch_execz .LBB2_4224
; %bb.4221:                             ;   in Loop: Header=BB2_3724 Depth=2
	v_and_b32_e32 v11, 0x7f, v17
	v_cmp_ne_u32_e32 vcc, s69, v11
	v_mov_b32_e32 v5, 0x7f800001
	s_and_saveexec_b64 s[60:61], vcc
	s_cbranch_execz .LBB2_4223
; %bb.4222:                             ;   in Loop: Header=BB2_3724 Depth=2
	v_and_b32_e32 v5, 7, v17
	v_ffbh_u32_e32 v5, v5
	v_min_u32_e32 v5, 32, v5
	v_subrev_u32_e32 v38, 28, v5
	v_cmp_gt_u32_e32 vcc, 8, v11
	v_lshrrev_b32_e32 v14, 3, v11
	v_cndmask_b32_e32 v11, 0, v38, vcc
	v_sub_u32_e32 v5, 29, v5
	v_lshlrev_b64 v[38:39], v11, v[52:53]
	v_cndmask_b32_e32 v5, v14, v5, vcc
	v_lshlrev_b32_e32 v11, 20, v38
	v_lshlrev_b32_e32 v14, 24, v52
	v_and_b32_e32 v11, 0x700000, v11
	v_and_b32_e32 v14, 0x80000000, v14
	v_lshl_add_u32 v5, v5, 23, v49
	v_or3_b32 v5, v14, v5, v11
.LBB2_4223:                             ;   in Loop: Header=BB2_3724 Depth=2
	s_or_b64 exec, exec, s[60:61]
.LBB2_4224:                             ;   in Loop: Header=BB2_3724 Depth=2
	s_or_b64 exec, exec, s[20:21]
.LBB2_4225:                             ;   in Loop: Header=BB2_3724 Depth=2
	s_or_b64 exec, exec, s[58:59]
	v_cmp_ne_u16_sdwa vcc, v13, v53 src0_sel:BYTE_0 src1_sel:DWORD
	s_and_saveexec_b64 s[20:21], vcc
	s_cbranch_execz .LBB2_4231
; %bb.4226:                             ;   in Loop: Header=BB2_3724 Depth=2
	v_cmp_ne_u16_sdwa vcc, v13, s68 src0_sel:BYTE_0 src1_sel:DWORD
	v_bfrev_b32_e32 v10, 1
	s_and_saveexec_b64 s[58:59], vcc
	s_cbranch_execz .LBB2_4230
; %bb.4227:                             ;   in Loop: Header=BB2_3724 Depth=2
	v_and_b32_e32 v11, 0x7f, v13
	v_cmp_ne_u32_e32 vcc, s69, v11
	v_mov_b32_e32 v10, 0x7f800001
	s_and_saveexec_b64 s[60:61], vcc
	s_cbranch_execz .LBB2_4229
; %bb.4228:                             ;   in Loop: Header=BB2_3724 Depth=2
	v_and_b32_e32 v10, 7, v13
	v_ffbh_u32_e32 v10, v10
	v_min_u32_e32 v10, 32, v10
	v_lshrrev_b32_e32 v14, 3, v11
	v_subrev_u32_e32 v38, 28, v10
	v_sub_u32_e32 v10, 29, v10
	v_cmp_gt_u32_e32 vcc, 8, v11
	v_cndmask_b32_e32 v14, v14, v10, vcc
	v_cndmask_b32_e32 v10, 0, v38, vcc
	v_lshlrev_b64 v[10:11], v10, v[2:3]
	v_lshlrev_b32_e32 v3, 20, v10
	v_lshlrev_b32_e32 v10, 24, v2
	v_and_b32_e32 v3, 0x700000, v3
	v_and_b32_e32 v10, 0x80000000, v10
	v_lshl_add_u32 v11, v14, 23, v49
	v_or3_b32 v10, v10, v11, v3
.LBB2_4229:                             ;   in Loop: Header=BB2_3724 Depth=2
	s_or_b64 exec, exec, s[60:61]
.LBB2_4230:                             ;   in Loop: Header=BB2_3724 Depth=2
	s_or_b64 exec, exec, s[58:59]
.LBB2_4231:                             ;   in Loop: Header=BB2_3724 Depth=2
	s_or_b64 exec, exec, s[20:21]
	v_max_f32_e32 v3, v10, v10
	v_max_f32_e32 v5, v5, v5
	v_min_f32_e32 v14, v5, v3
.LBB2_4232:                             ;   in Loop: Header=BB2_3724 Depth=2
	v_and_b32_sdwa v3, v14, s68 dst_sel:DWORD dst_unused:UNUSED_PAD src0_sel:BYTE_3 src1_sel:DWORD
	v_and_b32_e32 v38, 0x7f800000, v14
	v_mov_b32_e32 v39, v53
	v_and_b32_e32 v10, 0x7fffff, v14
	v_mov_b32_e32 v11, v53
	v_or_b32_e32 v5, 0x7e, v3
	v_cmp_ne_u64_e32 vcc, s[40:41], v[38:39]
	s_and_saveexec_b64 s[20:21], vcc
	s_xor_b64 s[58:59], exec, s[20:21]
	s_cbranch_execz .LBB2_4242
; %bb.4233:                             ;   in Loop: Header=BB2_3724 Depth=2
	v_and_b32_e32 v38, 0x7fffffff, v14
	v_mov_b32_e32 v39, v53
	v_cmp_gt_u64_e32 vcc, s[42:43], v[38:39]
	s_and_saveexec_b64 s[60:61], vcc
	s_cbranch_execz .LBB2_4241
; %bb.4234:                             ;   in Loop: Header=BB2_3724 Depth=2
	v_cmp_ne_u32_e32 vcc, 0, v14
	v_mov_b32_e32 v5, 0
	s_and_saveexec_b64 s[62:63], vcc
	s_cbranch_execz .LBB2_4240
; %bb.4235:                             ;   in Loop: Header=BB2_3724 Depth=2
	v_bfe_u32 v5, v14, 23, 8
	v_sub_u32_e32 v38, 0x79, v5
	v_cmp_gt_u32_e32 vcc, s72, v5
	v_add_u32_e32 v14, 0xffffff81, v5
	v_cndmask_b32_e32 v38, 0, v38, vcc
	v_cmp_eq_u32_e32 vcc, 0, v5
	v_mov_b32_e32 v5, 0xffffff82
	v_cndmask_b32_e32 v5, v14, v5, vcc
	v_mov_b32_e32 v14, 0x78
	v_cndmask_b32_e32 v14, v38, v14, vcc
	v_or_b32_e32 v39, 0x800000, v10
	v_add_u32_e32 v38, 20, v14
	v_cndmask_b32_e32 v10, v39, v10, vcc
	v_lshlrev_b64 v[38:39], v38, -1
	v_not_b32_e32 v38, v38
	v_and_b32_e32 v38, v10, v38
	v_add_u32_e32 v48, 19, v14
	v_lshrrev_b64 v[10:11], v14, v[10:11]
	v_not_b32_e32 v39, v39
	v_lshlrev_b64 v[40:41], v48, 1
	v_lshrrev_b32_e32 v48, 23, v10
	v_and_b32_e32 v39, 0, v39
	v_add3_u32 v48, v14, v5, v48
	v_bfe_u32 v5, v10, 20, 1
	v_add_u32_e32 v5, -1, v5
	v_cmp_eq_u64_e32 vcc, v[38:39], v[40:41]
	v_cndmask_b32_e32 v5, 0, v5, vcc
	v_add_u32_e32 v5, v5, v10
	v_and_b32_e32 v5, 0xfffff, v5
	v_add_co_u32_e32 v10, vcc, v5, v10
	v_add_u32_e32 v14, 6, v48
	v_addc_co_u32_e32 v11, vcc, 0, v11, vcc
	v_cmp_ne_u32_e32 vcc, 0, v14
                                        ; implicit-def: $vgpr5
	s_and_saveexec_b64 s[20:21], vcc
	s_xor_b64 s[20:21], exec, s[20:21]
; %bb.4236:                             ;   in Loop: Header=BB2_3724 Depth=2
	v_add_u32_e32 v5, 7, v48
	v_cmp_lt_u64_e32 vcc, s[46:47], v[10:11]
	v_cndmask_b32_e32 v5, v14, v5, vcc
	v_cndmask_b32_e64 v14, 0, 1, vcc
	v_lshrrev_b64 v[10:11], v14, v[10:11]
; %bb.4237:                             ;   in Loop: Header=BB2_3724 Depth=2
	s_andn2_saveexec_b64 s[20:21], s[20:21]
; %bb.4238:                             ;   in Loop: Header=BB2_3724 Depth=2
	v_bfe_u32 v5, v10, 23, 1
; %bb.4239:                             ;   in Loop: Header=BB2_3724 Depth=2
	s_or_b64 exec, exec, s[20:21]
	v_lshrrev_b64 v[10:11], 20, v[10:11]
	v_cmp_gt_i32_e32 vcc, 16, v5
	v_cndmask_b32_e32 v11, 0, v11, vcc
	v_cndmask_b32_e32 v10, 7, v10, vcc
	v_cmp_eq_u32_e32 vcc, 0, v5
	v_min_i32_e32 v5, 15, v5
	v_cmp_eq_u64_e64 s[20:21], 0, v[10:11]
	v_lshlrev_b32_e32 v5, 3, v5
	v_and_or_b32 v5, v10, 7, v5
	s_and_b64 s[20:21], vcc, s[20:21]
	v_cndmask_b32_e64 v5, v5, 0, s[20:21]
	v_or_b32_e32 v5, v5, v3
.LBB2_4240:                             ;   in Loop: Header=BB2_3724 Depth=2
	s_or_b64 exec, exec, s[62:63]
.LBB2_4241:                             ;   in Loop: Header=BB2_3724 Depth=2
	s_or_b64 exec, exec, s[60:61]
                                        ; implicit-def: $vgpr14
                                        ; implicit-def: $vgpr10_vgpr11
.LBB2_4242:                             ;   in Loop: Header=BB2_3724 Depth=2
	s_andn2_saveexec_b64 s[20:21], s[58:59]
; %bb.4243:                             ;   in Loop: Header=BB2_3724 Depth=2
	v_or_b32_sdwa v3, v14, s69 dst_sel:DWORD dst_unused:UNUSED_PAD src0_sel:BYTE_3 src1_sel:DWORD
	v_cmp_eq_u64_e32 vcc, 0, v[10:11]
	v_cndmask_b32_e32 v5, v3, v5, vcc
; %bb.4244:                             ;   in Loop: Header=BB2_3724 Depth=2
	s_or_b64 exec, exec, s[20:21]
	v_lshrrev_b16_e32 v14, 8, v52
	v_lshrrev_b16_e32 v10, 8, v2
	v_cmp_ne_u16_e64 s[20:21], 0, v14
	s_and_b64 vcc, exec, s[56:57]
	s_cbranch_vccz .LBB2_4258
; %bb.4245:                             ;   in Loop: Header=BB2_3724 Depth=2
	v_mov_b32_e32 v11, 0
	v_mov_b32_e32 v3, 0
	s_and_saveexec_b64 s[58:59], s[20:21]
	s_cbranch_execz .LBB2_4251
; %bb.4246:                             ;   in Loop: Header=BB2_3724 Depth=2
	v_cmp_ne_u16_e32 vcc, s68, v14
	v_bfrev_b32_e32 v3, 1
	s_and_saveexec_b64 s[60:61], vcc
	s_cbranch_execz .LBB2_4250
; %bb.4247:                             ;   in Loop: Header=BB2_3724 Depth=2
	v_and_b32_e32 v48, 0x7f, v14
	v_cmp_ne_u32_e32 vcc, s69, v48
	v_mov_b32_e32 v3, 0x7f800001
	s_and_saveexec_b64 s[62:63], vcc
	s_cbranch_execz .LBB2_4249
; %bb.4248:                             ;   in Loop: Header=BB2_3724 Depth=2
	v_and_b32_e32 v3, 7, v14
	v_ffbh_u32_e32 v38, v3
	v_min_u32_e32 v51, 32, v38
	v_subrev_u32_e32 v38, 28, v51
	v_lshlrev_b64 v[38:39], v38, v[14:15]
	v_lshrrev_b32_e32 v49, 3, v48
	v_sub_u32_e32 v39, 29, v51
	v_and_b32_e32 v38, 7, v38
	v_cmp_gt_u32_e32 vcc, 8, v48
	v_cndmask_b32_e32 v39, v49, v39, vcc
	v_bfrev_b32_e32 v49, 60
	v_cndmask_b32_e32 v3, v3, v38, vcc
	v_lshlrev_b32_e32 v38, 16, v52
	v_lshlrev_b32_e32 v3, 20, v3
	v_and_b32_e32 v38, 0x80000000, v38
	v_lshl_add_u32 v39, v39, 23, v49
	v_or3_b32 v3, v38, v39, v3
.LBB2_4249:                             ;   in Loop: Header=BB2_3724 Depth=2
	s_or_b64 exec, exec, s[62:63]
.LBB2_4250:                             ;   in Loop: Header=BB2_3724 Depth=2
	s_or_b64 exec, exec, s[60:61]
.LBB2_4251:                             ;   in Loop: Header=BB2_3724 Depth=2
	s_or_b64 exec, exec, s[58:59]
	v_cmp_ne_u16_e32 vcc, 0, v10
	s_and_saveexec_b64 s[58:59], vcc
	s_cbranch_execz .LBB2_4257
; %bb.4252:                             ;   in Loop: Header=BB2_3724 Depth=2
	v_cmp_ne_u16_e32 vcc, s68, v10
	v_bfrev_b32_e32 v11, 1
	s_and_saveexec_b64 s[60:61], vcc
	s_cbranch_execz .LBB2_4256
; %bb.4253:                             ;   in Loop: Header=BB2_3724 Depth=2
	v_and_b32_e32 v48, 0x7f, v10
	v_cmp_ne_u32_e32 vcc, s69, v48
	v_mov_b32_e32 v11, 0x7f800001
	s_and_saveexec_b64 s[62:63], vcc
	s_cbranch_execz .LBB2_4255
; %bb.4254:                             ;   in Loop: Header=BB2_3724 Depth=2
	v_and_b32_e32 v11, 7, v10
	v_ffbh_u32_e32 v38, v11
	v_min_u32_e32 v51, 32, v38
	v_subrev_u32_e32 v38, 28, v51
	v_lshlrev_b64 v[38:39], v38, v[10:11]
	v_lshrrev_b32_e32 v49, 3, v48
	v_sub_u32_e32 v39, 29, v51
	v_and_b32_e32 v38, 7, v38
	v_cmp_gt_u32_e32 vcc, 8, v48
	v_cndmask_b32_e32 v39, v49, v39, vcc
	v_bfrev_b32_e32 v49, 60
	v_cndmask_b32_e32 v11, v11, v38, vcc
	v_lshlrev_b32_e32 v38, 16, v2
	v_lshlrev_b32_e32 v11, 20, v11
	v_and_b32_e32 v38, 0x80000000, v38
	v_lshl_add_u32 v39, v39, 23, v49
	v_or3_b32 v11, v38, v39, v11
.LBB2_4255:                             ;   in Loop: Header=BB2_3724 Depth=2
	s_or_b64 exec, exec, s[62:63]
.LBB2_4256:                             ;   in Loop: Header=BB2_3724 Depth=2
	s_or_b64 exec, exec, s[60:61]
.LBB2_4257:                             ;   in Loop: Header=BB2_3724 Depth=2
	s_or_b64 exec, exec, s[58:59]
	v_max_f32_e32 v11, v11, v11
	v_max_f32_e32 v3, v3, v3
	;; [unrolled: 1-line block ×3, first 2 shown]
	s_branch .LBB2_4272
.LBB2_4258:                             ;   in Loop: Header=BB2_3724 Depth=2
                                        ; implicit-def: $vgpr3
	s_cbranch_execz .LBB2_4272
; %bb.4259:                             ;   in Loop: Header=BB2_3724 Depth=2
	v_mov_b32_e32 v11, 0
	v_mov_b32_e32 v3, 0
	s_and_saveexec_b64 s[58:59], s[20:21]
	s_cbranch_execz .LBB2_4265
; %bb.4260:                             ;   in Loop: Header=BB2_3724 Depth=2
	v_cmp_ne_u16_e32 vcc, s68, v14
	v_bfrev_b32_e32 v3, 1
	s_and_saveexec_b64 s[20:21], vcc
	s_cbranch_execz .LBB2_4264
; %bb.4261:                             ;   in Loop: Header=BB2_3724 Depth=2
	v_and_b32_e32 v48, 0x7f, v14
	v_cmp_ne_u32_e32 vcc, s69, v48
	v_mov_b32_e32 v3, 0x7f800001
	s_and_saveexec_b64 s[60:61], vcc
	s_cbranch_execz .LBB2_4263
; %bb.4262:                             ;   in Loop: Header=BB2_3724 Depth=2
	v_and_b32_e32 v3, 7, v14
	v_ffbh_u32_e32 v38, v3
	v_min_u32_e32 v51, 32, v38
	v_subrev_u32_e32 v38, 28, v51
	v_lshlrev_b64 v[38:39], v38, v[14:15]
	v_lshrrev_b32_e32 v49, 3, v48
	v_sub_u32_e32 v14, 29, v51
	v_and_b32_e32 v38, 7, v38
	v_cmp_gt_u32_e32 vcc, 8, v48
	v_cndmask_b32_e32 v14, v49, v14, vcc
	v_bfrev_b32_e32 v49, 60
	v_cndmask_b32_e32 v3, v3, v38, vcc
	v_lshlrev_b32_e32 v38, 16, v52
	v_lshlrev_b32_e32 v3, 20, v3
	v_and_b32_e32 v38, 0x80000000, v38
	v_lshl_add_u32 v14, v14, 23, v49
	v_or3_b32 v3, v38, v14, v3
.LBB2_4263:                             ;   in Loop: Header=BB2_3724 Depth=2
	s_or_b64 exec, exec, s[60:61]
.LBB2_4264:                             ;   in Loop: Header=BB2_3724 Depth=2
	s_or_b64 exec, exec, s[20:21]
.LBB2_4265:                             ;   in Loop: Header=BB2_3724 Depth=2
	s_or_b64 exec, exec, s[58:59]
	v_cmp_ne_u16_e32 vcc, 0, v10
	s_and_saveexec_b64 s[20:21], vcc
	s_cbranch_execz .LBB2_4271
; %bb.4266:                             ;   in Loop: Header=BB2_3724 Depth=2
	v_cmp_ne_u16_e32 vcc, s68, v10
	v_bfrev_b32_e32 v11, 1
	s_and_saveexec_b64 s[58:59], vcc
	s_cbranch_execz .LBB2_4270
; %bb.4267:                             ;   in Loop: Header=BB2_3724 Depth=2
	v_and_b32_e32 v14, 0x7f, v10
	v_cmp_ne_u32_e32 vcc, s69, v14
	v_mov_b32_e32 v11, 0x7f800001
	s_and_saveexec_b64 s[60:61], vcc
	s_cbranch_execz .LBB2_4269
; %bb.4268:                             ;   in Loop: Header=BB2_3724 Depth=2
	v_and_b32_e32 v38, 7, v10
	v_ffbh_u32_e32 v11, v38
	v_min_u32_e32 v48, 32, v11
	v_subrev_u32_e32 v11, 28, v48
	v_lshlrev_b64 v[10:11], v11, v[10:11]
	v_lshrrev_b32_e32 v39, 3, v14
	v_sub_u32_e32 v11, 29, v48
	v_and_b32_e32 v10, 7, v10
	v_cmp_gt_u32_e32 vcc, 8, v14
	v_cndmask_b32_e32 v11, v39, v11, vcc
	v_cndmask_b32_e32 v10, v38, v10, vcc
	v_lshlrev_b32_e32 v2, 16, v2
	v_lshlrev_b32_e32 v10, 20, v10
	v_and_b32_e32 v2, 0x80000000, v2
	v_lshl_add_u32 v11, v11, 23, v49
	v_or3_b32 v11, v2, v11, v10
.LBB2_4269:                             ;   in Loop: Header=BB2_3724 Depth=2
	s_or_b64 exec, exec, s[60:61]
.LBB2_4270:                             ;   in Loop: Header=BB2_3724 Depth=2
	s_or_b64 exec, exec, s[58:59]
.LBB2_4271:                             ;   in Loop: Header=BB2_3724 Depth=2
	s_or_b64 exec, exec, s[20:21]
	v_max_f32_e32 v2, v11, v11
	v_max_f32_e32 v3, v3, v3
	v_min_f32_e32 v3, v3, v2
.LBB2_4272:                             ;   in Loop: Header=BB2_3724 Depth=2
	v_and_b32_sdwa v10, v3, s68 dst_sel:DWORD dst_unused:UNUSED_PAD src0_sel:BYTE_3 src1_sel:DWORD
	v_and_b32_e32 v38, 0x7f800000, v3
	v_mov_b32_e32 v39, v53
	v_and_b32_e32 v52, 0x7fffff, v3
	v_or_b32_e32 v11, 0x7e, v10
	v_cmp_ne_u64_e32 vcc, s[40:41], v[38:39]
	s_and_saveexec_b64 s[20:21], vcc
	s_xor_b64 s[58:59], exec, s[20:21]
	s_cbranch_execz .LBB2_4282
; %bb.4273:                             ;   in Loop: Header=BB2_3724 Depth=2
	v_and_b32_e32 v38, 0x7fffffff, v3
	v_mov_b32_e32 v39, v53
	v_cmp_gt_u64_e32 vcc, s[42:43], v[38:39]
	s_and_saveexec_b64 s[60:61], vcc
	s_cbranch_execz .LBB2_4281
; %bb.4274:                             ;   in Loop: Header=BB2_3724 Depth=2
	v_cmp_ne_u32_e32 vcc, 0, v3
	v_mov_b32_e32 v11, 0
	s_and_saveexec_b64 s[62:63], vcc
	s_cbranch_execz .LBB2_4280
; %bb.4275:                             ;   in Loop: Header=BB2_3724 Depth=2
	v_bfe_u32 v2, v3, 23, 8
	v_sub_u32_e32 v11, 0x79, v2
	v_cmp_gt_u32_e32 vcc, s72, v2
	v_add_u32_e32 v3, 0xffffff81, v2
	v_cndmask_b32_e32 v11, 0, v11, vcc
	v_cmp_eq_u32_e32 vcc, 0, v2
	v_mov_b32_e32 v2, 0xffffff82
	v_cndmask_b32_e32 v48, v3, v2, vcc
	v_mov_b32_e32 v2, 0x78
	v_or_b32_e32 v14, 0x800000, v52
	v_cndmask_b32_e32 v11, v11, v2, vcc
	v_cndmask_b32_e32 v52, v14, v52, vcc
	v_add_u32_e32 v2, 20, v11
	v_lshlrev_b64 v[2:3], v2, -1
	v_add_u32_e32 v14, 19, v11
	v_lshrrev_b64 v[40:41], v11, v[52:53]
	v_not_b32_e32 v3, v3
	v_not_b32_e32 v2, v2
	v_lshlrev_b64 v[38:39], v14, 1
	v_lshrrev_b32_e32 v14, 23, v40
	v_and_b32_e32 v3, 0, v3
	v_and_b32_e32 v2, v52, v2
	v_add3_u32 v48, v11, v48, v14
	v_bfe_u32 v11, v40, 20, 1
	v_add_u32_e32 v11, -1, v11
	v_cmp_eq_u64_e32 vcc, v[2:3], v[38:39]
	v_cndmask_b32_e32 v2, 0, v11, vcc
	v_add_u32_e32 v2, v2, v40
	v_and_b32_e32 v2, 0xfffff, v2
	v_add_co_u32_e32 v2, vcc, v2, v40
	v_add_u32_e32 v14, 6, v48
	v_addc_co_u32_e32 v3, vcc, 0, v41, vcc
	v_cmp_ne_u32_e32 vcc, 0, v14
                                        ; implicit-def: $vgpr11
	s_and_saveexec_b64 s[20:21], vcc
	s_xor_b64 s[20:21], exec, s[20:21]
; %bb.4276:                             ;   in Loop: Header=BB2_3724 Depth=2
	v_add_u32_e32 v11, 7, v48
	v_cmp_lt_u64_e32 vcc, s[46:47], v[2:3]
	v_cndmask_b32_e32 v11, v14, v11, vcc
	v_cndmask_b32_e64 v14, 0, 1, vcc
	v_lshrrev_b64 v[2:3], v14, v[2:3]
; %bb.4277:                             ;   in Loop: Header=BB2_3724 Depth=2
	s_andn2_saveexec_b64 s[20:21], s[20:21]
; %bb.4278:                             ;   in Loop: Header=BB2_3724 Depth=2
	v_bfe_u32 v11, v2, 23, 1
; %bb.4279:                             ;   in Loop: Header=BB2_3724 Depth=2
	s_or_b64 exec, exec, s[20:21]
	v_lshrrev_b64 v[2:3], 20, v[2:3]
	v_cmp_gt_i32_e32 vcc, 16, v11
	v_cndmask_b32_e32 v3, 0, v3, vcc
	v_cndmask_b32_e32 v2, 7, v2, vcc
	v_cmp_eq_u64_e64 s[20:21], 0, v[2:3]
	v_min_i32_e32 v3, 15, v11
	v_cmp_eq_u32_e32 vcc, 0, v11
	v_lshlrev_b32_e32 v3, 3, v3
	v_and_or_b32 v2, v2, 7, v3
	s_and_b64 s[20:21], vcc, s[20:21]
	v_cndmask_b32_e64 v2, v2, 0, s[20:21]
	v_or_b32_e32 v11, v2, v10
.LBB2_4280:                             ;   in Loop: Header=BB2_3724 Depth=2
	s_or_b64 exec, exec, s[62:63]
.LBB2_4281:                             ;   in Loop: Header=BB2_3724 Depth=2
	s_or_b64 exec, exec, s[60:61]
                                        ; implicit-def: $vgpr3
.LBB2_4282:                             ;   in Loop: Header=BB2_3724 Depth=2
	s_andn2_saveexec_b64 s[20:21], s[58:59]
; %bb.4283:                             ;   in Loop: Header=BB2_3724 Depth=2
	v_or_b32_sdwa v2, v3, s69 dst_sel:DWORD dst_unused:UNUSED_PAD src0_sel:BYTE_3 src1_sel:DWORD
	v_cmp_eq_u64_e32 vcc, 0, v[52:53]
	v_cndmask_b32_e32 v11, v2, v11, vcc
; %bb.4284:                             ;   in Loop: Header=BB2_3724 Depth=2
	s_or_b64 exec, exec, s[20:21]
	v_lshrrev_b32_e32 v10, 16, v17
	v_lshrrev_b32_e32 v2, 16, v13
	v_cmp_ne_u16_sdwa s[20:21], v10, v53 src0_sel:BYTE_0 src1_sel:DWORD
	s_and_b64 vcc, exec, s[56:57]
	s_cbranch_vccz .LBB2_4298
; %bb.4285:                             ;   in Loop: Header=BB2_3724 Depth=2
	v_mov_b32_e32 v14, 0
	v_mov_b32_e32 v3, 0
	s_and_saveexec_b64 s[58:59], s[20:21]
	s_cbranch_execz .LBB2_4291
; %bb.4286:                             ;   in Loop: Header=BB2_3724 Depth=2
	v_cmp_ne_u16_sdwa vcc, v10, s68 src0_sel:BYTE_0 src1_sel:DWORD
	v_bfrev_b32_e32 v3, 1
	s_and_saveexec_b64 s[60:61], vcc
	s_cbranch_execz .LBB2_4290
; %bb.4287:                             ;   in Loop: Header=BB2_3724 Depth=2
	v_bfe_u32 v48, v17, 16, 7
	v_cmp_ne_u32_e32 vcc, s69, v48
	v_mov_b32_e32 v3, 0x7f800001
	s_and_saveexec_b64 s[62:63], vcc
	s_cbranch_execz .LBB2_4289
; %bb.4288:                             ;   in Loop: Header=BB2_3724 Depth=2
	v_and_b32_e32 v3, 7, v10
	v_ffbh_u32_e32 v38, v3
	v_min_u32_e32 v51, 32, v38
	v_subrev_u32_e32 v38, 28, v51
	v_lshlrev_b64 v[38:39], v38, v[10:11]
	v_lshrrev_b32_e32 v49, 3, v48
	v_sub_u32_e32 v39, 29, v51
	v_and_b32_e32 v38, 7, v38
	v_cmp_gt_u32_e32 vcc, 8, v48
	v_cndmask_b32_e32 v39, v49, v39, vcc
	v_bfrev_b32_e32 v49, 60
	v_cndmask_b32_e32 v3, v3, v38, vcc
	v_lshlrev_b32_e32 v38, 24, v10
	v_lshlrev_b32_e32 v3, 20, v3
	v_and_b32_e32 v38, 0x80000000, v38
	v_lshl_add_u32 v39, v39, 23, v49
	v_or3_b32 v3, v38, v39, v3
.LBB2_4289:                             ;   in Loop: Header=BB2_3724 Depth=2
	s_or_b64 exec, exec, s[62:63]
.LBB2_4290:                             ;   in Loop: Header=BB2_3724 Depth=2
	s_or_b64 exec, exec, s[60:61]
.LBB2_4291:                             ;   in Loop: Header=BB2_3724 Depth=2
	s_or_b64 exec, exec, s[58:59]
	v_cmp_ne_u16_sdwa vcc, v2, v53 src0_sel:BYTE_0 src1_sel:DWORD
	s_and_saveexec_b64 s[58:59], vcc
	s_cbranch_execz .LBB2_4297
; %bb.4292:                             ;   in Loop: Header=BB2_3724 Depth=2
	v_cmp_ne_u16_sdwa vcc, v2, s68 src0_sel:BYTE_0 src1_sel:DWORD
	v_bfrev_b32_e32 v14, 1
	s_and_saveexec_b64 s[60:61], vcc
	s_cbranch_execz .LBB2_4296
; %bb.4293:                             ;   in Loop: Header=BB2_3724 Depth=2
	v_bfe_u32 v48, v13, 16, 7
	v_cmp_ne_u32_e32 vcc, s69, v48
	v_mov_b32_e32 v14, 0x7f800001
	s_and_saveexec_b64 s[62:63], vcc
	s_cbranch_execz .LBB2_4295
; %bb.4294:                             ;   in Loop: Header=BB2_3724 Depth=2
	v_and_b32_e32 v14, 7, v2
	v_ffbh_u32_e32 v38, v14
	v_min_u32_e32 v51, 32, v38
	v_subrev_u32_e32 v38, 28, v51
	v_lshlrev_b64 v[38:39], v38, v[2:3]
	v_lshrrev_b32_e32 v49, 3, v48
	v_sub_u32_e32 v39, 29, v51
	v_and_b32_e32 v38, 7, v38
	v_cmp_gt_u32_e32 vcc, 8, v48
	v_cndmask_b32_e32 v39, v49, v39, vcc
	v_bfrev_b32_e32 v49, 60
	v_cndmask_b32_e32 v14, v14, v38, vcc
	v_lshlrev_b32_e32 v38, 24, v2
	v_lshlrev_b32_e32 v14, 20, v14
	v_and_b32_e32 v38, 0x80000000, v38
	v_lshl_add_u32 v39, v39, 23, v49
	v_or3_b32 v14, v38, v39, v14
.LBB2_4295:                             ;   in Loop: Header=BB2_3724 Depth=2
	s_or_b64 exec, exec, s[62:63]
.LBB2_4296:                             ;   in Loop: Header=BB2_3724 Depth=2
	s_or_b64 exec, exec, s[60:61]
.LBB2_4297:                             ;   in Loop: Header=BB2_3724 Depth=2
	s_or_b64 exec, exec, s[58:59]
	v_max_f32_e32 v14, v14, v14
	v_max_f32_e32 v3, v3, v3
	;; [unrolled: 1-line block ×3, first 2 shown]
	s_branch .LBB2_4312
.LBB2_4298:                             ;   in Loop: Header=BB2_3724 Depth=2
                                        ; implicit-def: $vgpr3
	s_cbranch_execz .LBB2_4312
; %bb.4299:                             ;   in Loop: Header=BB2_3724 Depth=2
	v_mov_b32_e32 v14, 0
	v_mov_b32_e32 v3, 0
	s_and_saveexec_b64 s[58:59], s[20:21]
	s_cbranch_execz .LBB2_4305
; %bb.4300:                             ;   in Loop: Header=BB2_3724 Depth=2
	v_cmp_ne_u16_sdwa vcc, v10, s68 src0_sel:BYTE_0 src1_sel:DWORD
	v_bfrev_b32_e32 v3, 1
	s_and_saveexec_b64 s[20:21], vcc
	s_cbranch_execz .LBB2_4304
; %bb.4301:                             ;   in Loop: Header=BB2_3724 Depth=2
	v_bfe_u32 v48, v17, 16, 7
	v_cmp_ne_u32_e32 vcc, s69, v48
	v_mov_b32_e32 v3, 0x7f800001
	s_and_saveexec_b64 s[60:61], vcc
	s_cbranch_execz .LBB2_4303
; %bb.4302:                             ;   in Loop: Header=BB2_3724 Depth=2
	v_and_b32_e32 v3, 7, v10
	v_ffbh_u32_e32 v38, v3
	v_min_u32_e32 v51, 32, v38
	v_subrev_u32_e32 v38, 28, v51
	v_lshlrev_b64 v[38:39], v38, v[10:11]
	v_lshrrev_b32_e32 v49, 3, v48
	v_sub_u32_e32 v39, 29, v51
	v_and_b32_e32 v38, 7, v38
	v_cmp_gt_u32_e32 vcc, 8, v48
	v_cndmask_b32_e32 v39, v49, v39, vcc
	v_bfrev_b32_e32 v49, 60
	v_cndmask_b32_e32 v3, v3, v38, vcc
	v_lshlrev_b32_e32 v10, 24, v10
	v_lshlrev_b32_e32 v3, 20, v3
	v_and_b32_e32 v10, 0x80000000, v10
	v_lshl_add_u32 v38, v39, 23, v49
	v_or3_b32 v3, v10, v38, v3
.LBB2_4303:                             ;   in Loop: Header=BB2_3724 Depth=2
	s_or_b64 exec, exec, s[60:61]
.LBB2_4304:                             ;   in Loop: Header=BB2_3724 Depth=2
	s_or_b64 exec, exec, s[20:21]
.LBB2_4305:                             ;   in Loop: Header=BB2_3724 Depth=2
	s_or_b64 exec, exec, s[58:59]
	v_cmp_ne_u16_sdwa vcc, v2, v53 src0_sel:BYTE_0 src1_sel:DWORD
	s_and_saveexec_b64 s[20:21], vcc
	s_cbranch_execz .LBB2_4311
; %bb.4306:                             ;   in Loop: Header=BB2_3724 Depth=2
	v_cmp_ne_u16_sdwa vcc, v2, s68 src0_sel:BYTE_0 src1_sel:DWORD
	v_bfrev_b32_e32 v14, 1
	s_and_saveexec_b64 s[58:59], vcc
	s_cbranch_execz .LBB2_4310
; %bb.4307:                             ;   in Loop: Header=BB2_3724 Depth=2
	v_bfe_u32 v10, v13, 16, 7
	v_cmp_ne_u32_e32 vcc, s69, v10
	v_mov_b32_e32 v14, 0x7f800001
	s_and_saveexec_b64 s[60:61], vcc
	s_cbranch_execz .LBB2_4309
; %bb.4308:                             ;   in Loop: Header=BB2_3724 Depth=2
	v_and_b32_e32 v14, 7, v2
	v_ffbh_u32_e32 v38, v14
	v_min_u32_e32 v49, 32, v38
	v_subrev_u32_e32 v38, 28, v49
	v_lshlrev_b64 v[38:39], v38, v[2:3]
	v_lshrrev_b32_e32 v48, 3, v10
	v_sub_u32_e32 v39, 29, v49
	v_and_b32_e32 v38, 7, v38
	v_cmp_gt_u32_e32 vcc, 8, v10
	v_bfrev_b32_e32 v49, 60
	v_cndmask_b32_e32 v10, v48, v39, vcc
	v_cndmask_b32_e32 v14, v14, v38, vcc
	v_lshlrev_b32_e32 v2, 24, v2
	v_lshlrev_b32_e32 v14, 20, v14
	v_and_b32_e32 v2, 0x80000000, v2
	v_lshl_add_u32 v10, v10, 23, v49
	v_or3_b32 v14, v2, v10, v14
.LBB2_4309:                             ;   in Loop: Header=BB2_3724 Depth=2
	s_or_b64 exec, exec, s[60:61]
.LBB2_4310:                             ;   in Loop: Header=BB2_3724 Depth=2
	s_or_b64 exec, exec, s[58:59]
.LBB2_4311:                             ;   in Loop: Header=BB2_3724 Depth=2
	s_or_b64 exec, exec, s[20:21]
	v_max_f32_e32 v2, v14, v14
	v_max_f32_e32 v3, v3, v3
	v_min_f32_e32 v3, v3, v2
.LBB2_4312:                             ;   in Loop: Header=BB2_3724 Depth=2
	v_and_b32_sdwa v10, v3, s68 dst_sel:DWORD dst_unused:UNUSED_PAD src0_sel:BYTE_3 src1_sel:DWORD
	v_and_b32_e32 v38, 0x7f800000, v3
	v_mov_b32_e32 v39, v53
	v_and_b32_e32 v52, 0x7fffff, v3
	v_or_b32_e32 v14, 0x7e, v10
	v_cmp_ne_u64_e32 vcc, s[40:41], v[38:39]
	s_and_saveexec_b64 s[20:21], vcc
	s_xor_b64 s[58:59], exec, s[20:21]
	s_cbranch_execz .LBB2_4322
; %bb.4313:                             ;   in Loop: Header=BB2_3724 Depth=2
	v_and_b32_e32 v38, 0x7fffffff, v3
	v_mov_b32_e32 v39, v53
	v_cmp_gt_u64_e32 vcc, s[42:43], v[38:39]
	s_and_saveexec_b64 s[60:61], vcc
	s_cbranch_execz .LBB2_4321
; %bb.4314:                             ;   in Loop: Header=BB2_3724 Depth=2
	v_cmp_ne_u32_e32 vcc, 0, v3
	v_mov_b32_e32 v14, 0
	s_and_saveexec_b64 s[62:63], vcc
	s_cbranch_execz .LBB2_4320
; %bb.4315:                             ;   in Loop: Header=BB2_3724 Depth=2
	v_bfe_u32 v2, v3, 23, 8
	v_sub_u32_e32 v14, 0x79, v2
	v_cmp_gt_u32_e32 vcc, s72, v2
	v_add_u32_e32 v3, 0xffffff81, v2
	v_cndmask_b32_e32 v14, 0, v14, vcc
	v_cmp_eq_u32_e32 vcc, 0, v2
	v_mov_b32_e32 v2, 0xffffff82
	v_cndmask_b32_e32 v48, v3, v2, vcc
	v_mov_b32_e32 v2, 0x78
	v_or_b32_e32 v38, 0x800000, v52
	v_cndmask_b32_e32 v14, v14, v2, vcc
	v_cndmask_b32_e32 v52, v38, v52, vcc
	v_add_u32_e32 v2, 20, v14
	v_lshlrev_b64 v[2:3], v2, -1
	v_lshrrev_b64 v[40:41], v14, v[52:53]
	v_not_b32_e32 v3, v3
	v_not_b32_e32 v2, v2
	v_add_u32_e32 v38, 19, v14
	v_lshrrev_b32_e32 v49, 23, v40
	v_and_b32_e32 v3, 0, v3
	v_and_b32_e32 v2, v52, v2
	v_lshlrev_b64 v[38:39], v38, 1
	v_add3_u32 v48, v14, v48, v49
	v_bfe_u32 v14, v40, 20, 1
	v_add_u32_e32 v14, -1, v14
	v_cmp_eq_u64_e32 vcc, v[2:3], v[38:39]
	v_cndmask_b32_e32 v2, 0, v14, vcc
	v_add_u32_e32 v2, v2, v40
	v_and_b32_e32 v2, 0xfffff, v2
	v_add_co_u32_e32 v2, vcc, v2, v40
	v_add_u32_e32 v52, 6, v48
	v_addc_co_u32_e32 v3, vcc, 0, v41, vcc
	v_cmp_ne_u32_e32 vcc, 0, v52
                                        ; implicit-def: $vgpr14
	s_and_saveexec_b64 s[20:21], vcc
	s_xor_b64 s[20:21], exec, s[20:21]
; %bb.4316:                             ;   in Loop: Header=BB2_3724 Depth=2
	v_cmp_lt_u64_e32 vcc, s[46:47], v[2:3]
	v_add_u32_e32 v14, 7, v48
	v_cndmask_b32_e64 v38, 0, 1, vcc
	v_cndmask_b32_e32 v14, v52, v14, vcc
	v_lshrrev_b64 v[2:3], v38, v[2:3]
; %bb.4317:                             ;   in Loop: Header=BB2_3724 Depth=2
	s_andn2_saveexec_b64 s[20:21], s[20:21]
; %bb.4318:                             ;   in Loop: Header=BB2_3724 Depth=2
	v_bfe_u32 v14, v2, 23, 1
; %bb.4319:                             ;   in Loop: Header=BB2_3724 Depth=2
	s_or_b64 exec, exec, s[20:21]
	v_lshrrev_b64 v[2:3], 20, v[2:3]
	v_cmp_gt_i32_e32 vcc, 16, v14
	v_cndmask_b32_e32 v3, 0, v3, vcc
	v_cndmask_b32_e32 v2, 7, v2, vcc
	v_cmp_eq_u64_e64 s[20:21], 0, v[2:3]
	v_min_i32_e32 v3, 15, v14
	v_lshlrev_b32_e32 v3, 3, v3
	v_cmp_eq_u32_e32 vcc, 0, v14
	v_and_b32_e32 v3, 0xf8, v3
	v_and_or_b32 v2, v2, 7, v3
	s_and_b64 s[20:21], vcc, s[20:21]
	v_cndmask_b32_e64 v2, v2, 0, s[20:21]
	v_or_b32_e32 v14, v2, v10
	v_bfrev_b32_e32 v49, 60
.LBB2_4320:                             ;   in Loop: Header=BB2_3724 Depth=2
	s_or_b64 exec, exec, s[62:63]
.LBB2_4321:                             ;   in Loop: Header=BB2_3724 Depth=2
	s_or_b64 exec, exec, s[60:61]
                                        ; implicit-def: $vgpr3
.LBB2_4322:                             ;   in Loop: Header=BB2_3724 Depth=2
	s_andn2_saveexec_b64 s[20:21], s[58:59]
; %bb.4323:                             ;   in Loop: Header=BB2_3724 Depth=2
	v_or_b32_sdwa v2, v3, s69 dst_sel:DWORD dst_unused:UNUSED_PAD src0_sel:BYTE_3 src1_sel:DWORD
	v_cmp_eq_u64_e32 vcc, 0, v[52:53]
	v_cndmask_b32_e32 v14, v2, v14, vcc
; %bb.4324:                             ;   in Loop: Header=BB2_3724 Depth=2
	s_or_b64 exec, exec, s[20:21]
	v_lshrrev_b32_e32 v10, 24, v17
	v_lshrrev_b32_e32 v2, 24, v13
	v_cmp_lt_u64_e64 s[20:21], s[44:45], v[16:17]
	s_and_b64 vcc, exec, s[56:57]
	s_cbranch_vccz .LBB2_4338
; %bb.4325:                             ;   in Loop: Header=BB2_3724 Depth=2
	v_mov_b32_e32 v16, 0
	v_mov_b32_e32 v3, 0
	s_and_saveexec_b64 s[58:59], s[20:21]
	s_cbranch_execz .LBB2_4331
; %bb.4326:                             ;   in Loop: Header=BB2_3724 Depth=2
	v_cmp_ne_u32_e32 vcc, s68, v10
	v_bfrev_b32_e32 v3, 1
	s_and_saveexec_b64 s[60:61], vcc
	s_cbranch_execz .LBB2_4330
; %bb.4327:                             ;   in Loop: Header=BB2_3724 Depth=2
	v_bfe_u32 v48, v17, 24, 7
	v_cmp_ne_u32_e32 vcc, s69, v48
	v_mov_b32_e32 v3, 0x7f800001
	s_and_saveexec_b64 s[62:63], vcc
	s_cbranch_execz .LBB2_4329
; %bb.4328:                             ;   in Loop: Header=BB2_3724 Depth=2
	v_and_b32_e32 v3, 7, v10
	v_ffbh_u32_e32 v38, v3
	v_min_u32_e32 v51, 32, v38
	v_subrev_u32_e32 v38, 28, v51
	v_lshlrev_b64 v[38:39], v38, v[10:11]
	v_lshrrev_b32_e32 v49, 3, v48
	v_sub_u32_e32 v39, 29, v51
	v_and_b32_e32 v38, 7, v38
	v_cmp_gt_u32_e32 vcc, 8, v48
	v_cndmask_b32_e32 v39, v49, v39, vcc
	v_bfrev_b32_e32 v49, 60
	v_cndmask_b32_e32 v3, v3, v38, vcc
	v_lshlrev_b32_e32 v38, 24, v10
	v_lshlrev_b32_e32 v3, 20, v3
	v_and_b32_e32 v38, 0x80000000, v38
	v_lshl_add_u32 v39, v39, 23, v49
	v_or3_b32 v3, v38, v39, v3
.LBB2_4329:                             ;   in Loop: Header=BB2_3724 Depth=2
	s_or_b64 exec, exec, s[62:63]
.LBB2_4330:                             ;   in Loop: Header=BB2_3724 Depth=2
	s_or_b64 exec, exec, s[60:61]
.LBB2_4331:                             ;   in Loop: Header=BB2_3724 Depth=2
	s_or_b64 exec, exec, s[58:59]
	v_cmp_lt_u64_e32 vcc, s[44:45], v[12:13]
	s_and_saveexec_b64 s[58:59], vcc
	s_cbranch_execz .LBB2_4337
; %bb.4332:                             ;   in Loop: Header=BB2_3724 Depth=2
	v_cmp_ne_u32_e32 vcc, s68, v2
	v_bfrev_b32_e32 v16, 1
	s_and_saveexec_b64 s[60:61], vcc
	s_cbranch_execz .LBB2_4336
; %bb.4333:                             ;   in Loop: Header=BB2_3724 Depth=2
	v_bfe_u32 v48, v13, 24, 7
	v_cmp_ne_u32_e32 vcc, s69, v48
	v_mov_b32_e32 v16, 0x7f800001
	s_and_saveexec_b64 s[62:63], vcc
	s_cbranch_execz .LBB2_4335
; %bb.4334:                             ;   in Loop: Header=BB2_3724 Depth=2
	v_and_b32_e32 v16, 7, v2
	v_ffbh_u32_e32 v38, v16
	v_min_u32_e32 v51, 32, v38
	v_subrev_u32_e32 v38, 28, v51
	v_lshlrev_b64 v[38:39], v38, v[2:3]
	v_lshrrev_b32_e32 v49, 3, v48
	v_sub_u32_e32 v39, 29, v51
	v_and_b32_e32 v38, 7, v38
	v_cmp_gt_u32_e32 vcc, 8, v48
	v_cndmask_b32_e32 v39, v49, v39, vcc
	v_bfrev_b32_e32 v49, 60
	v_cndmask_b32_e32 v16, v16, v38, vcc
	v_lshlrev_b32_e32 v38, 24, v2
	v_lshlrev_b32_e32 v16, 20, v16
	v_and_b32_e32 v38, 0x80000000, v38
	v_lshl_add_u32 v39, v39, 23, v49
	v_or3_b32 v16, v38, v39, v16
.LBB2_4335:                             ;   in Loop: Header=BB2_3724 Depth=2
	s_or_b64 exec, exec, s[62:63]
.LBB2_4336:                             ;   in Loop: Header=BB2_3724 Depth=2
	s_or_b64 exec, exec, s[60:61]
.LBB2_4337:                             ;   in Loop: Header=BB2_3724 Depth=2
	s_or_b64 exec, exec, s[58:59]
	v_max_f32_e32 v16, v16, v16
	v_max_f32_e32 v3, v3, v3
	;; [unrolled: 1-line block ×3, first 2 shown]
	s_branch .LBB2_4352
.LBB2_4338:                             ;   in Loop: Header=BB2_3724 Depth=2
                                        ; implicit-def: $vgpr3
	s_cbranch_execz .LBB2_4352
; %bb.4339:                             ;   in Loop: Header=BB2_3724 Depth=2
	v_mov_b32_e32 v16, 0
	v_mov_b32_e32 v3, 0
	s_and_saveexec_b64 s[58:59], s[20:21]
	s_cbranch_execz .LBB2_4345
; %bb.4340:                             ;   in Loop: Header=BB2_3724 Depth=2
	v_cmp_ne_u32_e32 vcc, s68, v10
	v_bfrev_b32_e32 v3, 1
	s_and_saveexec_b64 s[20:21], vcc
	s_cbranch_execz .LBB2_4344
; %bb.4341:                             ;   in Loop: Header=BB2_3724 Depth=2
	v_bfe_u32 v17, v17, 24, 7
	v_cmp_ne_u32_e32 vcc, s69, v17
	v_mov_b32_e32 v3, 0x7f800001
	s_and_saveexec_b64 s[60:61], vcc
	s_cbranch_execz .LBB2_4343
; %bb.4342:                             ;   in Loop: Header=BB2_3724 Depth=2
	v_and_b32_e32 v3, 7, v10
	v_ffbh_u32_e32 v38, v3
	v_min_u32_e32 v49, 32, v38
	v_subrev_u32_e32 v38, 28, v49
	v_lshlrev_b64 v[38:39], v38, v[10:11]
	v_lshrrev_b32_e32 v48, 3, v17
	v_sub_u32_e32 v39, 29, v49
	v_and_b32_e32 v38, 7, v38
	v_cmp_gt_u32_e32 vcc, 8, v17
	v_bfrev_b32_e32 v49, 60
	v_cndmask_b32_e32 v17, v48, v39, vcc
	v_cndmask_b32_e32 v3, v3, v38, vcc
	v_lshlrev_b32_e32 v10, 24, v10
	v_lshlrev_b32_e32 v3, 20, v3
	v_and_b32_e32 v10, 0x80000000, v10
	v_lshl_add_u32 v17, v17, 23, v49
	v_or3_b32 v3, v10, v17, v3
.LBB2_4343:                             ;   in Loop: Header=BB2_3724 Depth=2
	s_or_b64 exec, exec, s[60:61]
.LBB2_4344:                             ;   in Loop: Header=BB2_3724 Depth=2
	s_or_b64 exec, exec, s[20:21]
.LBB2_4345:                             ;   in Loop: Header=BB2_3724 Depth=2
	s_or_b64 exec, exec, s[58:59]
	v_cmp_lt_u64_e32 vcc, s[44:45], v[12:13]
	s_and_saveexec_b64 s[20:21], vcc
	s_cbranch_execz .LBB2_4351
; %bb.4346:                             ;   in Loop: Header=BB2_3724 Depth=2
	v_cmp_ne_u32_e32 vcc, s68, v2
	v_bfrev_b32_e32 v16, 1
	s_and_saveexec_b64 s[58:59], vcc
	s_cbranch_execz .LBB2_4350
; %bb.4347:                             ;   in Loop: Header=BB2_3724 Depth=2
	v_bfe_u32 v10, v13, 24, 7
	v_cmp_ne_u32_e32 vcc, s69, v10
	v_mov_b32_e32 v16, 0x7f800001
	s_and_saveexec_b64 s[60:61], vcc
	s_cbranch_execz .LBB2_4349
; %bb.4348:                             ;   in Loop: Header=BB2_3724 Depth=2
	v_and_b32_e32 v16, 7, v2
	v_ffbh_u32_e32 v12, v16
	v_min_u32_e32 v38, 32, v12
	v_subrev_u32_e32 v12, 28, v38
	v_lshlrev_b64 v[12:13], v12, v[2:3]
	v_lshrrev_b32_e32 v17, 3, v10
	v_sub_u32_e32 v13, 29, v38
	v_and_b32_e32 v12, 7, v12
	v_cmp_gt_u32_e32 vcc, 8, v10
	v_cndmask_b32_e32 v10, v17, v13, vcc
	v_cndmask_b32_e32 v12, v16, v12, vcc
	v_lshlrev_b32_e32 v2, 24, v2
	v_lshlrev_b32_e32 v12, 20, v12
	v_and_b32_e32 v2, 0x80000000, v2
	v_lshl_add_u32 v10, v10, 23, v49
	v_or3_b32 v16, v2, v10, v12
.LBB2_4349:                             ;   in Loop: Header=BB2_3724 Depth=2
	s_or_b64 exec, exec, s[60:61]
.LBB2_4350:                             ;   in Loop: Header=BB2_3724 Depth=2
	s_or_b64 exec, exec, s[58:59]
.LBB2_4351:                             ;   in Loop: Header=BB2_3724 Depth=2
	s_or_b64 exec, exec, s[20:21]
	v_max_f32_e32 v2, v16, v16
	v_max_f32_e32 v3, v3, v3
	v_min_f32_e32 v3, v3, v2
.LBB2_4352:                             ;   in Loop: Header=BB2_3724 Depth=2
	v_and_b32_sdwa v10, v3, s68 dst_sel:DWORD dst_unused:UNUSED_PAD src0_sel:BYTE_3 src1_sel:DWORD
	v_and_b32_e32 v12, 0x7f800000, v3
	v_mov_b32_e32 v13, v53
	v_and_b32_e32 v52, 0x7fffff, v3
	v_or_b32_e32 v2, 0x7e, v10
	v_cmp_ne_u64_e32 vcc, s[40:41], v[12:13]
	s_and_saveexec_b64 s[20:21], vcc
	s_xor_b64 s[58:59], exec, s[20:21]
	s_cbranch_execz .LBB2_4362
; %bb.4353:                             ;   in Loop: Header=BB2_3724 Depth=2
	v_and_b32_e32 v12, 0x7fffffff, v3
	v_mov_b32_e32 v13, v53
	v_cmp_gt_u64_e32 vcc, s[42:43], v[12:13]
	s_and_saveexec_b64 s[60:61], vcc
	s_cbranch_execz .LBB2_4361
; %bb.4354:                             ;   in Loop: Header=BB2_3724 Depth=2
	v_cmp_ne_u32_e32 vcc, 0, v3
	v_mov_b32_e32 v2, 0
	s_and_saveexec_b64 s[62:63], vcc
	s_cbranch_execz .LBB2_4360
; %bb.4355:                             ;   in Loop: Header=BB2_3724 Depth=2
	v_bfe_u32 v2, v3, 23, 8
	v_sub_u32_e32 v12, 0x79, v2
	v_cmp_gt_u32_e32 vcc, s72, v2
	v_add_u32_e32 v3, 0xffffff81, v2
	v_cndmask_b32_e32 v12, 0, v12, vcc
	v_cmp_eq_u32_e32 vcc, 0, v2
	v_mov_b32_e32 v2, 0xffffff82
	v_cndmask_b32_e32 v16, v3, v2, vcc
	v_mov_b32_e32 v2, 0x78
	v_or_b32_e32 v13, 0x800000, v52
	v_cndmask_b32_e32 v12, v12, v2, vcc
	v_cndmask_b32_e32 v52, v13, v52, vcc
	v_add_u32_e32 v2, 20, v12
	v_lshlrev_b64 v[2:3], v2, -1
	v_add_u32_e32 v13, 19, v12
	v_lshrrev_b64 v[48:49], v12, v[52:53]
	v_not_b32_e32 v3, v3
	v_not_b32_e32 v2, v2
	v_lshlrev_b64 v[38:39], v13, 1
	v_lshrrev_b32_e32 v13, 23, v48
	v_and_b32_e32 v3, 0, v3
	v_and_b32_e32 v2, v52, v2
	v_add3_u32 v16, v12, v16, v13
	v_bfe_u32 v12, v48, 20, 1
	v_add_u32_e32 v12, -1, v12
	v_cmp_eq_u64_e32 vcc, v[2:3], v[38:39]
	v_cndmask_b32_e32 v2, 0, v12, vcc
	v_add_u32_e32 v2, v2, v48
	v_and_b32_e32 v2, 0xfffff, v2
	v_add_co_u32_e32 v2, vcc, v2, v48
	v_add_u32_e32 v13, 6, v16
	v_addc_co_u32_e32 v3, vcc, 0, v49, vcc
	v_cmp_ne_u32_e32 vcc, 0, v13
                                        ; implicit-def: $vgpr12
	s_and_saveexec_b64 s[20:21], vcc
	s_xor_b64 s[20:21], exec, s[20:21]
; %bb.4356:                             ;   in Loop: Header=BB2_3724 Depth=2
	v_add_u32_e32 v12, 7, v16
	v_cmp_lt_u64_e32 vcc, s[46:47], v[2:3]
	v_cndmask_b32_e32 v12, v13, v12, vcc
	v_cndmask_b32_e64 v13, 0, 1, vcc
	v_lshrrev_b64 v[2:3], v13, v[2:3]
; %bb.4357:                             ;   in Loop: Header=BB2_3724 Depth=2
	s_andn2_saveexec_b64 s[20:21], s[20:21]
; %bb.4358:                             ;   in Loop: Header=BB2_3724 Depth=2
	v_bfe_u32 v12, v2, 23, 1
; %bb.4359:                             ;   in Loop: Header=BB2_3724 Depth=2
	s_or_b64 exec, exec, s[20:21]
	v_lshrrev_b64 v[2:3], 20, v[2:3]
	v_cmp_gt_i32_e32 vcc, 16, v12
	v_cndmask_b32_e32 v3, 0, v3, vcc
	v_cndmask_b32_e32 v2, 7, v2, vcc
	v_cmp_eq_u64_e64 s[20:21], 0, v[2:3]
	v_min_i32_e32 v3, 15, v12
	v_lshlrev_b32_e32 v3, 3, v3
	v_cmp_eq_u32_e32 vcc, 0, v12
	v_and_b32_e32 v3, 0xf8, v3
	v_and_or_b32 v2, v2, 7, v3
	s_and_b64 s[20:21], vcc, s[20:21]
	v_cndmask_b32_e64 v2, v2, 0, s[20:21]
	v_or_b32_e32 v2, v2, v10
	v_bfrev_b32_e32 v49, 60
.LBB2_4360:                             ;   in Loop: Header=BB2_3724 Depth=2
	s_or_b64 exec, exec, s[62:63]
.LBB2_4361:                             ;   in Loop: Header=BB2_3724 Depth=2
	s_or_b64 exec, exec, s[60:61]
                                        ; implicit-def: $vgpr3
.LBB2_4362:                             ;   in Loop: Header=BB2_3724 Depth=2
	s_andn2_saveexec_b64 s[20:21], s[58:59]
	s_cbranch_execz .LBB2_3723
; %bb.4363:                             ;   in Loop: Header=BB2_3724 Depth=2
	v_or_b32_sdwa v3, v3, s69 dst_sel:DWORD dst_unused:UNUSED_PAD src0_sel:BYTE_3 src1_sel:DWORD
	v_cmp_eq_u64_e32 vcc, 0, v[52:53]
	v_cndmask_b32_e32 v2, v3, v2, vcc
	s_branch .LBB2_3723
.LBB2_4364:                             ;   in Loop: Header=BB2_2366 Depth=1
	s_or_b64 exec, exec, s[54:55]
.LBB2_4365:                             ;   in Loop: Header=BB2_2366 Depth=1
	s_or_b64 exec, exec, s[52:53]
	v_accvgpr_read_b32 v0, a35
	v_and_b32_e32 v3, 15, v0
	v_cndmask_b32_e64 v1, v31, v3, s[18:19]
	s_mov_b64 s[20:21], 0
	v_mov_b32_e32 v0, 0
	v_cmp_ne_u32_e32 vcc, 0, v1
                                        ; implicit-def: $vgpr17
                                        ; implicit-def: $vgpr2
	s_mov_b64 s[52:53], exec
	v_accvgpr_read_b32 v35, a11
	s_and_b64 vcc, s[52:53], vcc
	v_accvgpr_read_b32 v34, a10
	s_mov_b64 exec, vcc
	s_cbranch_execz .LBB2_4367
; %bb.4366:                             ;   in Loop: Header=BB2_2366 Depth=1
	v_accvgpr_read_b32 v0, a35
	v_sub_u32_e32 v2, v31, v3
	v_and_b32_e32 v0, 0x3ffffc00, v0
	v_cndmask_b32_e64 v2, 0, v2, s[18:19]
	v_cmp_lt_i32_e32 vcc, 0, v30
	v_add_u32_e32 v0, v2, v0
	v_cndmask_b32_e32 v2, 0, v60, vcc
	v_sub_u32_e32 v2, v2, v30
	v_lshl_add_u32 v17, v2, 6, v29
	v_ashrrev_i32_e32 v2, 31, v17
	v_lshrrev_b32_e32 v2, 26, v2
	v_add_u32_e32 v2, v17, v2
	s_mov_b64 s[20:21], exec
	v_ashrrev_i32_e32 v2, 6, v2
.LBB2_4367:                             ;   in Loop: Header=BB2_2366 Depth=1
	s_or_b64 exec, exec, s[52:53]
	s_and_b64 s[18:19], s[20:21], exec
.LBB2_4368:                             ;   in Loop: Header=BB2_2366 Depth=1
	s_or_b64 exec, exec, s[22:23]
	v_accvgpr_read_b32 v45, a7
	v_accvgpr_read_b32 v44, a6
	s_and_saveexec_b64 s[52:53], s[18:19]
	s_cbranch_execz .LBB2_4597
.LBB2_4369:                             ;   in Loop: Header=BB2_2366 Depth=1
	v_ashrrev_i32_e32 v3, 31, v1
	v_add_u32_sdwa v3, v1, v3 dst_sel:DWORD dst_unused:UNUSED_PAD src0_sel:DWORD src1_sel:BYTE_3
	v_ashrrev_i32_e32 v20, 8, v3
	v_sub_u32_e32 v18, v20, v2
	v_ashrrev_i32_e32 v3, 31, v17
	v_cmp_lt_i32_e32 vcc, 0, v18
	v_lshrrev_b32_e32 v19, 26, v3
	s_and_saveexec_b64 s[22:23], vcc
	s_cbranch_execz .LBB2_4549
; %bb.4370:                             ;   in Loop: Header=BB2_2366 Depth=1
	v_add_u32_e32 v3, v17, v19
	v_and_b32_e32 v3, 0xffffffc0, v3
	s_trap 2
	v_sub_u32_e32 v10, v17, v3
	v_lshlrev_b32_e32 v11, 8, v2
	ds_read_b128 v[2:5], v0
	ds_read_b64 v[14:15], v0
	v_add3_u32 v16, v0, v10, v11
	v_ashrrev_i32_e32 v21, 31, v16
	s_bitcmp1_b32 s64, 0
	s_waitcnt lgkmcnt(0)
	v_add_co_u32_e32 v10, vcc, v2, v16
	v_addc_co_u32_e32 v11, vcc, v3, v21, vcc
	v_add_co_u32_e32 v12, vcc, v4, v16
	v_addc_co_u32_e32 v13, vcc, v5, v21, vcc
	s_waitcnt lgkmcnt(0)
	v_add_co_u32_e32 v14, vcc, v14, v16
	v_addc_co_u32_e32 v15, vcc, v15, v21, vcc
	s_mov_b64 s[54:55], 0
	s_cselect_b64 s[56:57], -1, 0
	s_branch .LBB2_4372
.LBB2_4371:                             ;   in Loop: Header=BB2_4372 Depth=2
	s_or_b64 exec, exec, s[18:19]
	v_accvgpr_read_b32 v2, a29
	flat_store_byte v[14:15], v21 glc slc
	flat_store_byte v[14:15], v24 offset:64 glc slc
	flat_store_byte v[14:15], v22 offset:128 glc slc
	;; [unrolled: 1-line block ×3, first 2 shown]
	v_add_co_u32_e32 v10, vcc, v10, v2
	v_accvgpr_read_b32 v3, a30
	v_addc_co_u32_e32 v11, vcc, v11, v3, vcc
	v_add_co_u32_e32 v12, vcc, v12, v2
	v_addc_co_u32_e32 v13, vcc, v13, v3, vcc
	v_sub_u32_e32 v18, v18, v60
	v_cmp_gt_i32_e32 vcc, 1, v18
	s_or_b64 s[54:55], vcc, s[54:55]
	v_add_co_u32_e32 v14, vcc, v14, v2
	v_addc_co_u32_e32 v15, vcc, v15, v3, vcc
	s_andn2_b64 exec, exec, s[54:55]
	s_cbranch_execz .LBB2_4548
.LBB2_4372:                             ;   Parent Loop BB2_2366 Depth=1
                                        ; =>  This Inner Loop Header: Depth=2
	flat_load_ubyte v16, v[10:11] glc slc
	flat_load_ubyte v25, v[10:11] offset:64 glc slc
	flat_load_ubyte v23, v[10:11] offset:128 glc slc
	;; [unrolled: 1-line block ×3, first 2 shown]
	flat_load_ubyte v3, v[12:13] glc slc
	flat_load_ubyte v24, v[12:13] offset:64 glc slc
	flat_load_ubyte v22, v[12:13] offset:128 glc slc
	;; [unrolled: 1-line block ×3, first 2 shown]
	s_and_b64 vcc, exec, s[56:57]
	s_waitcnt vmcnt(0) lgkmcnt(0)
	v_cmp_ne_u16_e64 s[18:19], 0, v16
	s_cbranch_vccz .LBB2_4386
; %bb.4373:                             ;   in Loop: Header=BB2_4372 Depth=2
	v_mov_b32_e32 v21, 0
	v_mov_b32_e32 v26, 0
	s_and_saveexec_b64 s[20:21], s[18:19]
	s_cbranch_execz .LBB2_4379
; %bb.4374:                             ;   in Loop: Header=BB2_4372 Depth=2
	v_cmp_ne_u16_e32 vcc, s68, v16
	v_bfrev_b32_e32 v26, 1
	s_and_saveexec_b64 s[58:59], vcc
	s_cbranch_execz .LBB2_4378
; %bb.4375:                             ;   in Loop: Header=BB2_4372 Depth=2
	v_and_b32_e32 v2, 0xffff, v16
	v_and_b32_e32 v27, 0x7f, v2
	v_cmp_ne_u32_e32 vcc, s69, v27
	v_mov_b32_e32 v26, 0x7f800001
	s_and_saveexec_b64 s[60:61], vcc
	s_cbranch_execz .LBB2_4377
; %bb.4376:                             ;   in Loop: Header=BB2_4372 Depth=2
	v_and_b32_e32 v26, 7, v2
	v_ffbh_u32_e32 v28, v26
	v_min_u32_e32 v31, 32, v28
	v_subrev_u32_e32 v28, 28, v31
	v_lshlrev_b64 v[28:29], v28, v[2:3]
	v_lshrrev_b32_e32 v30, 3, v27
	v_sub_u32_e32 v2, 29, v31
	v_and_b32_e32 v28, 7, v28
	v_cmp_gt_u32_e32 vcc, 8, v27
	v_cndmask_b32_e32 v2, v30, v2, vcc
	v_cndmask_b32_e32 v26, v26, v28, vcc
	v_lshlrev_b32_e32 v27, 24, v16
	v_lshlrev_b32_e32 v26, 20, v26
	v_and_b32_e32 v27, 0x80000000, v27
	v_lshl_add_u32 v2, v2, 23, v49
	v_or3_b32 v26, v27, v2, v26
.LBB2_4377:                             ;   in Loop: Header=BB2_4372 Depth=2
	s_or_b64 exec, exec, s[60:61]
.LBB2_4378:                             ;   in Loop: Header=BB2_4372 Depth=2
	s_or_b64 exec, exec, s[58:59]
.LBB2_4379:                             ;   in Loop: Header=BB2_4372 Depth=2
	s_or_b64 exec, exec, s[20:21]
	v_and_b32_e32 v2, 0xff, v3
	v_cmp_ne_u16_e32 vcc, 0, v2
	s_and_saveexec_b64 s[20:21], vcc
	s_cbranch_execz .LBB2_4385
; %bb.4380:                             ;   in Loop: Header=BB2_4372 Depth=2
	v_cmp_ne_u16_e32 vcc, s68, v2
	v_bfrev_b32_e32 v21, 1
	s_and_saveexec_b64 s[58:59], vcc
	s_cbranch_execz .LBB2_4384
; %bb.4381:                             ;   in Loop: Header=BB2_4372 Depth=2
	v_and_b32_e32 v27, 0x7f, v3
	v_cmp_ne_u32_e32 vcc, s69, v27
	v_mov_b32_e32 v21, 0x7f800001
	s_and_saveexec_b64 s[60:61], vcc
	s_cbranch_execz .LBB2_4383
; %bb.4382:                             ;   in Loop: Header=BB2_4372 Depth=2
	v_and_b32_e32 v21, 7, v2
	v_ffbh_u32_e32 v28, v21
	v_min_u32_e32 v31, 32, v28
	v_subrev_u32_e32 v28, 28, v31
	v_lshlrev_b64 v[28:29], v28, v[2:3]
	v_lshrrev_b32_e32 v30, 3, v27
	v_sub_u32_e32 v2, 29, v31
	v_and_b32_e32 v28, 7, v28
	v_cmp_gt_u32_e32 vcc, 8, v27
	v_cndmask_b32_e32 v2, v30, v2, vcc
	v_cndmask_b32_e32 v21, v21, v28, vcc
	v_lshlrev_b32_e32 v27, 24, v3
	v_lshlrev_b32_e32 v21, 20, v21
	v_and_b32_e32 v27, 0x80000000, v27
	v_lshl_add_u32 v2, v2, 23, v49
	v_or3_b32 v21, v27, v2, v21
.LBB2_4383:                             ;   in Loop: Header=BB2_4372 Depth=2
	s_or_b64 exec, exec, s[60:61]
.LBB2_4384:                             ;   in Loop: Header=BB2_4372 Depth=2
	s_or_b64 exec, exec, s[58:59]
.LBB2_4385:                             ;   in Loop: Header=BB2_4372 Depth=2
	s_or_b64 exec, exec, s[20:21]
	v_max_f32_e32 v2, v21, v21
	v_max_f32_e32 v21, v26, v26
	;; [unrolled: 1-line block ×3, first 2 shown]
	s_branch .LBB2_4400
.LBB2_4386:                             ;   in Loop: Header=BB2_4372 Depth=2
                                        ; implicit-def: $vgpr2
	s_cbranch_execz .LBB2_4400
; %bb.4387:                             ;   in Loop: Header=BB2_4372 Depth=2
	v_mov_b32_e32 v21, 0
	v_mov_b32_e32 v26, 0
	s_and_saveexec_b64 s[20:21], s[18:19]
	s_cbranch_execz .LBB2_4393
; %bb.4388:                             ;   in Loop: Header=BB2_4372 Depth=2
	v_cmp_ne_u16_e32 vcc, s68, v16
	v_bfrev_b32_e32 v26, 1
	s_and_saveexec_b64 s[18:19], vcc
	s_cbranch_execz .LBB2_4392
; %bb.4389:                             ;   in Loop: Header=BB2_4372 Depth=2
	v_and_b32_e32 v2, 0xffff, v16
	v_and_b32_e32 v27, 0x7f, v2
	v_cmp_ne_u32_e32 vcc, s69, v27
	v_mov_b32_e32 v26, 0x7f800001
	s_and_saveexec_b64 s[58:59], vcc
	s_cbranch_execz .LBB2_4391
; %bb.4390:                             ;   in Loop: Header=BB2_4372 Depth=2
	v_and_b32_e32 v26, 7, v2
	v_ffbh_u32_e32 v28, v26
	v_min_u32_e32 v31, 32, v28
	v_subrev_u32_e32 v28, 28, v31
	v_lshlrev_b64 v[28:29], v28, v[2:3]
	v_lshrrev_b32_e32 v30, 3, v27
	v_sub_u32_e32 v2, 29, v31
	v_and_b32_e32 v28, 7, v28
	v_cmp_gt_u32_e32 vcc, 8, v27
	v_cndmask_b32_e32 v2, v30, v2, vcc
	v_cndmask_b32_e32 v26, v26, v28, vcc
	v_lshlrev_b32_e32 v16, 24, v16
	v_lshlrev_b32_e32 v26, 20, v26
	v_and_b32_e32 v16, 0x80000000, v16
	v_lshl_add_u32 v2, v2, 23, v49
	v_or3_b32 v26, v16, v2, v26
.LBB2_4391:                             ;   in Loop: Header=BB2_4372 Depth=2
	s_or_b64 exec, exec, s[58:59]
.LBB2_4392:                             ;   in Loop: Header=BB2_4372 Depth=2
	s_or_b64 exec, exec, s[18:19]
.LBB2_4393:                             ;   in Loop: Header=BB2_4372 Depth=2
	s_or_b64 exec, exec, s[20:21]
	v_and_b32_e32 v2, 0xff, v3
	v_cmp_ne_u16_e32 vcc, 0, v2
	s_and_saveexec_b64 s[18:19], vcc
	s_cbranch_execz .LBB2_4399
; %bb.4394:                             ;   in Loop: Header=BB2_4372 Depth=2
	v_cmp_ne_u16_e32 vcc, s68, v2
	v_bfrev_b32_e32 v21, 1
	s_and_saveexec_b64 s[20:21], vcc
	s_cbranch_execz .LBB2_4398
; %bb.4395:                             ;   in Loop: Header=BB2_4372 Depth=2
	v_and_b32_e32 v16, 0x7f, v3
	v_cmp_ne_u32_e32 vcc, s69, v16
	v_mov_b32_e32 v21, 0x7f800001
	s_and_saveexec_b64 s[58:59], vcc
	s_cbranch_execz .LBB2_4397
; %bb.4396:                             ;   in Loop: Header=BB2_4372 Depth=2
	v_and_b32_e32 v21, 7, v2
	v_ffbh_u32_e32 v28, v21
	v_min_u32_e32 v30, 32, v28
	v_subrev_u32_e32 v28, 28, v30
	v_lshlrev_b64 v[28:29], v28, v[2:3]
	v_lshrrev_b32_e32 v27, 3, v16
	v_sub_u32_e32 v2, 29, v30
	v_and_b32_e32 v28, 7, v28
	v_cmp_gt_u32_e32 vcc, 8, v16
	v_cndmask_b32_e32 v2, v27, v2, vcc
	v_cndmask_b32_e32 v16, v21, v28, vcc
	v_lshlrev_b32_e32 v3, 24, v3
	v_lshlrev_b32_e32 v16, 20, v16
	v_and_b32_e32 v3, 0x80000000, v3
	v_lshl_add_u32 v2, v2, 23, v49
	v_or3_b32 v21, v3, v2, v16
.LBB2_4397:                             ;   in Loop: Header=BB2_4372 Depth=2
	s_or_b64 exec, exec, s[58:59]
.LBB2_4398:                             ;   in Loop: Header=BB2_4372 Depth=2
	s_or_b64 exec, exec, s[20:21]
.LBB2_4399:                             ;   in Loop: Header=BB2_4372 Depth=2
	s_or_b64 exec, exec, s[18:19]
	v_max_f32_e32 v2, v21, v21
	v_max_f32_e32 v3, v26, v26
	v_min_f32_e32 v2, v3, v2
.LBB2_4400:                             ;   in Loop: Header=BB2_4372 Depth=2
	v_and_b32_sdwa v16, v2, s68 dst_sel:DWORD dst_unused:UNUSED_PAD src0_sel:BYTE_3 src1_sel:DWORD
	v_and_b32_e32 v26, 0x7f800000, v2
	v_mov_b32_e32 v27, v53
	v_and_b32_e32 v52, 0x7fffff, v2
	v_or_b32_e32 v21, 0x7e, v16
	v_cmp_ne_u64_e32 vcc, s[40:41], v[26:27]
	s_and_saveexec_b64 s[18:19], vcc
	s_xor_b64 s[20:21], exec, s[18:19]
	s_cbranch_execz .LBB2_4414
; %bb.4401:                             ;   in Loop: Header=BB2_4372 Depth=2
	v_and_b32_e32 v26, 0x7fffffff, v2
	v_mov_b32_e32 v27, v53
	v_cmp_gt_u64_e32 vcc, s[42:43], v[26:27]
	s_and_saveexec_b64 s[18:19], vcc
	s_xor_b64 s[58:59], exec, s[18:19]
	s_cbranch_execz .LBB2_4413
; %bb.4402:                             ;   in Loop: Header=BB2_4372 Depth=2
	v_cmp_ne_u32_e32 vcc, 0, v2
	v_mov_b32_e32 v21, 0
	s_and_saveexec_b64 s[60:61], vcc
	s_cbranch_execz .LBB2_4412
; %bb.4403:                             ;   in Loop: Header=BB2_4372 Depth=2
	v_bfe_u32 v2, v2, 23, 8
	v_sub_u32_e32 v21, 0x79, v2
	v_cmp_gt_u32_e32 vcc, s72, v2
	v_add_u32_e32 v3, 0xffffff81, v2
	v_cndmask_b32_e32 v21, 0, v21, vcc
	v_cmp_eq_u32_e32 vcc, 0, v2
	v_mov_b32_e32 v2, 0xffffff82
	v_cndmask_b32_e32 v27, v3, v2, vcc
	v_mov_b32_e32 v2, 0x78
	v_or_b32_e32 v26, 0x800000, v52
	v_cndmask_b32_e32 v21, v21, v2, vcc
	v_cndmask_b32_e32 v52, v26, v52, vcc
	v_add_u32_e32 v2, 20, v21
	v_lshlrev_b64 v[2:3], v2, -1
	v_add_u32_e32 v26, 19, v21
	v_lshrrev_b64 v[30:31], v21, v[52:53]
	v_not_b32_e32 v3, v3
	v_not_b32_e32 v2, v2
	v_lshlrev_b64 v[28:29], v26, 1
	v_lshrrev_b32_e32 v26, 23, v30
	v_and_b32_e32 v3, 0, v3
	v_and_b32_e32 v2, v52, v2
	v_add3_u32 v27, v21, v27, v26
	v_bfe_u32 v26, v30, 20, 1
	v_add_u32_e32 v26, -1, v26
	v_cmp_eq_u64_e32 vcc, v[2:3], v[28:29]
	v_cndmask_b32_e32 v2, 0, v26, vcc
	v_add_u32_e32 v2, v2, v30
	v_and_b32_e32 v2, 0xfffff, v2
	v_add_co_u32_e32 v2, vcc, v2, v30
	v_add_u32_e32 v21, 6, v27
	v_addc_co_u32_e32 v3, vcc, 0, v31, vcc
	v_cmp_ne_u32_e32 vcc, 0, v21
                                        ; implicit-def: $vgpr26
	s_and_saveexec_b64 s[18:19], vcc
	s_xor_b64 s[18:19], exec, s[18:19]
; %bb.4404:                             ;   in Loop: Header=BB2_4372 Depth=2
	v_add_u32_e32 v26, 7, v27
	v_cmp_lt_u64_e32 vcc, s[46:47], v[2:3]
	v_cndmask_b32_e32 v26, v21, v26, vcc
	v_cndmask_b32_e64 v21, 0, 1, vcc
	v_lshrrev_b64 v[2:3], v21, v[2:3]
; %bb.4405:                             ;   in Loop: Header=BB2_4372 Depth=2
	s_andn2_saveexec_b64 s[18:19], s[18:19]
; %bb.4406:                             ;   in Loop: Header=BB2_4372 Depth=2
	v_bfe_u32 v26, v2, 23, 1
; %bb.4407:                             ;   in Loop: Header=BB2_4372 Depth=2
	s_or_b64 exec, exec, s[18:19]
	v_lshrrev_b64 v[2:3], 20, v[2:3]
	v_cmp_gt_i32_e32 vcc, 16, v26
	v_cndmask_b32_e32 v3, 0, v3, vcc
	v_cndmask_b32_e32 v2, 7, v2, vcc
	v_cmp_ne_u32_e32 vcc, 0, v26
	v_cmp_ne_u64_e64 s[18:19], 0, v[2:3]
	s_or_b64 s[18:19], vcc, s[18:19]
                                        ; implicit-def: $vgpr21
	s_and_saveexec_b64 vcc, s[18:19]
	s_xor_b64 s[18:19], exec, vcc
; %bb.4408:                             ;   in Loop: Header=BB2_4372 Depth=2
	v_min_i32_e32 v3, 15, v26
	v_lshl_or_b32 v3, v3, 3, v16
	v_and_or_b32 v21, v2, 7, v3
                                        ; implicit-def: $vgpr16
; %bb.4409:                             ;   in Loop: Header=BB2_4372 Depth=2
	s_andn2_saveexec_b64 s[18:19], s[18:19]
; %bb.4410:                             ;   in Loop: Header=BB2_4372 Depth=2
	v_mov_b32_e32 v21, v16
; %bb.4411:                             ;   in Loop: Header=BB2_4372 Depth=2
	s_or_b64 exec, exec, s[18:19]
.LBB2_4412:                             ;   in Loop: Header=BB2_4372 Depth=2
	s_or_b64 exec, exec, s[60:61]
.LBB2_4413:                             ;   in Loop: Header=BB2_4372 Depth=2
	s_andn2_saveexec_b64 s[18:19], s[58:59]
	s_or_b64 exec, exec, s[18:19]
                                        ; implicit-def: $vgpr2
.LBB2_4414:                             ;   in Loop: Header=BB2_4372 Depth=2
	s_andn2_saveexec_b64 s[18:19], s[20:21]
; %bb.4415:                             ;   in Loop: Header=BB2_4372 Depth=2
	v_or_b32_sdwa v2, v2, s69 dst_sel:DWORD dst_unused:UNUSED_PAD src0_sel:BYTE_3 src1_sel:DWORD
	v_cmp_eq_u64_e32 vcc, 0, v[52:53]
	v_cndmask_b32_e32 v21, v2, v21, vcc
; %bb.4416:                             ;   in Loop: Header=BB2_4372 Depth=2
	s_or_b64 exec, exec, s[18:19]
	v_and_b32_e32 v2, 0xff, v25
	v_cndmask_b32_e64 v3, 0, 1, s[56:57]
	v_cmp_ne_u32_e64 s[18:19], 1, v3
	s_andn2_b64 vcc, exec, s[56:57]
	v_cmp_ne_u16_e64 s[20:21], 0, v2
	s_cbranch_vccnz .LBB2_4430
; %bb.4417:                             ;   in Loop: Header=BB2_4372 Depth=2
	v_mov_b32_e32 v26, 0
	v_mov_b32_e32 v3, 0
	s_and_saveexec_b64 s[58:59], s[20:21]
	s_cbranch_execz .LBB2_4423
; %bb.4418:                             ;   in Loop: Header=BB2_4372 Depth=2
	v_cmp_ne_u16_e32 vcc, s68, v2
	v_bfrev_b32_e32 v3, 1
	s_and_saveexec_b64 s[60:61], vcc
	s_cbranch_execz .LBB2_4422
; %bb.4419:                             ;   in Loop: Header=BB2_4372 Depth=2
	v_and_b32_e32 v16, 0x7f, v25
	v_cmp_ne_u32_e32 vcc, s69, v16
	v_mov_b32_e32 v3, 0x7f800001
	s_and_saveexec_b64 s[62:63], vcc
	s_cbranch_execz .LBB2_4421
; %bb.4420:                             ;   in Loop: Header=BB2_4372 Depth=2
	v_and_b32_e32 v3, 7, v2
	v_ffbh_u32_e32 v28, v3
	v_min_u32_e32 v30, 32, v28
	v_subrev_u32_e32 v28, 28, v30
	v_lshlrev_b64 v[28:29], v28, v[2:3]
	v_lshrrev_b32_e32 v27, 3, v16
	v_sub_u32_e32 v29, 29, v30
	v_and_b32_e32 v28, 7, v28
	v_cmp_gt_u32_e32 vcc, 8, v16
	v_cndmask_b32_e32 v16, v27, v29, vcc
	v_cndmask_b32_e32 v3, v3, v28, vcc
	v_lshlrev_b32_e32 v27, 24, v25
	v_lshlrev_b32_e32 v3, 20, v3
	v_and_b32_e32 v27, 0x80000000, v27
	v_lshl_add_u32 v16, v16, 23, v49
	v_or3_b32 v3, v27, v16, v3
.LBB2_4421:                             ;   in Loop: Header=BB2_4372 Depth=2
	s_or_b64 exec, exec, s[62:63]
.LBB2_4422:                             ;   in Loop: Header=BB2_4372 Depth=2
	s_or_b64 exec, exec, s[60:61]
.LBB2_4423:                             ;   in Loop: Header=BB2_4372 Depth=2
	s_or_b64 exec, exec, s[58:59]
	v_and_b32_e32 v16, 0xff, v24
	v_cmp_ne_u16_e32 vcc, 0, v16
	s_and_saveexec_b64 s[58:59], vcc
	s_cbranch_execz .LBB2_4429
; %bb.4424:                             ;   in Loop: Header=BB2_4372 Depth=2
	v_cmp_ne_u16_e32 vcc, s68, v16
	v_bfrev_b32_e32 v26, 1
	s_and_saveexec_b64 s[60:61], vcc
	s_cbranch_execz .LBB2_4428
; %bb.4425:                             ;   in Loop: Header=BB2_4372 Depth=2
	v_and_b32_e32 v27, 0x7f, v24
	v_cmp_ne_u32_e32 vcc, s69, v27
	v_mov_b32_e32 v26, 0x7f800001
	s_and_saveexec_b64 s[62:63], vcc
	s_cbranch_execz .LBB2_4427
; %bb.4426:                             ;   in Loop: Header=BB2_4372 Depth=2
	v_and_b32_e32 v26, 7, v16
	v_ffbh_u32_e32 v28, v26
	v_min_u32_e32 v31, 32, v28
	v_subrev_u32_e32 v28, 28, v31
	v_lshlrev_b64 v[28:29], v28, v[16:17]
	v_lshrrev_b32_e32 v30, 3, v27
	v_sub_u32_e32 v16, 29, v31
	v_and_b32_e32 v28, 7, v28
	v_cmp_gt_u32_e32 vcc, 8, v27
	v_cndmask_b32_e32 v16, v30, v16, vcc
	v_cndmask_b32_e32 v26, v26, v28, vcc
	v_lshlrev_b32_e32 v27, 24, v24
	v_lshlrev_b32_e32 v26, 20, v26
	v_and_b32_e32 v27, 0x80000000, v27
	v_lshl_add_u32 v16, v16, 23, v49
	v_or3_b32 v26, v27, v16, v26
.LBB2_4427:                             ;   in Loop: Header=BB2_4372 Depth=2
	s_or_b64 exec, exec, s[62:63]
.LBB2_4428:                             ;   in Loop: Header=BB2_4372 Depth=2
	s_or_b64 exec, exec, s[60:61]
.LBB2_4429:                             ;   in Loop: Header=BB2_4372 Depth=2
	s_or_b64 exec, exec, s[58:59]
	v_max_f32_e32 v16, v26, v26
	v_max_f32_e32 v3, v3, v3
	v_max_f32_e32 v3, v3, v16
	s_branch .LBB2_4444
.LBB2_4430:                             ;   in Loop: Header=BB2_4372 Depth=2
                                        ; implicit-def: $vgpr3
	s_cbranch_execz .LBB2_4444
; %bb.4431:                             ;   in Loop: Header=BB2_4372 Depth=2
	v_mov_b32_e32 v16, 0
	v_mov_b32_e32 v3, 0
	s_and_saveexec_b64 s[58:59], s[20:21]
	s_cbranch_execz .LBB2_4437
; %bb.4432:                             ;   in Loop: Header=BB2_4372 Depth=2
	v_cmp_ne_u16_e32 vcc, s68, v2
	v_bfrev_b32_e32 v3, 1
	s_and_saveexec_b64 s[20:21], vcc
	s_cbranch_execz .LBB2_4436
; %bb.4433:                             ;   in Loop: Header=BB2_4372 Depth=2
	v_and_b32_e32 v26, 0x7f, v25
	v_cmp_ne_u32_e32 vcc, s69, v26
	v_mov_b32_e32 v3, 0x7f800001
	s_and_saveexec_b64 s[60:61], vcc
	s_cbranch_execz .LBB2_4435
; %bb.4434:                             ;   in Loop: Header=BB2_4372 Depth=2
	v_and_b32_e32 v27, 7, v2
	v_ffbh_u32_e32 v3, v27
	v_min_u32_e32 v29, 32, v3
	v_subrev_u32_e32 v3, 28, v29
	v_lshlrev_b64 v[2:3], v3, v[2:3]
	v_lshrrev_b32_e32 v28, 3, v26
	v_sub_u32_e32 v3, 29, v29
	v_and_b32_e32 v2, 7, v2
	v_cmp_gt_u32_e32 vcc, 8, v26
	v_cndmask_b32_e32 v3, v28, v3, vcc
	v_cndmask_b32_e32 v2, v27, v2, vcc
	v_lshlrev_b32_e32 v25, 24, v25
	v_lshlrev_b32_e32 v2, 20, v2
	v_and_b32_e32 v25, 0x80000000, v25
	v_lshl_add_u32 v3, v3, 23, v49
	v_or3_b32 v3, v25, v3, v2
.LBB2_4435:                             ;   in Loop: Header=BB2_4372 Depth=2
	s_or_b64 exec, exec, s[60:61]
.LBB2_4436:                             ;   in Loop: Header=BB2_4372 Depth=2
	s_or_b64 exec, exec, s[20:21]
.LBB2_4437:                             ;   in Loop: Header=BB2_4372 Depth=2
	s_or_b64 exec, exec, s[58:59]
	v_and_b32_e32 v2, 0xff, v24
	v_cmp_ne_u16_e32 vcc, 0, v2
	s_and_saveexec_b64 s[20:21], vcc
	s_cbranch_execz .LBB2_4443
; %bb.4438:                             ;   in Loop: Header=BB2_4372 Depth=2
	v_cmp_ne_u16_e32 vcc, s68, v2
	v_bfrev_b32_e32 v16, 1
	s_and_saveexec_b64 s[58:59], vcc
	s_cbranch_execz .LBB2_4442
; %bb.4439:                             ;   in Loop: Header=BB2_4372 Depth=2
	v_and_b32_e32 v25, 0x7f, v24
	v_cmp_ne_u32_e32 vcc, s69, v25
	v_mov_b32_e32 v16, 0x7f800001
	s_and_saveexec_b64 s[60:61], vcc
	s_cbranch_execz .LBB2_4441
; %bb.4440:                             ;   in Loop: Header=BB2_4372 Depth=2
	v_and_b32_e32 v16, 7, v2
	v_ffbh_u32_e32 v26, v16
	v_min_u32_e32 v29, 32, v26
	v_subrev_u32_e32 v26, 28, v29
	v_lshlrev_b64 v[26:27], v26, v[2:3]
	v_lshrrev_b32_e32 v28, 3, v25
	v_sub_u32_e32 v2, 29, v29
	v_and_b32_e32 v26, 7, v26
	v_cmp_gt_u32_e32 vcc, 8, v25
	v_cndmask_b32_e32 v2, v28, v2, vcc
	v_cndmask_b32_e32 v16, v16, v26, vcc
	v_lshlrev_b32_e32 v24, 24, v24
	v_lshlrev_b32_e32 v16, 20, v16
	v_and_b32_e32 v24, 0x80000000, v24
	v_lshl_add_u32 v2, v2, 23, v49
	v_or3_b32 v16, v24, v2, v16
.LBB2_4441:                             ;   in Loop: Header=BB2_4372 Depth=2
	s_or_b64 exec, exec, s[60:61]
.LBB2_4442:                             ;   in Loop: Header=BB2_4372 Depth=2
	s_or_b64 exec, exec, s[58:59]
.LBB2_4443:                             ;   in Loop: Header=BB2_4372 Depth=2
	s_or_b64 exec, exec, s[20:21]
	v_max_f32_e32 v2, v16, v16
	v_max_f32_e32 v3, v3, v3
	v_min_f32_e32 v3, v3, v2
.LBB2_4444:                             ;   in Loop: Header=BB2_4372 Depth=2
	v_and_b32_sdwa v16, v3, s68 dst_sel:DWORD dst_unused:UNUSED_PAD src0_sel:BYTE_3 src1_sel:DWORD
	v_and_b32_e32 v26, 0x7f800000, v3
	v_mov_b32_e32 v27, v53
	v_and_b32_e32 v52, 0x7fffff, v3
	v_or_b32_e32 v24, 0x7e, v16
	v_cmp_ne_u64_e32 vcc, s[40:41], v[26:27]
	s_and_saveexec_b64 s[20:21], vcc
	s_xor_b64 s[58:59], exec, s[20:21]
	s_cbranch_execz .LBB2_4458
; %bb.4445:                             ;   in Loop: Header=BB2_4372 Depth=2
	v_and_b32_e32 v26, 0x7fffffff, v3
	v_mov_b32_e32 v27, v53
	v_cmp_gt_u64_e32 vcc, s[42:43], v[26:27]
	s_and_saveexec_b64 s[20:21], vcc
	s_xor_b64 s[60:61], exec, s[20:21]
	s_cbranch_execz .LBB2_4457
; %bb.4446:                             ;   in Loop: Header=BB2_4372 Depth=2
	v_cmp_ne_u32_e32 vcc, 0, v3
	v_mov_b32_e32 v24, 0
	s_and_saveexec_b64 s[62:63], vcc
	s_cbranch_execz .LBB2_4456
; %bb.4447:                             ;   in Loop: Header=BB2_4372 Depth=2
	v_bfe_u32 v2, v3, 23, 8
	v_sub_u32_e32 v24, 0x79, v2
	v_cmp_gt_u32_e32 vcc, s72, v2
	v_add_u32_e32 v3, 0xffffff81, v2
	v_cndmask_b32_e32 v24, 0, v24, vcc
	v_cmp_eq_u32_e32 vcc, 0, v2
	v_mov_b32_e32 v2, 0xffffff82
	v_cndmask_b32_e32 v26, v3, v2, vcc
	v_mov_b32_e32 v2, 0x78
	v_or_b32_e32 v25, 0x800000, v52
	v_cndmask_b32_e32 v24, v24, v2, vcc
	v_cndmask_b32_e32 v52, v25, v52, vcc
	v_add_u32_e32 v2, 20, v24
	v_lshlrev_b64 v[2:3], v2, -1
	v_add_u32_e32 v25, 19, v24
	v_lshrrev_b64 v[30:31], v24, v[52:53]
	v_not_b32_e32 v3, v3
	v_not_b32_e32 v2, v2
	v_lshlrev_b64 v[28:29], v25, 1
	v_lshrrev_b32_e32 v25, 23, v30
	v_and_b32_e32 v3, 0, v3
	v_and_b32_e32 v2, v52, v2
	v_add3_u32 v26, v24, v26, v25
	v_bfe_u32 v25, v30, 20, 1
	v_add_u32_e32 v25, -1, v25
	v_cmp_eq_u64_e32 vcc, v[2:3], v[28:29]
	v_cndmask_b32_e32 v2, 0, v25, vcc
	v_add_u32_e32 v2, v2, v30
	v_and_b32_e32 v2, 0xfffff, v2
	v_add_co_u32_e32 v2, vcc, v2, v30
	v_add_u32_e32 v24, 6, v26
	v_addc_co_u32_e32 v3, vcc, 0, v31, vcc
	v_cmp_ne_u32_e32 vcc, 0, v24
                                        ; implicit-def: $vgpr25
	s_and_saveexec_b64 s[20:21], vcc
	s_xor_b64 s[20:21], exec, s[20:21]
; %bb.4448:                             ;   in Loop: Header=BB2_4372 Depth=2
	v_add_u32_e32 v25, 7, v26
	v_cmp_lt_u64_e32 vcc, s[46:47], v[2:3]
	v_cndmask_b32_e32 v25, v24, v25, vcc
	v_cndmask_b32_e64 v24, 0, 1, vcc
	v_lshrrev_b64 v[2:3], v24, v[2:3]
; %bb.4449:                             ;   in Loop: Header=BB2_4372 Depth=2
	s_andn2_saveexec_b64 s[20:21], s[20:21]
; %bb.4450:                             ;   in Loop: Header=BB2_4372 Depth=2
	v_bfe_u32 v25, v2, 23, 1
; %bb.4451:                             ;   in Loop: Header=BB2_4372 Depth=2
	s_or_b64 exec, exec, s[20:21]
	v_lshrrev_b64 v[2:3], 20, v[2:3]
	v_cmp_gt_i32_e32 vcc, 16, v25
	v_cndmask_b32_e32 v3, 0, v3, vcc
	v_cndmask_b32_e32 v2, 7, v2, vcc
	v_cmp_ne_u32_e32 vcc, 0, v25
	v_cmp_ne_u64_e64 s[20:21], 0, v[2:3]
	s_or_b64 s[20:21], vcc, s[20:21]
                                        ; implicit-def: $vgpr24
	s_and_saveexec_b64 vcc, s[20:21]
	s_xor_b64 s[20:21], exec, vcc
; %bb.4452:                             ;   in Loop: Header=BB2_4372 Depth=2
	v_min_i32_e32 v3, 15, v25
	v_lshl_or_b32 v3, v3, 3, v16
	v_and_or_b32 v24, v2, 7, v3
                                        ; implicit-def: $vgpr16
; %bb.4453:                             ;   in Loop: Header=BB2_4372 Depth=2
	s_andn2_saveexec_b64 s[20:21], s[20:21]
; %bb.4454:                             ;   in Loop: Header=BB2_4372 Depth=2
	v_mov_b32_e32 v24, v16
; %bb.4455:                             ;   in Loop: Header=BB2_4372 Depth=2
	s_or_b64 exec, exec, s[20:21]
.LBB2_4456:                             ;   in Loop: Header=BB2_4372 Depth=2
	s_or_b64 exec, exec, s[62:63]
.LBB2_4457:                             ;   in Loop: Header=BB2_4372 Depth=2
	s_andn2_saveexec_b64 s[20:21], s[60:61]
	s_or_b64 exec, exec, s[20:21]
                                        ; implicit-def: $vgpr3
.LBB2_4458:                             ;   in Loop: Header=BB2_4372 Depth=2
	s_andn2_saveexec_b64 s[20:21], s[58:59]
; %bb.4459:                             ;   in Loop: Header=BB2_4372 Depth=2
	v_or_b32_sdwa v2, v3, s69 dst_sel:DWORD dst_unused:UNUSED_PAD src0_sel:BYTE_3 src1_sel:DWORD
	v_cmp_eq_u64_e32 vcc, 0, v[52:53]
	v_cndmask_b32_e32 v24, v2, v24, vcc
; %bb.4460:                             ;   in Loop: Header=BB2_4372 Depth=2
	s_or_b64 exec, exec, s[20:21]
	v_and_b32_e32 v2, 0xff, v23
	s_and_b64 vcc, exec, s[18:19]
	v_cmp_ne_u16_e64 s[20:21], 0, v2
	s_cbranch_vccnz .LBB2_4474
; %bb.4461:                             ;   in Loop: Header=BB2_4372 Depth=2
	v_mov_b32_e32 v25, 0
	v_mov_b32_e32 v3, 0
	s_and_saveexec_b64 s[58:59], s[20:21]
	s_cbranch_execz .LBB2_4467
; %bb.4462:                             ;   in Loop: Header=BB2_4372 Depth=2
	v_cmp_ne_u16_e32 vcc, s68, v2
	v_bfrev_b32_e32 v3, 1
	s_and_saveexec_b64 s[60:61], vcc
	s_cbranch_execz .LBB2_4466
; %bb.4463:                             ;   in Loop: Header=BB2_4372 Depth=2
	v_and_b32_e32 v16, 0x7f, v23
	v_cmp_ne_u32_e32 vcc, s69, v16
	v_mov_b32_e32 v3, 0x7f800001
	s_and_saveexec_b64 s[62:63], vcc
	s_cbranch_execz .LBB2_4465
; %bb.4464:                             ;   in Loop: Header=BB2_4372 Depth=2
	v_and_b32_e32 v3, 7, v2
	v_ffbh_u32_e32 v26, v3
	v_min_u32_e32 v29, 32, v26
	v_subrev_u32_e32 v26, 28, v29
	v_lshlrev_b64 v[26:27], v26, v[2:3]
	v_lshrrev_b32_e32 v28, 3, v16
	v_sub_u32_e32 v27, 29, v29
	v_and_b32_e32 v26, 7, v26
	v_cmp_gt_u32_e32 vcc, 8, v16
	v_cndmask_b32_e32 v16, v28, v27, vcc
	v_cndmask_b32_e32 v3, v3, v26, vcc
	v_lshlrev_b32_e32 v26, 24, v23
	v_lshlrev_b32_e32 v3, 20, v3
	v_and_b32_e32 v26, 0x80000000, v26
	v_lshl_add_u32 v16, v16, 23, v49
	v_or3_b32 v3, v26, v16, v3
.LBB2_4465:                             ;   in Loop: Header=BB2_4372 Depth=2
	s_or_b64 exec, exec, s[62:63]
.LBB2_4466:                             ;   in Loop: Header=BB2_4372 Depth=2
	s_or_b64 exec, exec, s[60:61]
.LBB2_4467:                             ;   in Loop: Header=BB2_4372 Depth=2
	s_or_b64 exec, exec, s[58:59]
	v_and_b32_e32 v16, 0xff, v22
	v_cmp_ne_u16_e32 vcc, 0, v16
	s_and_saveexec_b64 s[58:59], vcc
	s_cbranch_execz .LBB2_4473
; %bb.4468:                             ;   in Loop: Header=BB2_4372 Depth=2
	v_cmp_ne_u16_e32 vcc, s68, v16
	v_bfrev_b32_e32 v25, 1
	s_and_saveexec_b64 s[60:61], vcc
	s_cbranch_execz .LBB2_4472
; %bb.4469:                             ;   in Loop: Header=BB2_4372 Depth=2
	v_and_b32_e32 v26, 0x7f, v22
	v_cmp_ne_u32_e32 vcc, s69, v26
	v_mov_b32_e32 v25, 0x7f800001
	s_and_saveexec_b64 s[62:63], vcc
	s_cbranch_execz .LBB2_4471
; %bb.4470:                             ;   in Loop: Header=BB2_4372 Depth=2
	v_and_b32_e32 v25, 7, v16
	v_ffbh_u32_e32 v28, v25
	v_min_u32_e32 v30, 32, v28
	v_subrev_u32_e32 v28, 28, v30
	v_lshlrev_b64 v[28:29], v28, v[16:17]
	v_lshrrev_b32_e32 v27, 3, v26
	v_sub_u32_e32 v16, 29, v30
	v_and_b32_e32 v28, 7, v28
	v_cmp_gt_u32_e32 vcc, 8, v26
	v_cndmask_b32_e32 v16, v27, v16, vcc
	v_cndmask_b32_e32 v25, v25, v28, vcc
	v_lshlrev_b32_e32 v26, 24, v22
	v_lshlrev_b32_e32 v25, 20, v25
	v_and_b32_e32 v26, 0x80000000, v26
	v_lshl_add_u32 v16, v16, 23, v49
	v_or3_b32 v25, v26, v16, v25
.LBB2_4471:                             ;   in Loop: Header=BB2_4372 Depth=2
	s_or_b64 exec, exec, s[62:63]
.LBB2_4472:                             ;   in Loop: Header=BB2_4372 Depth=2
	s_or_b64 exec, exec, s[60:61]
.LBB2_4473:                             ;   in Loop: Header=BB2_4372 Depth=2
	s_or_b64 exec, exec, s[58:59]
	v_max_f32_e32 v16, v25, v25
	v_max_f32_e32 v3, v3, v3
	;; [unrolled: 1-line block ×3, first 2 shown]
	s_branch .LBB2_4488
.LBB2_4474:                             ;   in Loop: Header=BB2_4372 Depth=2
                                        ; implicit-def: $vgpr3
	s_cbranch_execz .LBB2_4488
; %bb.4475:                             ;   in Loop: Header=BB2_4372 Depth=2
	v_mov_b32_e32 v16, 0
	v_mov_b32_e32 v3, 0
	s_and_saveexec_b64 s[58:59], s[20:21]
	s_cbranch_execz .LBB2_4481
; %bb.4476:                             ;   in Loop: Header=BB2_4372 Depth=2
	v_cmp_ne_u16_e32 vcc, s68, v2
	v_bfrev_b32_e32 v3, 1
	s_and_saveexec_b64 s[20:21], vcc
	s_cbranch_execz .LBB2_4480
; %bb.4477:                             ;   in Loop: Header=BB2_4372 Depth=2
	v_and_b32_e32 v25, 0x7f, v23
	v_cmp_ne_u32_e32 vcc, s69, v25
	v_mov_b32_e32 v3, 0x7f800001
	s_and_saveexec_b64 s[60:61], vcc
	s_cbranch_execz .LBB2_4479
; %bb.4478:                             ;   in Loop: Header=BB2_4372 Depth=2
	v_and_b32_e32 v26, 7, v2
	v_ffbh_u32_e32 v3, v26
	v_min_u32_e32 v28, 32, v3
	v_subrev_u32_e32 v3, 28, v28
	v_lshlrev_b64 v[2:3], v3, v[2:3]
	v_lshrrev_b32_e32 v27, 3, v25
	v_sub_u32_e32 v3, 29, v28
	v_and_b32_e32 v2, 7, v2
	v_cmp_gt_u32_e32 vcc, 8, v25
	v_cndmask_b32_e32 v3, v27, v3, vcc
	v_cndmask_b32_e32 v2, v26, v2, vcc
	v_lshlrev_b32_e32 v23, 24, v23
	v_lshlrev_b32_e32 v2, 20, v2
	v_and_b32_e32 v23, 0x80000000, v23
	v_lshl_add_u32 v3, v3, 23, v49
	v_or3_b32 v3, v23, v3, v2
.LBB2_4479:                             ;   in Loop: Header=BB2_4372 Depth=2
	s_or_b64 exec, exec, s[60:61]
.LBB2_4480:                             ;   in Loop: Header=BB2_4372 Depth=2
	s_or_b64 exec, exec, s[20:21]
.LBB2_4481:                             ;   in Loop: Header=BB2_4372 Depth=2
	s_or_b64 exec, exec, s[58:59]
	v_and_b32_e32 v2, 0xff, v22
	v_cmp_ne_u16_e32 vcc, 0, v2
	s_and_saveexec_b64 s[20:21], vcc
	s_cbranch_execz .LBB2_4487
; %bb.4482:                             ;   in Loop: Header=BB2_4372 Depth=2
	v_cmp_ne_u16_e32 vcc, s68, v2
	v_bfrev_b32_e32 v16, 1
	s_and_saveexec_b64 s[58:59], vcc
	s_cbranch_execz .LBB2_4486
; %bb.4483:                             ;   in Loop: Header=BB2_4372 Depth=2
	v_and_b32_e32 v23, 0x7f, v22
	v_cmp_ne_u32_e32 vcc, s69, v23
	v_mov_b32_e32 v16, 0x7f800001
	s_and_saveexec_b64 s[60:61], vcc
	s_cbranch_execz .LBB2_4485
; %bb.4484:                             ;   in Loop: Header=BB2_4372 Depth=2
	v_and_b32_e32 v16, 7, v2
	v_ffbh_u32_e32 v26, v16
	v_min_u32_e32 v28, 32, v26
	v_subrev_u32_e32 v26, 28, v28
	v_lshlrev_b64 v[26:27], v26, v[2:3]
	v_lshrrev_b32_e32 v25, 3, v23
	v_sub_u32_e32 v2, 29, v28
	v_and_b32_e32 v26, 7, v26
	v_cmp_gt_u32_e32 vcc, 8, v23
	v_cndmask_b32_e32 v2, v25, v2, vcc
	v_cndmask_b32_e32 v16, v16, v26, vcc
	v_lshlrev_b32_e32 v22, 24, v22
	v_lshlrev_b32_e32 v16, 20, v16
	v_and_b32_e32 v22, 0x80000000, v22
	v_lshl_add_u32 v2, v2, 23, v49
	v_or3_b32 v16, v22, v2, v16
.LBB2_4485:                             ;   in Loop: Header=BB2_4372 Depth=2
	s_or_b64 exec, exec, s[60:61]
.LBB2_4486:                             ;   in Loop: Header=BB2_4372 Depth=2
	s_or_b64 exec, exec, s[58:59]
.LBB2_4487:                             ;   in Loop: Header=BB2_4372 Depth=2
	s_or_b64 exec, exec, s[20:21]
	v_max_f32_e32 v2, v16, v16
	v_max_f32_e32 v3, v3, v3
	v_min_f32_e32 v3, v3, v2
.LBB2_4488:                             ;   in Loop: Header=BB2_4372 Depth=2
	v_and_b32_sdwa v16, v3, s68 dst_sel:DWORD dst_unused:UNUSED_PAD src0_sel:BYTE_3 src1_sel:DWORD
	v_and_b32_e32 v26, 0x7f800000, v3
	v_mov_b32_e32 v27, v53
	v_and_b32_e32 v52, 0x7fffff, v3
	v_or_b32_e32 v22, 0x7e, v16
	v_cmp_ne_u64_e32 vcc, s[40:41], v[26:27]
	s_and_saveexec_b64 s[20:21], vcc
	s_xor_b64 s[58:59], exec, s[20:21]
	s_cbranch_execz .LBB2_4502
; %bb.4489:                             ;   in Loop: Header=BB2_4372 Depth=2
	v_and_b32_e32 v26, 0x7fffffff, v3
	v_mov_b32_e32 v27, v53
	v_cmp_gt_u64_e32 vcc, s[42:43], v[26:27]
	s_and_saveexec_b64 s[20:21], vcc
	s_xor_b64 s[60:61], exec, s[20:21]
	s_cbranch_execz .LBB2_4501
; %bb.4490:                             ;   in Loop: Header=BB2_4372 Depth=2
	v_cmp_ne_u32_e32 vcc, 0, v3
	v_mov_b32_e32 v22, 0
	s_and_saveexec_b64 s[62:63], vcc
	s_cbranch_execz .LBB2_4500
; %bb.4491:                             ;   in Loop: Header=BB2_4372 Depth=2
	v_bfe_u32 v2, v3, 23, 8
	v_sub_u32_e32 v22, 0x79, v2
	v_cmp_gt_u32_e32 vcc, s72, v2
	v_add_u32_e32 v3, 0xffffff81, v2
	v_cndmask_b32_e32 v22, 0, v22, vcc
	v_cmp_eq_u32_e32 vcc, 0, v2
	v_mov_b32_e32 v2, 0xffffff82
	v_cndmask_b32_e32 v25, v3, v2, vcc
	v_mov_b32_e32 v2, 0x78
	v_or_b32_e32 v23, 0x800000, v52
	v_cndmask_b32_e32 v22, v22, v2, vcc
	v_cndmask_b32_e32 v52, v23, v52, vcc
	v_add_u32_e32 v2, 20, v22
	v_lshlrev_b64 v[2:3], v2, -1
	v_add_u32_e32 v23, 19, v22
	v_lshrrev_b64 v[28:29], v22, v[52:53]
	v_not_b32_e32 v3, v3
	v_not_b32_e32 v2, v2
	v_lshlrev_b64 v[26:27], v23, 1
	v_lshrrev_b32_e32 v23, 23, v28
	v_and_b32_e32 v3, 0, v3
	v_and_b32_e32 v2, v52, v2
	v_add3_u32 v25, v22, v25, v23
	v_bfe_u32 v23, v28, 20, 1
	v_add_u32_e32 v23, -1, v23
	v_cmp_eq_u64_e32 vcc, v[2:3], v[26:27]
	v_cndmask_b32_e32 v2, 0, v23, vcc
	v_add_u32_e32 v2, v2, v28
	v_and_b32_e32 v2, 0xfffff, v2
	v_add_co_u32_e32 v2, vcc, v2, v28
	v_add_u32_e32 v22, 6, v25
	v_addc_co_u32_e32 v3, vcc, 0, v29, vcc
	v_cmp_ne_u32_e32 vcc, 0, v22
                                        ; implicit-def: $vgpr23
	s_and_saveexec_b64 s[20:21], vcc
	s_xor_b64 s[20:21], exec, s[20:21]
; %bb.4492:                             ;   in Loop: Header=BB2_4372 Depth=2
	v_add_u32_e32 v23, 7, v25
	v_cmp_lt_u64_e32 vcc, s[46:47], v[2:3]
	v_cndmask_b32_e32 v23, v22, v23, vcc
	v_cndmask_b32_e64 v22, 0, 1, vcc
	v_lshrrev_b64 v[2:3], v22, v[2:3]
; %bb.4493:                             ;   in Loop: Header=BB2_4372 Depth=2
	s_andn2_saveexec_b64 s[20:21], s[20:21]
; %bb.4494:                             ;   in Loop: Header=BB2_4372 Depth=2
	v_bfe_u32 v23, v2, 23, 1
; %bb.4495:                             ;   in Loop: Header=BB2_4372 Depth=2
	s_or_b64 exec, exec, s[20:21]
	v_lshrrev_b64 v[2:3], 20, v[2:3]
	v_cmp_gt_i32_e32 vcc, 16, v23
	v_cndmask_b32_e32 v3, 0, v3, vcc
	v_cndmask_b32_e32 v2, 7, v2, vcc
	v_cmp_ne_u32_e32 vcc, 0, v23
	v_cmp_ne_u64_e64 s[20:21], 0, v[2:3]
	s_or_b64 s[20:21], vcc, s[20:21]
                                        ; implicit-def: $vgpr22
	s_and_saveexec_b64 vcc, s[20:21]
	s_xor_b64 s[20:21], exec, vcc
; %bb.4496:                             ;   in Loop: Header=BB2_4372 Depth=2
	v_min_i32_e32 v3, 15, v23
	v_lshl_or_b32 v3, v3, 3, v16
	v_and_or_b32 v22, v2, 7, v3
                                        ; implicit-def: $vgpr16
; %bb.4497:                             ;   in Loop: Header=BB2_4372 Depth=2
	s_andn2_saveexec_b64 s[20:21], s[20:21]
; %bb.4498:                             ;   in Loop: Header=BB2_4372 Depth=2
	v_mov_b32_e32 v22, v16
; %bb.4499:                             ;   in Loop: Header=BB2_4372 Depth=2
	s_or_b64 exec, exec, s[20:21]
.LBB2_4500:                             ;   in Loop: Header=BB2_4372 Depth=2
	s_or_b64 exec, exec, s[62:63]
.LBB2_4501:                             ;   in Loop: Header=BB2_4372 Depth=2
	s_andn2_saveexec_b64 s[20:21], s[60:61]
	s_or_b64 exec, exec, s[20:21]
                                        ; implicit-def: $vgpr3
.LBB2_4502:                             ;   in Loop: Header=BB2_4372 Depth=2
	s_andn2_saveexec_b64 s[20:21], s[58:59]
; %bb.4503:                             ;   in Loop: Header=BB2_4372 Depth=2
	v_or_b32_sdwa v2, v3, s69 dst_sel:DWORD dst_unused:UNUSED_PAD src0_sel:BYTE_3 src1_sel:DWORD
	v_cmp_eq_u64_e32 vcc, 0, v[52:53]
	v_cndmask_b32_e32 v22, v2, v22, vcc
; %bb.4504:                             ;   in Loop: Header=BB2_4372 Depth=2
	s_or_b64 exec, exec, s[20:21]
	v_and_b32_e32 v2, 0xff, v5
	s_and_b64 vcc, exec, s[18:19]
	v_cmp_ne_u16_e64 s[18:19], 0, v2
	s_cbranch_vccnz .LBB2_4518
; %bb.4505:                             ;   in Loop: Header=BB2_4372 Depth=2
	v_mov_b32_e32 v23, 0
	v_mov_b32_e32 v3, 0
	s_and_saveexec_b64 s[20:21], s[18:19]
	s_cbranch_execz .LBB2_4511
; %bb.4506:                             ;   in Loop: Header=BB2_4372 Depth=2
	v_cmp_ne_u16_e32 vcc, s68, v2
	v_bfrev_b32_e32 v3, 1
	s_and_saveexec_b64 s[58:59], vcc
	s_cbranch_execz .LBB2_4510
; %bb.4507:                             ;   in Loop: Header=BB2_4372 Depth=2
	v_and_b32_e32 v16, 0x7f, v5
	v_cmp_ne_u32_e32 vcc, s69, v16
	v_mov_b32_e32 v3, 0x7f800001
	s_and_saveexec_b64 s[60:61], vcc
	s_cbranch_execz .LBB2_4509
; %bb.4508:                             ;   in Loop: Header=BB2_4372 Depth=2
	v_and_b32_e32 v3, 7, v2
	v_ffbh_u32_e32 v26, v3
	v_min_u32_e32 v28, 32, v26
	v_subrev_u32_e32 v26, 28, v28
	v_lshlrev_b64 v[26:27], v26, v[2:3]
	v_lshrrev_b32_e32 v25, 3, v16
	v_sub_u32_e32 v27, 29, v28
	v_and_b32_e32 v26, 7, v26
	v_cmp_gt_u32_e32 vcc, 8, v16
	v_cndmask_b32_e32 v16, v25, v27, vcc
	v_cndmask_b32_e32 v3, v3, v26, vcc
	v_lshlrev_b32_e32 v25, 24, v5
	v_lshlrev_b32_e32 v3, 20, v3
	v_and_b32_e32 v25, 0x80000000, v25
	v_lshl_add_u32 v16, v16, 23, v49
	v_or3_b32 v3, v25, v16, v3
.LBB2_4509:                             ;   in Loop: Header=BB2_4372 Depth=2
	s_or_b64 exec, exec, s[60:61]
.LBB2_4510:                             ;   in Loop: Header=BB2_4372 Depth=2
	s_or_b64 exec, exec, s[58:59]
.LBB2_4511:                             ;   in Loop: Header=BB2_4372 Depth=2
	s_or_b64 exec, exec, s[20:21]
	v_and_b32_e32 v16, 0xff, v4
	v_cmp_ne_u16_e32 vcc, 0, v16
	s_and_saveexec_b64 s[20:21], vcc
	s_cbranch_execz .LBB2_4517
; %bb.4512:                             ;   in Loop: Header=BB2_4372 Depth=2
	v_cmp_ne_u16_e32 vcc, s68, v16
	v_bfrev_b32_e32 v23, 1
	s_and_saveexec_b64 s[58:59], vcc
	s_cbranch_execz .LBB2_4516
; %bb.4513:                             ;   in Loop: Header=BB2_4372 Depth=2
	v_and_b32_e32 v25, 0x7f, v4
	v_cmp_ne_u32_e32 vcc, s69, v25
	v_mov_b32_e32 v23, 0x7f800001
	s_and_saveexec_b64 s[60:61], vcc
	s_cbranch_execz .LBB2_4515
; %bb.4514:                             ;   in Loop: Header=BB2_4372 Depth=2
	v_and_b32_e32 v23, 7, v16
	v_ffbh_u32_e32 v26, v23
	v_min_u32_e32 v29, 32, v26
	v_subrev_u32_e32 v26, 28, v29
	v_lshlrev_b64 v[26:27], v26, v[16:17]
	v_lshrrev_b32_e32 v28, 3, v25
	v_sub_u32_e32 v16, 29, v29
	v_and_b32_e32 v26, 7, v26
	v_cmp_gt_u32_e32 vcc, 8, v25
	v_cndmask_b32_e32 v16, v28, v16, vcc
	v_cndmask_b32_e32 v23, v23, v26, vcc
	v_lshlrev_b32_e32 v25, 24, v4
	v_lshlrev_b32_e32 v23, 20, v23
	v_and_b32_e32 v25, 0x80000000, v25
	v_lshl_add_u32 v16, v16, 23, v49
	v_or3_b32 v23, v25, v16, v23
.LBB2_4515:                             ;   in Loop: Header=BB2_4372 Depth=2
	s_or_b64 exec, exec, s[60:61]
.LBB2_4516:                             ;   in Loop: Header=BB2_4372 Depth=2
	s_or_b64 exec, exec, s[58:59]
.LBB2_4517:                             ;   in Loop: Header=BB2_4372 Depth=2
	s_or_b64 exec, exec, s[20:21]
	v_max_f32_e32 v16, v23, v23
	v_max_f32_e32 v3, v3, v3
	;; [unrolled: 1-line block ×3, first 2 shown]
	s_branch .LBB2_4532
.LBB2_4518:                             ;   in Loop: Header=BB2_4372 Depth=2
                                        ; implicit-def: $vgpr16
	s_cbranch_execz .LBB2_4532
; %bb.4519:                             ;   in Loop: Header=BB2_4372 Depth=2
	v_mov_b32_e32 v16, 0
	v_mov_b32_e32 v3, 0
	s_and_saveexec_b64 s[20:21], s[18:19]
	s_cbranch_execz .LBB2_4525
; %bb.4520:                             ;   in Loop: Header=BB2_4372 Depth=2
	v_cmp_ne_u16_e32 vcc, s68, v2
	v_bfrev_b32_e32 v3, 1
	s_and_saveexec_b64 s[18:19], vcc
	s_cbranch_execz .LBB2_4524
; %bb.4521:                             ;   in Loop: Header=BB2_4372 Depth=2
	v_and_b32_e32 v23, 0x7f, v5
	v_cmp_ne_u32_e32 vcc, s69, v23
	v_mov_b32_e32 v3, 0x7f800001
	s_and_saveexec_b64 s[58:59], vcc
	s_cbranch_execz .LBB2_4523
; %bb.4522:                             ;   in Loop: Header=BB2_4372 Depth=2
	v_and_b32_e32 v25, 7, v2
	v_ffbh_u32_e32 v3, v25
	v_min_u32_e32 v27, 32, v3
	v_subrev_u32_e32 v3, 28, v27
	v_lshlrev_b64 v[2:3], v3, v[2:3]
	v_lshrrev_b32_e32 v26, 3, v23
	v_sub_u32_e32 v3, 29, v27
	v_and_b32_e32 v2, 7, v2
	v_cmp_gt_u32_e32 vcc, 8, v23
	v_cndmask_b32_e32 v3, v26, v3, vcc
	v_cndmask_b32_e32 v2, v25, v2, vcc
	v_lshlrev_b32_e32 v5, 24, v5
	v_lshlrev_b32_e32 v2, 20, v2
	v_and_b32_e32 v5, 0x80000000, v5
	v_lshl_add_u32 v3, v3, 23, v49
	v_or3_b32 v3, v5, v3, v2
.LBB2_4523:                             ;   in Loop: Header=BB2_4372 Depth=2
	s_or_b64 exec, exec, s[58:59]
.LBB2_4524:                             ;   in Loop: Header=BB2_4372 Depth=2
	s_or_b64 exec, exec, s[18:19]
.LBB2_4525:                             ;   in Loop: Header=BB2_4372 Depth=2
	s_or_b64 exec, exec, s[20:21]
	v_and_b32_e32 v2, 0xff, v4
	v_cmp_ne_u16_e32 vcc, 0, v2
	s_and_saveexec_b64 s[18:19], vcc
	s_cbranch_execz .LBB2_4531
; %bb.4526:                             ;   in Loop: Header=BB2_4372 Depth=2
	v_cmp_ne_u16_e32 vcc, s68, v2
	v_bfrev_b32_e32 v16, 1
	s_and_saveexec_b64 s[20:21], vcc
	s_cbranch_execz .LBB2_4530
; %bb.4527:                             ;   in Loop: Header=BB2_4372 Depth=2
	v_and_b32_e32 v5, 0x7f, v4
	v_cmp_ne_u32_e32 vcc, s69, v5
	v_mov_b32_e32 v16, 0x7f800001
	s_and_saveexec_b64 s[58:59], vcc
	s_cbranch_execz .LBB2_4529
; %bb.4528:                             ;   in Loop: Header=BB2_4372 Depth=2
	v_and_b32_e32 v16, 7, v2
	v_ffbh_u32_e32 v25, v16
	v_min_u32_e32 v25, 32, v25
	v_subrev_u32_e32 v26, 28, v25
	v_lshlrev_b64 v[26:27], v26, v[2:3]
	v_lshrrev_b32_e32 v23, 3, v5
	v_sub_u32_e32 v2, 29, v25
	v_and_b32_e32 v25, 7, v26
	v_cmp_gt_u32_e32 vcc, 8, v5
	v_cndmask_b32_e32 v2, v23, v2, vcc
	v_cndmask_b32_e32 v5, v16, v25, vcc
	v_lshlrev_b32_e32 v4, 24, v4
	v_lshlrev_b32_e32 v5, 20, v5
	v_and_b32_e32 v4, 0x80000000, v4
	v_lshl_add_u32 v2, v2, 23, v49
	v_or3_b32 v16, v4, v2, v5
.LBB2_4529:                             ;   in Loop: Header=BB2_4372 Depth=2
	s_or_b64 exec, exec, s[58:59]
.LBB2_4530:                             ;   in Loop: Header=BB2_4372 Depth=2
	s_or_b64 exec, exec, s[20:21]
.LBB2_4531:                             ;   in Loop: Header=BB2_4372 Depth=2
	s_or_b64 exec, exec, s[18:19]
	v_max_f32_e32 v2, v16, v16
	v_max_f32_e32 v3, v3, v3
	v_min_f32_e32 v16, v3, v2
.LBB2_4532:                             ;   in Loop: Header=BB2_4372 Depth=2
	v_and_b32_sdwa v4, v16, s68 dst_sel:DWORD dst_unused:UNUSED_PAD src0_sel:BYTE_3 src1_sel:DWORD
	v_and_b32_e32 v26, 0x7f800000, v16
	v_mov_b32_e32 v27, v53
	v_and_b32_e32 v52, 0x7fffff, v16
	v_or_b32_e32 v3, 0x7e, v4
	v_cmp_ne_u64_e32 vcc, s[40:41], v[26:27]
	s_and_saveexec_b64 s[18:19], vcc
	s_xor_b64 s[20:21], exec, s[18:19]
	s_cbranch_execz .LBB2_4546
; %bb.4533:                             ;   in Loop: Header=BB2_4372 Depth=2
	v_and_b32_e32 v26, 0x7fffffff, v16
	v_mov_b32_e32 v27, v53
	v_cmp_gt_u64_e32 vcc, s[42:43], v[26:27]
	s_and_saveexec_b64 s[18:19], vcc
	s_xor_b64 s[58:59], exec, s[18:19]
	s_cbranch_execz .LBB2_4545
; %bb.4534:                             ;   in Loop: Header=BB2_4372 Depth=2
	v_cmp_ne_u32_e32 vcc, 0, v16
	v_mov_b32_e32 v3, 0
	s_and_saveexec_b64 s[60:61], vcc
	s_cbranch_execz .LBB2_4544
; %bb.4535:                             ;   in Loop: Header=BB2_4372 Depth=2
	v_bfe_u32 v2, v16, 23, 8
	v_sub_u32_e32 v5, 0x79, v2
	v_cmp_gt_u32_e32 vcc, s72, v2
	v_add_u32_e32 v3, 0xffffff81, v2
	v_cndmask_b32_e32 v5, 0, v5, vcc
	v_cmp_eq_u32_e32 vcc, 0, v2
	v_mov_b32_e32 v2, 0xffffff82
	v_cndmask_b32_e32 v23, v3, v2, vcc
	v_mov_b32_e32 v2, 0x78
	v_or_b32_e32 v16, 0x800000, v52
	v_cndmask_b32_e32 v5, v5, v2, vcc
	v_cndmask_b32_e32 v52, v16, v52, vcc
	v_add_u32_e32 v2, 20, v5
	v_lshlrev_b64 v[2:3], v2, -1
	v_add_u32_e32 v16, 19, v5
	v_lshrrev_b64 v[28:29], v5, v[52:53]
	v_not_b32_e32 v3, v3
	v_not_b32_e32 v2, v2
	v_lshlrev_b64 v[26:27], v16, 1
	v_lshrrev_b32_e32 v16, 23, v28
	v_and_b32_e32 v3, 0, v3
	v_and_b32_e32 v2, v52, v2
	v_add3_u32 v23, v5, v23, v16
	v_bfe_u32 v5, v28, 20, 1
	v_add_u32_e32 v5, -1, v5
	v_cmp_eq_u64_e32 vcc, v[2:3], v[26:27]
	v_cndmask_b32_e32 v2, 0, v5, vcc
	v_add_u32_e32 v2, v2, v28
	v_and_b32_e32 v2, 0xfffff, v2
	v_add_co_u32_e32 v2, vcc, v2, v28
	v_add_u32_e32 v16, 6, v23
	v_addc_co_u32_e32 v3, vcc, 0, v29, vcc
	v_cmp_ne_u32_e32 vcc, 0, v16
                                        ; implicit-def: $vgpr5
	s_and_saveexec_b64 s[18:19], vcc
	s_xor_b64 s[18:19], exec, s[18:19]
; %bb.4536:                             ;   in Loop: Header=BB2_4372 Depth=2
	v_add_u32_e32 v5, 7, v23
	v_cmp_lt_u64_e32 vcc, s[46:47], v[2:3]
	v_cndmask_b32_e32 v5, v16, v5, vcc
	v_cndmask_b32_e64 v16, 0, 1, vcc
	v_lshrrev_b64 v[2:3], v16, v[2:3]
; %bb.4537:                             ;   in Loop: Header=BB2_4372 Depth=2
	s_andn2_saveexec_b64 s[18:19], s[18:19]
; %bb.4538:                             ;   in Loop: Header=BB2_4372 Depth=2
	v_bfe_u32 v5, v2, 23, 1
; %bb.4539:                             ;   in Loop: Header=BB2_4372 Depth=2
	s_or_b64 exec, exec, s[18:19]
	v_lshrrev_b64 v[2:3], 20, v[2:3]
	v_cmp_gt_i32_e32 vcc, 16, v5
	v_cndmask_b32_e32 v3, 0, v3, vcc
	v_cndmask_b32_e32 v2, 7, v2, vcc
	v_cmp_ne_u32_e32 vcc, 0, v5
	v_cmp_ne_u64_e64 s[18:19], 0, v[2:3]
	s_or_b64 s[18:19], vcc, s[18:19]
                                        ; implicit-def: $vgpr3
	s_and_saveexec_b64 vcc, s[18:19]
	s_xor_b64 s[18:19], exec, vcc
; %bb.4540:                             ;   in Loop: Header=BB2_4372 Depth=2
	v_min_i32_e32 v3, 15, v5
	v_lshl_or_b32 v3, v3, 3, v4
	v_and_or_b32 v3, v2, 7, v3
                                        ; implicit-def: $vgpr4
; %bb.4541:                             ;   in Loop: Header=BB2_4372 Depth=2
	s_andn2_saveexec_b64 s[18:19], s[18:19]
; %bb.4542:                             ;   in Loop: Header=BB2_4372 Depth=2
	v_mov_b32_e32 v3, v4
; %bb.4543:                             ;   in Loop: Header=BB2_4372 Depth=2
	s_or_b64 exec, exec, s[18:19]
.LBB2_4544:                             ;   in Loop: Header=BB2_4372 Depth=2
	s_or_b64 exec, exec, s[60:61]
.LBB2_4545:                             ;   in Loop: Header=BB2_4372 Depth=2
	s_andn2_saveexec_b64 s[18:19], s[58:59]
	s_or_b64 exec, exec, s[18:19]
                                        ; implicit-def: $vgpr16
.LBB2_4546:                             ;   in Loop: Header=BB2_4372 Depth=2
	s_andn2_saveexec_b64 s[18:19], s[20:21]
	s_cbranch_execz .LBB2_4371
; %bb.4547:                             ;   in Loop: Header=BB2_4372 Depth=2
	v_or_b32_sdwa v2, v16, s69 dst_sel:DWORD dst_unused:UNUSED_PAD src0_sel:BYTE_3 src1_sel:DWORD
	v_cmp_eq_u64_e32 vcc, 0, v[52:53]
	v_cndmask_b32_e32 v3, v2, v3, vcc
	s_branch .LBB2_4371
.LBB2_4548:                             ;   in Loop: Header=BB2_2366 Depth=1
	s_or_b64 exec, exec, s[54:55]
.LBB2_4549:                             ;   in Loop: Header=BB2_2366 Depth=1
	s_or_b64 exec, exec, s[22:23]
	v_lshlrev_b32_e32 v2, 8, v20
	v_cmp_ne_u32_e32 vcc, v1, v2
	s_and_b64 exec, exec, vcc
	s_cbranch_execz .LBB2_4597
; %bb.4550:                             ;   in Loop: Header=BB2_2366 Depth=1
	v_add_u32_e32 v3, v17, v19
	v_and_b32_e32 v3, 0xffffffc0, v3
	v_sub_u32_e32 v3, v17, v3
	v_lshlrev_b32_e32 v4, 6, v18
	v_sub_u32_e32 v3, v3, v4
	v_add_u32_e32 v2, v2, v3
	v_sub_u32_e32 v1, v1, v2
	v_cmp_lt_i32_e32 vcc, 0, v1
	s_and_b64 exec, exec, vcc
	s_cbranch_execz .LBB2_4597
; %bb.4551:                             ;   in Loop: Header=BB2_2366 Depth=1
	s_trap 2
	ds_read_b128 v[10:13], v0
	v_add_u32_e32 v0, v2, v0
	ds_read_b64 v[4:5], v0
	v_ashrrev_i32_e32 v14, 31, v0
	s_bitcmp1_b32 s64, 0
	s_waitcnt lgkmcnt(0)
	v_add_co_u32_e32 v2, vcc, v10, v0
	v_addc_co_u32_e32 v3, vcc, v11, v14, vcc
	v_add_co_u32_e32 v10, vcc, v12, v0
	v_addc_co_u32_e32 v11, vcc, v13, v14, vcc
	;; [unrolled: 2-line block ×3, first 2 shown]
	s_mov_b64 s[54:55], 0
	s_cselect_b64 s[56:57], -1, 0
	s_branch .LBB2_4553
.LBB2_4552:                             ;   in Loop: Header=BB2_4553 Depth=2
	s_or_b64 exec, exec, s[18:19]
	v_accvgpr_read_b32 v0, a32
	v_add_co_u32_e32 v2, vcc, v2, v0
	v_accvgpr_read_b32 v5, a31
	v_addc_co_u32_e32 v3, vcc, v3, v5, vcc
	v_add_co_u32_e32 v10, vcc, v10, v0
	v_addc_co_u32_e32 v11, vcc, v11, v5, vcc
	v_sub_u32_e32 v1, v1, v0
	v_cmp_gt_i32_e32 vcc, 1, v1
	flat_store_byte v[12:13], v4 glc slc
	s_or_b64 s[54:55], vcc, s[54:55]
	v_add_co_u32_e32 v12, vcc, v12, v0
	v_addc_co_u32_e32 v13, vcc, v13, v5, vcc
	s_andn2_b64 exec, exec, s[54:55]
	s_cbranch_execz .LBB2_4597
.LBB2_4553:                             ;   Parent Loop BB2_2366 Depth=1
                                        ; =>  This Inner Loop Header: Depth=2
	flat_load_ubyte v4, v[10:11] glc slc
	flat_load_ubyte v5, v[2:3] glc slc
	s_and_b64 vcc, exec, s[56:57]
	s_waitcnt vmcnt(0) lgkmcnt(0)
	v_cmp_ne_u16_e64 s[20:21], 0, v4
	v_cmp_ne_u16_e64 s[18:19], s68, v4
	v_and_b32_sdwa v0, sext(v4), s71 dst_sel:DWORD dst_unused:UNUSED_PAD src0_sel:BYTE_0 src1_sel:DWORD
	v_cmp_ne_u16_e64 s[22:23], 0, v5
	s_cbranch_vccz .LBB2_4567
; %bb.4554:                             ;   in Loop: Header=BB2_4553 Depth=2
	v_mov_b32_e32 v15, 0
	v_mov_b32_e32 v16, 0
	s_and_saveexec_b64 s[58:59], s[22:23]
	s_cbranch_execz .LBB2_4560
; %bb.4555:                             ;   in Loop: Header=BB2_4553 Depth=2
	v_cmp_ne_u16_e32 vcc, s68, v5
	v_bfrev_b32_e32 v16, 1
	s_and_saveexec_b64 s[60:61], vcc
	s_cbranch_execz .LBB2_4559
; %bb.4556:                             ;   in Loop: Header=BB2_4553 Depth=2
	v_and_b32_e32 v14, 0xffff, v5
	v_and_b32_e32 v17, 0x7f, v14
	v_cmp_ne_u32_e32 vcc, s69, v17
	v_mov_b32_e32 v16, 0x7f800001
	s_and_saveexec_b64 s[62:63], vcc
	s_cbranch_execz .LBB2_4558
; %bb.4557:                             ;   in Loop: Header=BB2_4553 Depth=2
	v_and_b32_e32 v16, 7, v14
	v_ffbh_u32_e32 v18, v16
	v_min_u32_e32 v21, 32, v18
	v_subrev_u32_e32 v18, 28, v21
	v_lshlrev_b64 v[18:19], v18, v[14:15]
	v_lshrrev_b32_e32 v20, 3, v17
	v_sub_u32_e32 v14, 29, v21
	v_and_b32_e32 v18, 7, v18
	v_cmp_gt_u32_e32 vcc, 8, v17
	v_cndmask_b32_e32 v14, v20, v14, vcc
	v_cndmask_b32_e32 v16, v16, v18, vcc
	v_lshlrev_b32_e32 v17, 24, v5
	v_lshlrev_b32_e32 v16, 20, v16
	v_and_b32_e32 v17, 0x80000000, v17
	v_lshl_add_u32 v14, v14, 23, v49
	v_or3_b32 v16, v17, v14, v16
.LBB2_4558:                             ;   in Loop: Header=BB2_4553 Depth=2
	s_or_b64 exec, exec, s[62:63]
.LBB2_4559:                             ;   in Loop: Header=BB2_4553 Depth=2
	s_or_b64 exec, exec, s[60:61]
.LBB2_4560:                             ;   in Loop: Header=BB2_4553 Depth=2
	s_or_b64 exec, exec, s[58:59]
	s_and_saveexec_b64 s[58:59], s[20:21]
	s_cbranch_execz .LBB2_4566
; %bb.4561:                             ;   in Loop: Header=BB2_4553 Depth=2
	v_bfrev_b32_e32 v15, 1
	s_and_saveexec_b64 s[60:61], s[18:19]
	s_cbranch_execz .LBB2_4565
; %bb.4562:                             ;   in Loop: Header=BB2_4553 Depth=2
	v_and_b32_e32 v14, 0xffff, v4
	v_and_b32_e32 v17, 0x7f, v14
	v_cmp_ne_u32_e32 vcc, s69, v17
	v_mov_b32_e32 v15, 0x7f800001
	s_and_saveexec_b64 s[62:63], vcc
	s_cbranch_execz .LBB2_4564
; %bb.4563:                             ;   in Loop: Header=BB2_4553 Depth=2
	v_and_b32_e32 v18, 7, v14
	v_ffbh_u32_e32 v15, v18
	v_min_u32_e32 v20, 32, v15
	v_subrev_u32_e32 v15, 28, v20
	v_lshlrev_b64 v[14:15], v15, v[14:15]
	v_and_b32_e32 v14, 7, v14
	v_cmp_gt_u32_e32 vcc, 8, v17
	v_lshrrev_b32_e32 v19, 3, v17
	v_sub_u32_e32 v15, 29, v20
	v_cndmask_b32_e32 v14, v18, v14, vcc
	v_cndmask_b32_e32 v15, v19, v15, vcc
	v_lshlrev_b32_e32 v14, 20, v14
	v_lshl_or_b32 v14, v15, 23, v14
	v_add_u32_e32 v14, 0x3c000000, v14
	v_or_b32_e32 v15, v14, v0
.LBB2_4564:                             ;   in Loop: Header=BB2_4553 Depth=2
	s_or_b64 exec, exec, s[62:63]
.LBB2_4565:                             ;   in Loop: Header=BB2_4553 Depth=2
	s_or_b64 exec, exec, s[60:61]
.LBB2_4566:                             ;   in Loop: Header=BB2_4553 Depth=2
	s_or_b64 exec, exec, s[58:59]
	v_max_f32_e32 v14, v15, v15
	v_max_f32_e32 v15, v16, v16
	;; [unrolled: 1-line block ×3, first 2 shown]
	s_branch .LBB2_4581
.LBB2_4567:                             ;   in Loop: Header=BB2_4553 Depth=2
                                        ; implicit-def: $vgpr14
	s_cbranch_execz .LBB2_4581
; %bb.4568:                             ;   in Loop: Header=BB2_4553 Depth=2
	v_mov_b32_e32 v15, 0
	v_mov_b32_e32 v16, 0
	s_and_saveexec_b64 s[58:59], s[22:23]
	s_cbranch_execz .LBB2_4574
; %bb.4569:                             ;   in Loop: Header=BB2_4553 Depth=2
	v_cmp_ne_u16_e32 vcc, s68, v5
	v_bfrev_b32_e32 v16, 1
	s_and_saveexec_b64 s[22:23], vcc
	s_cbranch_execz .LBB2_4573
; %bb.4570:                             ;   in Loop: Header=BB2_4553 Depth=2
	v_and_b32_e32 v14, 0xffff, v5
	v_and_b32_e32 v17, 0x7f, v14
	v_cmp_ne_u32_e32 vcc, s69, v17
	v_mov_b32_e32 v16, 0x7f800001
	s_and_saveexec_b64 s[60:61], vcc
	s_cbranch_execz .LBB2_4572
; %bb.4571:                             ;   in Loop: Header=BB2_4553 Depth=2
	v_and_b32_e32 v16, 7, v14
	v_ffbh_u32_e32 v18, v16
	v_min_u32_e32 v21, 32, v18
	v_subrev_u32_e32 v18, 28, v21
	v_lshlrev_b64 v[18:19], v18, v[14:15]
	v_lshrrev_b32_e32 v20, 3, v17
	v_sub_u32_e32 v14, 29, v21
	v_and_b32_e32 v18, 7, v18
	v_cmp_gt_u32_e32 vcc, 8, v17
	v_cndmask_b32_e32 v14, v20, v14, vcc
	v_cndmask_b32_e32 v16, v16, v18, vcc
	v_lshlrev_b32_e32 v5, 24, v5
	v_lshlrev_b32_e32 v16, 20, v16
	v_and_b32_e32 v5, 0x80000000, v5
	v_lshl_add_u32 v14, v14, 23, v49
	v_or3_b32 v16, v5, v14, v16
.LBB2_4572:                             ;   in Loop: Header=BB2_4553 Depth=2
	s_or_b64 exec, exec, s[60:61]
.LBB2_4573:                             ;   in Loop: Header=BB2_4553 Depth=2
	s_or_b64 exec, exec, s[22:23]
.LBB2_4574:                             ;   in Loop: Header=BB2_4553 Depth=2
	s_or_b64 exec, exec, s[58:59]
	s_and_saveexec_b64 s[22:23], s[20:21]
	s_cbranch_execz .LBB2_4580
; %bb.4575:                             ;   in Loop: Header=BB2_4553 Depth=2
	v_bfrev_b32_e32 v15, 1
	s_and_saveexec_b64 s[20:21], s[18:19]
	s_cbranch_execz .LBB2_4579
; %bb.4576:                             ;   in Loop: Header=BB2_4553 Depth=2
	v_and_b32_e32 v14, 0xffff, v4
	v_and_b32_e32 v4, 0x7f, v14
	v_cmp_ne_u32_e32 vcc, s69, v4
	v_mov_b32_e32 v15, 0x7f800001
	s_and_saveexec_b64 s[18:19], vcc
	s_cbranch_execz .LBB2_4578
; %bb.4577:                             ;   in Loop: Header=BB2_4553 Depth=2
	v_and_b32_e32 v5, 7, v14
	v_ffbh_u32_e32 v15, v5
	v_min_u32_e32 v18, 32, v15
	v_subrev_u32_e32 v15, 28, v18
	v_lshlrev_b64 v[14:15], v15, v[14:15]
	v_and_b32_e32 v14, 7, v14
	v_cmp_gt_u32_e32 vcc, 8, v4
	v_lshrrev_b32_e32 v17, 3, v4
	v_sub_u32_e32 v15, 29, v18
	v_cndmask_b32_e32 v5, v5, v14, vcc
	v_cndmask_b32_e32 v4, v17, v15, vcc
	v_lshlrev_b32_e32 v5, 20, v5
	v_lshl_or_b32 v4, v4, 23, v5
	v_add_u32_e32 v4, 0x3c000000, v4
	v_or_b32_e32 v15, v4, v0
.LBB2_4578:                             ;   in Loop: Header=BB2_4553 Depth=2
	s_or_b64 exec, exec, s[18:19]
.LBB2_4579:                             ;   in Loop: Header=BB2_4553 Depth=2
	s_or_b64 exec, exec, s[20:21]
.LBB2_4580:                             ;   in Loop: Header=BB2_4553 Depth=2
	s_or_b64 exec, exec, s[22:23]
	v_max_f32_e32 v0, v15, v15
	v_max_f32_e32 v4, v16, v16
	v_min_f32_e32 v14, v4, v0
.LBB2_4581:                             ;   in Loop: Header=BB2_4553 Depth=2
	v_and_b32_sdwa v0, v14, s68 dst_sel:DWORD dst_unused:UNUSED_PAD src0_sel:BYTE_3 src1_sel:DWORD
	v_and_b32_e32 v16, 0x7f800000, v14
	v_mov_b32_e32 v17, v53
	v_and_b32_e32 v52, 0x7fffff, v14
	v_or_b32_e32 v4, 0x7e, v0
	v_cmp_ne_u64_e32 vcc, s[40:41], v[16:17]
	s_and_saveexec_b64 s[18:19], vcc
	s_xor_b64 s[20:21], exec, s[18:19]
	s_cbranch_execz .LBB2_4595
; %bb.4582:                             ;   in Loop: Header=BB2_4553 Depth=2
	v_and_b32_e32 v16, 0x7fffffff, v14
	v_mov_b32_e32 v17, v53
	v_cmp_gt_u64_e32 vcc, s[42:43], v[16:17]
	s_and_saveexec_b64 s[18:19], vcc
	s_xor_b64 s[22:23], exec, s[18:19]
	s_cbranch_execz .LBB2_4594
; %bb.4583:                             ;   in Loop: Header=BB2_4553 Depth=2
	v_cmp_ne_u32_e32 vcc, 0, v14
	v_mov_b32_e32 v4, 0
	s_and_saveexec_b64 s[58:59], vcc
	s_cbranch_execz .LBB2_4593
; %bb.4584:                             ;   in Loop: Header=BB2_4553 Depth=2
	v_bfe_u32 v4, v14, 23, 8
	v_sub_u32_e32 v14, 0x79, v4
	v_cmp_gt_u32_e32 vcc, s72, v4
	v_add_u32_e32 v5, 0xffffff81, v4
	v_cndmask_b32_e32 v14, 0, v14, vcc
	v_cmp_eq_u32_e32 vcc, 0, v4
	v_mov_b32_e32 v4, 0xffffff82
	v_cndmask_b32_e32 v16, v5, v4, vcc
	v_mov_b32_e32 v4, 0x78
	v_cndmask_b32_e32 v17, v14, v4, vcc
	v_add_u32_e32 v4, 20, v17
	v_or_b32_e32 v15, 0x800000, v52
	v_lshlrev_b64 v[4:5], v4, -1
	v_cndmask_b32_e32 v52, v15, v52, vcc
	v_not_b32_e32 v4, v4
	v_not_b32_e32 v5, v5
	v_and_b32_e32 v14, v52, v4
	v_add_u32_e32 v4, 19, v17
	v_lshrrev_b64 v[20:21], v17, v[52:53]
	v_and_b32_e32 v15, 0, v5
	v_lshlrev_b64 v[18:19], v4, 1
	v_bfe_u32 v5, v20, 20, 1
	v_add_u32_e32 v5, -1, v5
	v_cmp_eq_u64_e32 vcc, v[14:15], v[18:19]
	v_cndmask_b32_e32 v5, 0, v5, vcc
	v_add_u32_e32 v5, v5, v20
	v_lshrrev_b32_e32 v4, 23, v20
	v_and_b32_e32 v5, 0xfffff, v5
	v_add3_u32 v16, v17, v16, v4
	v_add_co_u32_e32 v14, vcc, v5, v20
	v_add_u32_e32 v4, 6, v16
	v_addc_co_u32_e32 v15, vcc, 0, v21, vcc
	v_cmp_ne_u32_e32 vcc, 0, v4
                                        ; implicit-def: $vgpr5
	s_and_saveexec_b64 s[18:19], vcc
	s_xor_b64 s[18:19], exec, s[18:19]
; %bb.4585:                             ;   in Loop: Header=BB2_4553 Depth=2
	v_add_u32_e32 v5, 7, v16
	v_cmp_lt_u64_e32 vcc, s[46:47], v[14:15]
	v_cndmask_b32_e32 v5, v4, v5, vcc
	v_cndmask_b32_e64 v4, 0, 1, vcc
	v_lshrrev_b64 v[14:15], v4, v[14:15]
; %bb.4586:                             ;   in Loop: Header=BB2_4553 Depth=2
	s_andn2_saveexec_b64 s[18:19], s[18:19]
; %bb.4587:                             ;   in Loop: Header=BB2_4553 Depth=2
	v_bfe_u32 v5, v14, 23, 1
; %bb.4588:                             ;   in Loop: Header=BB2_4553 Depth=2
	s_or_b64 exec, exec, s[18:19]
	v_lshrrev_b64 v[14:15], 20, v[14:15]
	v_cmp_gt_i32_e32 vcc, 16, v5
	v_cndmask_b32_e32 v15, 0, v15, vcc
	v_cndmask_b32_e32 v14, 7, v14, vcc
	v_cmp_ne_u32_e32 vcc, 0, v5
	v_cmp_ne_u64_e64 s[18:19], 0, v[14:15]
	s_or_b64 s[18:19], vcc, s[18:19]
                                        ; implicit-def: $vgpr4
	s_and_saveexec_b64 vcc, s[18:19]
	s_xor_b64 s[18:19], exec, vcc
; %bb.4589:                             ;   in Loop: Header=BB2_4553 Depth=2
	v_min_i32_e32 v4, 15, v5
	v_lshl_or_b32 v0, v4, 3, v0
	v_and_or_b32 v4, v14, 7, v0
                                        ; implicit-def: $vgpr0
; %bb.4590:                             ;   in Loop: Header=BB2_4553 Depth=2
	s_andn2_saveexec_b64 s[18:19], s[18:19]
; %bb.4591:                             ;   in Loop: Header=BB2_4553 Depth=2
	v_mov_b32_e32 v4, v0
; %bb.4592:                             ;   in Loop: Header=BB2_4553 Depth=2
	s_or_b64 exec, exec, s[18:19]
.LBB2_4593:                             ;   in Loop: Header=BB2_4553 Depth=2
	s_or_b64 exec, exec, s[58:59]
.LBB2_4594:                             ;   in Loop: Header=BB2_4553 Depth=2
	s_andn2_saveexec_b64 s[18:19], s[22:23]
	s_or_b64 exec, exec, s[18:19]
                                        ; implicit-def: $vgpr14
.LBB2_4595:                             ;   in Loop: Header=BB2_4553 Depth=2
	s_andn2_saveexec_b64 s[18:19], s[20:21]
	s_cbranch_execz .LBB2_4552
; %bb.4596:                             ;   in Loop: Header=BB2_4553 Depth=2
	v_or_b32_sdwa v0, v14, s69 dst_sel:DWORD dst_unused:UNUSED_PAD src0_sel:BYTE_3 src1_sel:DWORD
	v_cmp_eq_u64_e32 vcc, 0, v[52:53]
	v_cndmask_b32_e32 v4, v0, v4, vcc
	s_branch .LBB2_4552
.LBB2_4597:                             ;   in Loop: Header=BB2_2366 Depth=1
	s_or_b64 exec, exec, s[52:53]
	v_accvgpr_read_b32 v0, a35
	v_cmp_ne_u32_e64 s[18:19], 0, v0
	v_accvgpr_read_b32 v12, a34
	v_accvgpr_read_b32 v14, a33
.LBB2_4598:                             ;   in Loop: Header=BB2_2366 Depth=1
	s_and_saveexec_b64 s[20:21], s[10:11]
	s_cbranch_execz .LBB2_4617
; %bb.4599:                             ;   in Loop: Header=BB2_2366 Depth=1
	s_and_saveexec_b64 s[22:23], s[34:35]
	s_xor_b64 s[22:23], exec, s[22:23]
	s_cbranch_execz .LBB2_4614
; %bb.4600:                             ;   in Loop: Header=BB2_2366 Depth=1
	s_and_saveexec_b64 s[52:53], s[12:13]
	s_cbranch_execz .LBB2_4613
; %bb.4601:                             ;   in Loop: Header=BB2_2366 Depth=1
	s_mov_b64 s[56:57], exec
	v_mbcnt_lo_u32_b32 v0, s56, 0
	v_mbcnt_hi_u32_b32 v0, s57, v0
	v_cmp_eq_u32_e32 vcc, 0, v0
	s_waitcnt vmcnt(0) lgkmcnt(0)
	buffer_wbinvl1_vol
	s_and_saveexec_b64 s[54:55], vcc
	s_cbranch_execz .LBB2_4603
; %bb.4602:                             ;   in Loop: Header=BB2_2366 Depth=1
	s_bcnt1_i32_b64 vcc_lo, s[56:57]
	v_mov_b32_e32 v52, vcc_lo
	ds_add_u64 v0, v[52:53]
	s_trap 2
.LBB2_4603:                             ;   in Loop: Header=BB2_2366 Depth=1
	s_or_b64 exec, exec, s[54:55]
	s_trap 2
	ds_read_b64 v[0:1], v0
	v_accvgpr_read_b32 v2, a16
	v_accvgpr_read_b32 v3, a17
	v_add_co_u32_e32 v2, vcc, v2, v60
	v_addc_co_u32_e32 v3, vcc, 0, v3, vcc
	v_accvgpr_write_b32 a17, v3
	v_accvgpr_write_b32 a16, v2
	s_waitcnt lgkmcnt(0)
	v_cmp_lt_u64_e32 vcc, v[0:1], v[2:3]
	s_and_saveexec_b64 s[54:55], vcc
	s_cbranch_execz .LBB2_4612
; %bb.4604:                             ;   in Loop: Header=BB2_2366 Depth=1
	s_mov_b32 s74, 0
	s_mov_b64 s[56:57], 0
                                        ; implicit-def: $sgpr58_sgpr59
                                        ; implicit-def: $sgpr60_sgpr61
	s_branch .LBB2_4606
.LBB2_4605:                             ;   in Loop: Header=BB2_4606 Depth=2
	s_or_b64 exec, exec, s[64:65]
	s_and_b64 vcc, exec, vcc
	s_or_b64 s[56:57], vcc, s[56:57]
	s_andn2_b64 vcc, s[58:59], exec
	s_and_b64 s[58:59], s[60:61], exec
	s_or_b64 s[58:59], vcc, s[58:59]
	s_andn2_b64 exec, exec, s[56:57]
	s_cbranch_execz .LBB2_4610
.LBB2_4606:                             ;   Parent Loop BB2_2366 Depth=1
                                        ; =>  This Inner Loop Header: Depth=2
	s_add_i32 s74, s74, 1
	s_cmpk_lg_i32 s74, 0x2710
	s_cselect_b64 s[62:63], -1, 0
	s_and_b64 vcc, exec, s[62:63]
                                        ; implicit-def: $sgpr64_sgpr65
	s_cbranch_vccnz .LBB2_4608
; %bb.4607:                             ;   in Loop: Header=BB2_4606 Depth=2
	s_trap 2
	ds_read_b64 v[0:1], v0
	s_andn2_b64 s[62:63], s[62:63], exec
	s_mov_b32 s74, 0
	s_mov_b64 s[64:65], -1
	s_waitcnt lgkmcnt(0)
	flat_load_dword v0, v[0:1] glc
	s_waitcnt vmcnt(0) lgkmcnt(0)
	buffer_invl2
	buffer_wbinvl1_vol
	v_cmp_eq_u32_e32 vcc, 0, v0
	s_and_b64 vcc, vcc, exec
	s_or_b64 s[62:63], s[62:63], vcc
.LBB2_4608:                             ;   in Loop: Header=BB2_4606 Depth=2
	s_andn2_b64 s[60:61], s[60:61], exec
	s_and_b64 s[64:65], s[64:65], exec
	s_mov_b64 vcc, -1
	s_or_b64 s[60:61], s[60:61], s[64:65]
	s_and_saveexec_b64 s[64:65], s[62:63]
	s_cbranch_execz .LBB2_4605
; %bb.4609:                             ;   in Loop: Header=BB2_4606 Depth=2
	s_sleep 1
	s_trap 2
	ds_read_b64 v[0:1], v0
	v_accvgpr_read_b32 v2, a16
	v_accvgpr_read_b32 v3, a17
	s_andn2_b64 s[60:61], s[60:61], exec
	s_waitcnt lgkmcnt(0)
	v_cmp_ge_u64_e32 vcc, v[0:1], v[2:3]
	s_orn2_b64 vcc, vcc, exec
	s_branch .LBB2_4605
.LBB2_4610:                             ;   in Loop: Header=BB2_2366 Depth=1
	s_or_b64 exec, exec, s[56:57]
	s_and_saveexec_b64 vcc, s[58:59]
	s_xor_b64 vcc, exec, vcc
	s_cbranch_execz .LBB2_4612
; %bb.4611:                             ;   in Loop: Header=BB2_2366 Depth=1
	v_mov_b32_e32 v0, 1
	ds_write_b32 v0, v0
	s_trap 2
.LBB2_4612:                             ;   in Loop: Header=BB2_2366 Depth=1
	s_or_b64 exec, exec, s[54:55]
	;;#ASMSTART
	s_wakeup
	;;#ASMEND
.LBB2_4613:                             ;   in Loop: Header=BB2_2366 Depth=1
	s_or_b64 exec, exec, s[52:53]
.LBB2_4614:                             ;   in Loop: Header=BB2_2366 Depth=1
	s_andn2_saveexec_b64 s[22:23], s[22:23]
	s_cbranch_execz .LBB2_4616
; %bb.4615:                             ;   in Loop: Header=BB2_2366 Depth=1
	s_waitcnt vmcnt(0) lgkmcnt(0)
	buffer_wbinvl1_vol
	s_barrier
.LBB2_4616:                             ;   in Loop: Header=BB2_2366 Depth=1
	s_or_b64 exec, exec, s[22:23]
.LBB2_4617:                             ;   in Loop: Header=BB2_2366 Depth=1
	s_or_b64 exec, exec, s[20:21]
	v_and_b32_e32 v0, 16, v62
	v_cmp_ne_u32_e32 vcc, 0, v0
	s_and_b64 s[20:21], vcc, s[18:19]
	s_and_saveexec_b64 s[18:19], s[20:21]
	s_cbranch_execz .LBB2_4619
; %bb.4618:                             ;   in Loop: Header=BB2_2366 Depth=1
	s_waitcnt vmcnt(0) lgkmcnt(0)
	buffer_wbinvl1_vol
.LBB2_4619:                             ;   in Loop: Header=BB2_2366 Depth=1
	s_or_b64 exec, exec, s[18:19]
	v_and_b32_e32 v0, 32, v62
	v_cmp_ne_u32_e32 vcc, 0, v0
	s_and_saveexec_b64 s[18:19], vcc
	s_cbranch_execz .LBB2_4621
; %bb.4620:                             ;   in Loop: Header=BB2_2366 Depth=1
	v_add_co_u32_e32 v8, vcc, 1, v8
	v_addc_co_u32_e32 v9, vcc, 0, v9, vcc
	flat_store_dwordx2 v[32:33], v[8:9]
.LBB2_4621:                             ;   in Loop: Header=BB2_2366 Depth=1
	s_or_b64 exec, exec, s[18:19]
	v_mov_b32_e32 v0, v14
.LBB2_4622:                             ;   in Loop: Header=BB2_2366 Depth=1
	s_or_b64 exec, exec, s[50:51]
	s_and_saveexec_b64 s[20:21], s[48:49]
	s_cbranch_execz .LBB2_2365
; %bb.4623:                             ;   in Loop: Header=BB2_2366 Depth=1
	v_and_b32_e32 v1, 4, v62
	v_cmp_ne_u32_e32 vcc, 0, v1
	s_mov_b64 s[22:23], -1
	s_and_saveexec_b64 s[18:19], vcc
	s_cbranch_execnz .LBB2_4626
; %bb.4624:                             ;   in Loop: Header=BB2_2366 Depth=1
	s_or_b64 exec, exec, s[18:19]
	s_xor_b64 s[18:19], s[22:23], -1
	s_and_saveexec_b64 s[22:23], s[18:19]
	s_cbranch_execnz .LBB2_4637
.LBB2_4625:                             ;   in Loop: Header=BB2_2366 Depth=1
	s_or_b64 exec, exec, s[22:23]
	s_and_saveexec_b64 s[18:19], s[10:11]
	s_cbranch_execnz .LBB2_4646
	s_branch .LBB2_4664
.LBB2_4626:                             ;   in Loop: Header=BB2_2366 Depth=1
	v_add_co_u32_e32 v2, vcc, 1, v8
	v_addc_co_u32_e32 v3, vcc, 0, v9, vcc
	v_cmp_lt_u64_e32 vcc, v[36:37], v[2:3]
	v_mov_b32_e32 v1, 1
	s_and_saveexec_b64 s[22:23], vcc
	s_cbranch_execz .LBB2_4636
; %bb.4627:                             ;   in Loop: Header=BB2_2366 Depth=1
	s_mov_b64 s[48:49], 0
	v_mov_b32_e32 v1, 0
                                        ; implicit-def: $sgpr50_sgpr51
	s_branch .LBB2_4631
.LBB2_4628:                             ;   in Loop: Header=BB2_4631 Depth=2
	s_or_b64 exec, exec, s[58:59]
	v_mov_b32_e32 v4, 0
	s_orn2_b64 s[56:57], s[56:57], exec
.LBB2_4629:                             ;   in Loop: Header=BB2_4631 Depth=2
	s_or_b64 exec, exec, s[54:55]
	s_andn2_b64 vcc, s[50:51], exec
	s_and_b64 s[50:51], s[56:57], exec
	s_or_b64 s[50:51], vcc, s[50:51]
	v_mov_b32_e32 v1, v4
.LBB2_4630:                             ;   in Loop: Header=BB2_4631 Depth=2
	s_or_b64 exec, exec, s[52:53]
	s_waitcnt vmcnt(0) lgkmcnt(0)
	v_cmp_ge_u64_e32 vcc, v[36:37], v[2:3]
	s_xor_b64 s[52:53], s[50:51], -1
	s_or_b64 vcc, s[52:53], vcc
	s_and_b64 vcc, exec, vcc
	s_or_b64 s[48:49], vcc, s[48:49]
	s_andn2_b64 exec, exec, s[48:49]
	s_cbranch_execz .LBB2_4635
.LBB2_4631:                             ;   Parent Loop BB2_2366 Depth=1
                                        ; =>  This Inner Loop Header: Depth=2
	s_sleep 1
	flat_load_dwordx2 v[36:37], v[32:33] glc
	v_and_b32_e32 v4, 64, v62
	v_cmp_eq_u32_e32 vcc, 0, v4
	s_andn2_b64 s[50:51], s[50:51], exec
	s_and_saveexec_b64 s[52:53], vcc
	s_cbranch_execz .LBB2_4630
; %bb.4632:                             ;   in Loop: Header=BB2_4631 Depth=2
	v_add_u32_e32 v4, 1, v1
	v_cmp_lt_i32_e32 vcc, s67, v1
	s_mov_b64 s[56:57], -1
	s_and_saveexec_b64 s[54:55], vcc
	s_cbranch_execz .LBB2_4629
; %bb.4633:                             ;   in Loop: Header=BB2_4631 Depth=2
	s_trap 2
	ds_read_b64 v[4:5], v0
	s_waitcnt vmcnt(0) lgkmcnt(0)
	flat_load_dword v1, v[4:5] glc
	s_waitcnt vmcnt(0) lgkmcnt(0)
	buffer_invl2
	buffer_wbinvl1_vol
	v_cmp_ne_u32_e32 vcc, 0, v1
	s_and_saveexec_b64 s[58:59], vcc
	s_cbranch_execz .LBB2_4628
; %bb.4634:                             ;   in Loop: Header=BB2_4631 Depth=2
	v_or_b32_e32 v62, 64, v62
	s_xor_b64 s[56:57], exec, -1
	ds_write_b32 v0, v1
	s_trap 2
	s_branch .LBB2_4628
.LBB2_4635:                             ;   in Loop: Header=BB2_2366 Depth=1
	s_or_b64 exec, exec, s[48:49]
	v_and_b32_e32 v1, 4, v62
.LBB2_4636:                             ;   in Loop: Header=BB2_2366 Depth=1
	s_or_b64 exec, exec, s[22:23]
	v_cmp_eq_u32_e32 vcc, 0, v1
	s_orn2_b64 s[22:23], vcc, exec
	;;#ASMSTART
	s_wakeup
	;;#ASMEND
	s_or_b64 exec, exec, s[18:19]
	s_xor_b64 s[18:19], s[22:23], -1
	s_and_saveexec_b64 s[22:23], s[18:19]
	s_cbranch_execz .LBB2_4625
.LBB2_4637:                             ;   in Loop: Header=BB2_2366 Depth=1
	v_and_b32_e32 v1, 0x100, v62
	v_cmp_ne_u32_e32 vcc, 0, v1
	v_and_b32_e32 v1, 7, v8
	s_mov_b64 s[18:19], -1
                                        ; implicit-def: $vgpr2_vgpr3
	s_and_saveexec_b64 s[48:49], vcc
	s_cbranch_execz .LBB2_4641
; %bb.4638:                             ;   in Loop: Header=BB2_2366 Depth=1
	v_mad_u64_u32 v[10:11], s[18:19], v1, 24, v[6:7]
	flat_load_dword v2, v[10:11]
	s_waitcnt vmcnt(0) lgkmcnt(0)
	v_cmp_ne_u32_e32 vcc, 1, v2
	v_cmp_eq_u32_e64 s[18:19], 1, v2
                                        ; implicit-def: $vgpr2_vgpr3
	s_and_saveexec_b64 s[50:51], s[18:19]
	s_cbranch_execz .LBB2_4640
; %bb.4639:                             ;   in Loop: Header=BB2_2366 Depth=1
	flat_load_dword v2, v[10:11] offset:4 glc
	s_waitcnt vmcnt(0) lgkmcnt(0)
	v_ashrrev_i32_e32 v3, 31, v2
.LBB2_4640:                             ;   in Loop: Header=BB2_2366 Depth=1
	s_or_b64 exec, exec, s[50:51]
	s_orn2_b64 s[18:19], vcc, exec
.LBB2_4641:                             ;   in Loop: Header=BB2_2366 Depth=1
	s_or_b64 exec, exec, s[48:49]
	s_and_saveexec_b64 vcc, s[18:19]
; %bb.4642:                             ;   in Loop: Header=BB2_2366 Depth=1
	v_accvgpr_read_b32 v2, a12
	v_mad_i64_i32 v[2:3], s[18:19], v1, v2, 0
; %bb.4643:                             ;   in Loop: Header=BB2_2366 Depth=1
	s_or_b64 exec, exec, vcc
	v_accvgpr_read_b32 v4, a14
	v_accvgpr_read_b32 v5, a15
	v_add_co_u32_e32 v2, vcc, v4, v2
	v_addc_co_u32_e32 v3, vcc, v5, v3, vcc
	v_and_b32_e32 v1, 0x2000, v62
	v_cmp_ne_u32_e32 vcc, 0, v1
	ds_write_b64 v0, v[2:3] offset:728
	s_and_saveexec_b64 s[18:19], vcc
	s_cbranch_execz .LBB2_4645
; %bb.4644:                             ;   in Loop: Header=BB2_2366 Depth=1
	ds_read_b64 v[2:3], v0 offset:584
	s_waitcnt lgkmcnt(0)
	v_add_co_u32_e32 v2, vcc, 1, v2
	v_addc_co_u32_e32 v3, vcc, 0, v3, vcc
	ds_write_b64 v0, v[2:3] offset:584
.LBB2_4645:                             ;   in Loop: Header=BB2_2366 Depth=1
	s_or_b64 exec, exec, s[18:19]
	v_add_co_u32_e32 v8, vcc, 1, v8
	v_addc_co_u32_e32 v9, vcc, 0, v9, vcc
	s_or_b64 exec, exec, s[22:23]
	s_and_saveexec_b64 s[18:19], s[10:11]
	s_cbranch_execz .LBB2_4664
.LBB2_4646:                             ;   in Loop: Header=BB2_2366 Depth=1
	s_and_saveexec_b64 s[22:23], s[34:35]
	s_xor_b64 s[22:23], exec, s[22:23]
	s_cbranch_execz .LBB2_4661
; %bb.4647:                             ;   in Loop: Header=BB2_2366 Depth=1
	s_and_saveexec_b64 s[48:49], s[12:13]
	s_cbranch_execz .LBB2_4660
; %bb.4648:                             ;   in Loop: Header=BB2_2366 Depth=1
	s_mov_b64 s[52:53], exec
	v_mbcnt_lo_u32_b32 v1, s52, 0
	v_mbcnt_hi_u32_b32 v1, s53, v1
	v_cmp_eq_u32_e32 vcc, 0, v1
	s_waitcnt vmcnt(0) lgkmcnt(0)
	buffer_wbinvl1_vol
	s_and_saveexec_b64 s[50:51], vcc
	s_cbranch_execz .LBB2_4650
; %bb.4649:                             ;   in Loop: Header=BB2_2366 Depth=1
	s_bcnt1_i32_b64 vcc_lo, s[52:53]
	v_mov_b32_e32 v52, vcc_lo
	ds_add_u64 v0, v[52:53]
	s_trap 2
.LBB2_4650:                             ;   in Loop: Header=BB2_2366 Depth=1
	s_or_b64 exec, exec, s[50:51]
	s_trap 2
	ds_read_b64 v[2:3], v0
	v_accvgpr_read_b32 v4, a16
	v_accvgpr_read_b32 v5, a17
	v_add_co_u32_e32 v4, vcc, v4, v60
	v_addc_co_u32_e32 v5, vcc, 0, v5, vcc
	v_accvgpr_write_b32 a17, v5
	v_accvgpr_write_b32 a16, v4
	s_waitcnt lgkmcnt(0)
	v_cmp_lt_u64_e32 vcc, v[2:3], v[4:5]
	s_and_saveexec_b64 s[50:51], vcc
	s_cbranch_execz .LBB2_4659
; %bb.4651:                             ;   in Loop: Header=BB2_2366 Depth=1
	s_mov_b32 s62, 0
	s_mov_b64 s[52:53], 0
                                        ; implicit-def: $sgpr54_sgpr55
                                        ; implicit-def: $sgpr56_sgpr57
	s_branch .LBB2_4653
.LBB2_4652:                             ;   in Loop: Header=BB2_4653 Depth=2
	s_or_b64 exec, exec, s[60:61]
	s_and_b64 vcc, exec, vcc
	s_or_b64 s[52:53], vcc, s[52:53]
	s_andn2_b64 vcc, s[54:55], exec
	s_and_b64 s[54:55], s[56:57], exec
	s_or_b64 s[54:55], vcc, s[54:55]
	s_andn2_b64 exec, exec, s[52:53]
	s_cbranch_execz .LBB2_4657
.LBB2_4653:                             ;   Parent Loop BB2_2366 Depth=1
                                        ; =>  This Inner Loop Header: Depth=2
	s_add_i32 s62, s62, 1
	s_cmpk_lg_i32 s62, 0x2710
	s_cselect_b64 s[58:59], -1, 0
	s_and_b64 vcc, exec, s[58:59]
                                        ; implicit-def: $sgpr60_sgpr61
	s_cbranch_vccnz .LBB2_4655
; %bb.4654:                             ;   in Loop: Header=BB2_4653 Depth=2
	s_trap 2
	ds_read_b64 v[2:3], v0
	s_andn2_b64 s[58:59], s[58:59], exec
	s_mov_b32 s62, 0
	s_mov_b64 s[60:61], -1
	s_waitcnt lgkmcnt(0)
	flat_load_dword v1, v[2:3] glc
	s_waitcnt vmcnt(0) lgkmcnt(0)
	buffer_invl2
	buffer_wbinvl1_vol
	v_cmp_eq_u32_e32 vcc, 0, v1
	s_and_b64 vcc, vcc, exec
	s_or_b64 s[58:59], s[58:59], vcc
.LBB2_4655:                             ;   in Loop: Header=BB2_4653 Depth=2
	s_andn2_b64 s[56:57], s[56:57], exec
	s_and_b64 s[60:61], s[60:61], exec
	s_mov_b64 vcc, -1
	s_or_b64 s[56:57], s[56:57], s[60:61]
	s_and_saveexec_b64 s[60:61], s[58:59]
	s_cbranch_execz .LBB2_4652
; %bb.4656:                             ;   in Loop: Header=BB2_4653 Depth=2
	s_sleep 1
	s_trap 2
	ds_read_b64 v[2:3], v0
	v_accvgpr_read_b32 v4, a16
	v_accvgpr_read_b32 v5, a17
	s_andn2_b64 s[56:57], s[56:57], exec
	s_waitcnt lgkmcnt(0)
	v_cmp_ge_u64_e32 vcc, v[2:3], v[4:5]
	s_orn2_b64 vcc, vcc, exec
	s_branch .LBB2_4652
.LBB2_4657:                             ;   in Loop: Header=BB2_2366 Depth=1
	s_or_b64 exec, exec, s[52:53]
	s_and_saveexec_b64 vcc, s[54:55]
	s_xor_b64 vcc, exec, vcc
	s_cbranch_execz .LBB2_4659
; %bb.4658:                             ;   in Loop: Header=BB2_2366 Depth=1
	v_mov_b32_e32 v1, 1
	ds_write_b32 v0, v1
	s_trap 2
.LBB2_4659:                             ;   in Loop: Header=BB2_2366 Depth=1
	s_or_b64 exec, exec, s[50:51]
	;;#ASMSTART
	s_wakeup
	;;#ASMEND
.LBB2_4660:                             ;   in Loop: Header=BB2_2366 Depth=1
	s_or_b64 exec, exec, s[48:49]
.LBB2_4661:                             ;   in Loop: Header=BB2_2366 Depth=1
	s_andn2_saveexec_b64 s[22:23], s[22:23]
	s_cbranch_execz .LBB2_4663
; %bb.4662:                             ;   in Loop: Header=BB2_2366 Depth=1
	s_waitcnt vmcnt(0) lgkmcnt(0)
	buffer_wbinvl1_vol
	s_barrier
.LBB2_4663:                             ;   in Loop: Header=BB2_2366 Depth=1
	s_or_b64 exec, exec, s[22:23]
.LBB2_4664:                             ;   in Loop: Header=BB2_2366 Depth=1
	s_or_b64 exec, exec, s[18:19]
	s_trap 2
	ds_read_b32 v1, v0
	v_sub_u32_e32 v0, v12, v0
	v_min_i32_e32 v0, v14, v0
	v_cmp_lt_i32_e32 vcc, 0, v0
	v_and_b32_e32 v0, 16, v62
	s_waitcnt lgkmcnt(0)
	v_readfirstlane_b32 s18, v1
	s_cmp_eq_u32 s18, 0
	s_cselect_b64 s[18:19], -1, 0
	s_and_b64 s[18:19], vcc, s[18:19]
	v_cmp_ne_u32_e32 vcc, 0, v0
	s_and_b64 s[22:23], vcc, s[18:19]
	s_and_saveexec_b64 s[18:19], s[22:23]
	s_cbranch_execz .LBB2_4666
; %bb.4665:                             ;   in Loop: Header=BB2_2366 Depth=1
	s_waitcnt vmcnt(0)
	buffer_wbinvl1_vol
.LBB2_4666:                             ;   in Loop: Header=BB2_2366 Depth=1
	s_or_b64 exec, exec, s[18:19]
	v_and_b32_e32 v0, 32, v62
	v_cmp_ne_u32_e32 vcc, 0, v0
	s_and_saveexec_b64 s[18:19], vcc
	s_cbranch_execz .LBB2_2364
; %bb.4667:                             ;   in Loop: Header=BB2_2366 Depth=1
	v_add_co_u32_e32 v8, vcc, 1, v8
	v_addc_co_u32_e32 v9, vcc, 0, v9, vcc
	flat_store_dwordx2 v[32:33], v[8:9]
	s_branch .LBB2_2364
.LBB2_4668:
	s_or_b64 exec, exec, s[36:37]
.LBB2_4669:
	s_or_b64 exec, exec, s[26:27]
.LBB2_4670:
	s_or_b64 exec, exec, s[24:25]
                                        ; implicit-def: $vgpr44_vgpr45
                                        ; implicit-def: $vgpr40_vgpr41
                                        ; implicit-def: $vgpr42_vgpr43
                                        ; implicit-def: $agpr12
                                        ; implicit-def: $vgpr36_vgpr37
                                        ; implicit-def: $agpr14_agpr15
                                        ; implicit-def: $vgpr32_vgpr33
                                        ; implicit-def: $vgpr58
                                        ; implicit-def: $vgpr1
                                        ; implicit-def: $agpr18_agpr19
.LBB2_4671:
	s_andn2_saveexec_b64 s[22:23], s[30:31]
	s_cbranch_execz .LBB2_4842
; %bb.4672:
	v_pk_mov_b32 v[2:3], 0, 0
	v_accvgpr_write_b32 a17, v3
	s_mov_b64 s[26:27], 0
	v_cmp_ne_u64_e32 vcc, 0, v[40:41]
	v_accvgpr_write_b32 a16, v2
	s_and_saveexec_b64 s[24:25], vcc
	s_cbranch_execz .LBB2_4841
; %bb.4673:
	v_and_b32_e32 v0, 63, v47
	v_cmp_eq_u32_e64 s[12:13], 0, v0
	v_ashrrev_i32_e32 v0, 31, v58
	v_lshrrev_b32_e32 v0, 26, v0
	v_add_u32_e32 v2, v58, v0
	s_waitcnt vmcnt(0)
	v_lshrrev_b32_e32 v10, 6, v46
	v_and_b32_e32 v0, 0xffffffc0, v2
	v_sub_u32_e32 v0, v58, v0
	v_lshlrev_b32_e32 v26, 10, v10
	v_cmp_lt_i32_e64 s[16:17], v0, v1
	v_ashrrev_i32_e32 v1, 6, v2
	v_add_u32_e32 v2, 0xfffffc00, v26
	s_movk_i32 s18, 0x400
	v_ashrrev_i32_e32 v3, 31, v2
	v_add_co_u32_e64 v27, s[18:19], s18, v2
	v_addc_co_u32_e64 v28, s[18:19], 0, v3, s[18:19]
	v_mov_b32_e32 v2, 0xfffffe00
	s_ashr_i32 s6, s70, 31
	v_lshl_add_u32 v2, v10, 9, v2
	s_movk_i32 s18, 0x200
	s_lshr_b32 s6, s6, 24
	v_ashrrev_i32_e32 v3, 31, v2
	v_add_co_u32_e64 v29, s[18:19], s18, v2
	v_pk_mov_b32 v[18:19], 0, 0
	s_add_i32 s70, s70, s6
	v_cmp_eq_u32_e32 vcc, 64, v46
	v_lshlrev_b32_e32 v14, 4, v58
	v_addc_co_u32_e64 v30, s[18:19], 0, v3, s[18:19]
	v_and_b32_e32 v16, 0xffffffc0, v46
	v_accvgpr_write_b32 a16, v18
	v_accvgpr_read_b32 v4, a18
	s_ashr_i32 s58, s70, 8
	v_cmp_ge_i32_e64 s[6:7], v58, v46
	v_cmp_ne_u32_e64 s[10:11], 64, v46
	v_cmp_ne_u32_sdwa s[30:31], v56, v46 src0_sel:WORD_0 src1_sel:DWORD
	v_mov_b32_e32 v13, 0
	v_cmp_gt_i32_e64 s[14:15], 1, v0
	v_sub_u32_e32 v1, 0, v1
	v_ashrrev_i32_e32 v15, 31, v14
	v_ashrrev_i32_e32 v11, 31, v16
	s_waitcnt lgkmcnt(0)
	v_cmp_ne_u64_e64 s[18:19], 0, v[42:43]
	s_movk_i32 s59, 0x270e
	v_mov_b32_e32 v31, 1
	s_xor_b64 s[34:35], vcc, -1
	v_accvgpr_write_b32 a17, v19
	v_accvgpr_read_b32 v5, a19
	s_trap 2
	s_branch .LBB2_4677
.LBB2_4674:                             ;   in Loop: Header=BB2_4677 Depth=1
	s_or_b64 exec, exec, vcc
	v_add_co_u32_e32 v8, vcc, 1, v8
	v_addc_co_u32_e32 v9, vcc, 0, v9, vcc
	flat_store_dwordx2 v[32:33], v[8:9]
.LBB2_4675:                             ;   in Loop: Header=BB2_4677 Depth=1
	s_or_b64 exec, exec, s[20:21]
.LBB2_4676:                             ;   in Loop: Header=BB2_4677 Depth=1
	s_or_b64 exec, exec, s[38:39]
	v_accvgpr_read_b32 v4, a18
	v_add_co_u32_e32 v18, vcc, v18, v4
	v_addc_co_u32_e32 v19, vcc, 0, v19, vcc
	v_cmp_ge_u64_e32 vcc, v[18:19], v[40:41]
	v_accvgpr_read_b32 v5, a19
	s_or_b64 s[26:27], vcc, s[26:27]
	s_andn2_b64 exec, exec, s[26:27]
	s_cbranch_execz .LBB2_4840
.LBB2_4677:                             ; =>This Loop Header: Depth=1
                                        ;     Child Loop BB2_4686 Depth 2
                                        ;     Child Loop BB2_4710 Depth 2
	;; [unrolled: 1-line block ×10, first 2 shown]
	v_sub_co_u32_e32 v2, vcc, v40, v18
	v_subb_co_u32_e32 v3, vcc, v41, v19, vcc
	v_cmp_lt_u64_e32 vcc, v[4:5], v[2:3]
	v_cndmask_b32_e64 v21, v3, 0, vcc
	v_cndmask_b32_e32 v20, v2, v4, vcc
	v_add_u32_e32 v2, 15, v20
	v_cmp_eq_u64_e32 vcc, 0, v[20:21]
	v_and_b32_e32 v2, 0x7ffffff0, v2
	s_or_b64 s[36:37], s[6:7], vcc
	v_max_i32_e32 v12, s58, v2
	s_xor_b64 s[20:21], s[36:37], -1
	v_mov_b32_e32 v4, 0
	s_and_saveexec_b64 s[38:39], s[20:21]
	s_cbranch_execz .LBB2_4793
; %bb.4678:                             ;   in Loop: Header=BB2_4677 Depth=1
	s_and_saveexec_b64 s[20:21], s[4:5]
	s_cbranch_execz .LBB2_4680
; %bb.4679:                             ;   in Loop: Header=BB2_4677 Depth=1
	s_trap 2
	ds_read_b64 v[2:3], v0
	s_waitcnt lgkmcnt(0)
	v_add_co_u32_e32 v2, vcc, v2, v44
	v_addc_co_u32_e32 v3, vcc, v3, v45, vcc
	v_add_co_u32_e32 v2, vcc, v2, v18
	v_addc_co_u32_e32 v3, vcc, v3, v19, vcc
	ds_write_b64 v0, v[2:3]
	v_mov_b32_e32 v2, v13
	v_mov_b32_e32 v3, v13
	ds_write_b64 v0, v[2:3]
.LBB2_4680:                             ;   in Loop: Header=BB2_4677 Depth=1
	s_or_b64 exec, exec, s[20:21]
	v_and_b32_e32 v2, 8, v62
	v_cmp_ne_u32_e32 vcc, 0, v2
	s_mov_b64 s[40:41], -1
	s_and_saveexec_b64 s[20:21], vcc
	s_cbranch_execz .LBB2_4692
; %bb.4681:                             ;   in Loop: Header=BB2_4677 Depth=1
	v_add_co_u32_e32 v4, vcc, 8, v36
	v_addc_co_u32_e32 v5, vcc, 0, v37, vcc
	v_add_co_u32_e32 v2, vcc, 1, v8
	v_addc_co_u32_e32 v3, vcc, 0, v9, vcc
	v_cmp_lt_u64_e32 vcc, v[4:5], v[2:3]
	v_mov_b32_e32 v4, 1
	s_and_saveexec_b64 s[40:41], vcc
	s_cbranch_execz .LBB2_4691
; %bb.4682:                             ;   in Loop: Header=BB2_4677 Depth=1
	s_mov_b64 s[42:43], 0
	v_mov_b32_e32 v4, 0
                                        ; implicit-def: $sgpr44_sgpr45
	s_branch .LBB2_4686
.LBB2_4683:                             ;   in Loop: Header=BB2_4686 Depth=2
	s_or_b64 exec, exec, s[52:53]
	v_mov_b32_e32 v5, 0
	s_orn2_b64 s[50:51], s[50:51], exec
.LBB2_4684:                             ;   in Loop: Header=BB2_4686 Depth=2
	s_or_b64 exec, exec, s[48:49]
	s_andn2_b64 vcc, s[44:45], exec
	s_and_b64 s[44:45], s[50:51], exec
	s_or_b64 s[44:45], vcc, s[44:45]
	v_mov_b32_e32 v4, v5
.LBB2_4685:                             ;   in Loop: Header=BB2_4686 Depth=2
	s_or_b64 exec, exec, s[46:47]
	s_waitcnt vmcnt(0) lgkmcnt(0)
	v_add_co_u32_e32 v22, vcc, 8, v36
	v_addc_co_u32_e32 v23, vcc, 0, v37, vcc
	v_cmp_ge_u64_e32 vcc, v[22:23], v[2:3]
	s_xor_b64 s[46:47], s[44:45], -1
	s_or_b64 vcc, s[46:47], vcc
	s_and_b64 vcc, exec, vcc
	s_or_b64 s[42:43], vcc, s[42:43]
	s_andn2_b64 exec, exec, s[42:43]
	s_cbranch_execz .LBB2_4690
.LBB2_4686:                             ;   Parent Loop BB2_4677 Depth=1
                                        ; =>  This Inner Loop Header: Depth=2
	s_sleep 1
	flat_load_dwordx2 v[36:37], v[32:33] glc
	v_and_b32_e32 v5, 64, v62
	v_cmp_eq_u32_e32 vcc, 0, v5
	s_andn2_b64 s[44:45], s[44:45], exec
	s_and_saveexec_b64 s[46:47], vcc
	s_cbranch_execz .LBB2_4685
; %bb.4687:                             ;   in Loop: Header=BB2_4686 Depth=2
	v_add_u32_e32 v5, 1, v4
	v_cmp_lt_i32_e32 vcc, s59, v4
	s_mov_b64 s[50:51], -1
	s_and_saveexec_b64 s[48:49], vcc
	s_cbranch_execz .LBB2_4684
; %bb.4688:                             ;   in Loop: Header=BB2_4686 Depth=2
	s_trap 2
	ds_read_b64 v[4:5], v0
	s_waitcnt vmcnt(0) lgkmcnt(0)
	flat_load_dword v4, v[4:5] glc
	s_waitcnt vmcnt(0) lgkmcnt(0)
	buffer_invl2
	buffer_wbinvl1_vol
	v_cmp_ne_u32_e32 vcc, 0, v4
	s_and_saveexec_b64 s[52:53], vcc
	s_cbranch_execz .LBB2_4683
; %bb.4689:                             ;   in Loop: Header=BB2_4686 Depth=2
	v_or_b32_e32 v62, 64, v62
	s_xor_b64 s[50:51], exec, -1
	ds_write_b32 v0, v4
	s_trap 2
	s_branch .LBB2_4683
.LBB2_4690:                             ;   in Loop: Header=BB2_4677 Depth=1
	s_or_b64 exec, exec, s[42:43]
	v_and_b32_e32 v4, 8, v62
.LBB2_4691:                             ;   in Loop: Header=BB2_4677 Depth=1
	s_or_b64 exec, exec, s[40:41]
	v_cmp_eq_u32_e32 vcc, 0, v4
	s_orn2_b64 s[40:41], vcc, exec
	;;#ASMSTART
	s_wakeup
	;;#ASMEND
.LBB2_4692:                             ;   in Loop: Header=BB2_4677 Depth=1
	s_or_b64 exec, exec, s[20:21]
	s_xor_b64 s[20:21], s[40:41], -1
	v_min_u32_e32 v12, v12, v20
	s_and_saveexec_b64 s[40:41], s[20:21]
	s_cbranch_execz .LBB2_4702
; %bb.4693:                             ;   in Loop: Header=BB2_4677 Depth=1
	v_and_b32_e32 v2, 0x100, v62
	v_cmp_ne_u32_e32 vcc, 0, v2
	v_and_b32_e32 v4, 7, v8
	s_mov_b64 s[20:21], -1
                                        ; implicit-def: $vgpr2_vgpr3
	s_and_saveexec_b64 s[42:43], vcc
	s_cbranch_execz .LBB2_4697
; %bb.4694:                             ;   in Loop: Header=BB2_4677 Depth=1
	v_mad_u64_u32 v[22:23], s[20:21], v4, 24, v[6:7]
	flat_load_dword v2, v[22:23]
	s_waitcnt vmcnt(0) lgkmcnt(0)
	v_cmp_ne_u32_e32 vcc, 1, v2
	v_cmp_eq_u32_e64 s[20:21], 1, v2
	flat_store_dwordx2 v[22:23], v[12:13] offset:8
                                        ; implicit-def: $vgpr2_vgpr3
	s_and_saveexec_b64 s[44:45], s[20:21]
	s_cbranch_execz .LBB2_4696
; %bb.4695:                             ;   in Loop: Header=BB2_4677 Depth=1
	flat_load_dword v2, v[22:23] offset:4 glc
	s_waitcnt vmcnt(0) lgkmcnt(0)
	v_ashrrev_i32_e32 v3, 31, v2
.LBB2_4696:                             ;   in Loop: Header=BB2_4677 Depth=1
	s_or_b64 exec, exec, s[44:45]
	s_orn2_b64 s[20:21], vcc, exec
.LBB2_4697:                             ;   in Loop: Header=BB2_4677 Depth=1
	s_or_b64 exec, exec, s[42:43]
	s_and_saveexec_b64 vcc, s[20:21]
; %bb.4698:                             ;   in Loop: Header=BB2_4677 Depth=1
	v_accvgpr_read_b32 v2, a12
	v_mad_i64_i32 v[2:3], s[20:21], v4, v2, 0
; %bb.4699:                             ;   in Loop: Header=BB2_4677 Depth=1
	s_or_b64 exec, exec, vcc
	v_accvgpr_read_b32 v4, a14
	v_accvgpr_read_b32 v5, a15
	v_add_co_u32_e32 v2, vcc, v4, v2
	v_addc_co_u32_e32 v3, vcc, v5, v3, vcc
	ds_write_b64 v0, v[2:3] offset:784
	v_and_b32_e32 v2, 0x2000, v62
	v_cmp_ne_u32_e32 vcc, 0, v2
	s_and_saveexec_b64 s[20:21], vcc
	s_cbranch_execz .LBB2_4701
; %bb.4700:                             ;   in Loop: Header=BB2_4677 Depth=1
	ds_read_b64 v[2:3], v0 offset:584
	s_waitcnt lgkmcnt(0)
	v_add_co_u32_e32 v2, vcc, 1, v2
	v_addc_co_u32_e32 v3, vcc, 0, v3, vcc
	ds_write_b64 v0, v[2:3] offset:584
.LBB2_4701:                             ;   in Loop: Header=BB2_4677 Depth=1
	s_or_b64 exec, exec, s[20:21]
	v_add_co_u32_e32 v8, vcc, 1, v8
	v_addc_co_u32_e32 v9, vcc, 0, v9, vcc
.LBB2_4702:                             ;   in Loop: Header=BB2_4677 Depth=1
	s_or_b64 exec, exec, s[40:41]
	s_and_saveexec_b64 s[20:21], s[10:11]
	s_cbranch_execz .LBB2_4721
; %bb.4703:                             ;   in Loop: Header=BB2_4677 Depth=1
	s_and_saveexec_b64 vcc, s[30:31]
	s_xor_b64 s[40:41], exec, vcc
	s_cbranch_execz .LBB2_4718
; %bb.4704:                             ;   in Loop: Header=BB2_4677 Depth=1
	s_and_saveexec_b64 s[42:43], s[12:13]
	s_cbranch_execz .LBB2_4717
; %bb.4705:                             ;   in Loop: Header=BB2_4677 Depth=1
	s_mov_b64 s[46:47], exec
	v_mbcnt_lo_u32_b32 v2, s46, 0
	v_mbcnt_hi_u32_b32 v2, s47, v2
	v_cmp_eq_u32_e32 vcc, 0, v2
	s_waitcnt vmcnt(0) lgkmcnt(0)
	buffer_wbinvl1_vol
	s_and_saveexec_b64 s[44:45], vcc
	s_cbranch_execz .LBB2_4707
; %bb.4706:                             ;   in Loop: Header=BB2_4677 Depth=1
	s_bcnt1_i32_b64 vcc_lo, s[46:47]
	v_mov_b32_e32 v2, vcc_lo
	v_mov_b32_e32 v3, v13
	ds_add_u64 v0, v[2:3]
	s_trap 2
.LBB2_4707:                             ;   in Loop: Header=BB2_4677 Depth=1
	s_or_b64 exec, exec, s[44:45]
	s_trap 2
	ds_read_b64 v[2:3], v0
	v_accvgpr_read_b32 v4, a16
	v_accvgpr_read_b32 v5, a17
	v_add_co_u32_e32 v4, vcc, v4, v10
	v_addc_co_u32_e32 v5, vcc, 0, v5, vcc
	v_accvgpr_write_b32 a17, v5
	v_accvgpr_write_b32 a16, v4
	s_waitcnt lgkmcnt(0)
	v_cmp_lt_u64_e32 vcc, v[2:3], v[4:5]
	s_and_saveexec_b64 s[44:45], vcc
	s_cbranch_execz .LBB2_4716
; %bb.4708:                             ;   in Loop: Header=BB2_4677 Depth=1
	s_mov_b32 s56, 0
	s_mov_b64 s[46:47], 0
                                        ; implicit-def: $sgpr48_sgpr49
                                        ; implicit-def: $sgpr50_sgpr51
	s_branch .LBB2_4710
.LBB2_4709:                             ;   in Loop: Header=BB2_4710 Depth=2
	s_or_b64 exec, exec, s[54:55]
	s_and_b64 vcc, exec, vcc
	s_or_b64 s[46:47], vcc, s[46:47]
	s_andn2_b64 vcc, s[48:49], exec
	s_and_b64 s[48:49], s[50:51], exec
	s_or_b64 s[48:49], vcc, s[48:49]
	s_andn2_b64 exec, exec, s[46:47]
	s_cbranch_execz .LBB2_4714
.LBB2_4710:                             ;   Parent Loop BB2_4677 Depth=1
                                        ; =>  This Inner Loop Header: Depth=2
	s_add_i32 s56, s56, 1
	s_cmpk_lg_i32 s56, 0x2710
	s_cselect_b64 s[52:53], -1, 0
	s_and_b64 vcc, exec, s[52:53]
                                        ; implicit-def: $sgpr54_sgpr55
	s_cbranch_vccnz .LBB2_4712
; %bb.4711:                             ;   in Loop: Header=BB2_4710 Depth=2
	s_trap 2
	ds_read_b64 v[2:3], v0
	s_andn2_b64 s[52:53], s[52:53], exec
	s_mov_b32 s56, 0
	s_mov_b64 s[54:55], -1
	s_waitcnt lgkmcnt(0)
	flat_load_dword v2, v[2:3] glc
	s_waitcnt vmcnt(0) lgkmcnt(0)
	buffer_invl2
	buffer_wbinvl1_vol
	v_cmp_eq_u32_e32 vcc, 0, v2
	s_and_b64 vcc, vcc, exec
	s_or_b64 s[52:53], s[52:53], vcc
.LBB2_4712:                             ;   in Loop: Header=BB2_4710 Depth=2
	s_andn2_b64 s[50:51], s[50:51], exec
	s_and_b64 s[54:55], s[54:55], exec
	s_mov_b64 vcc, -1
	s_or_b64 s[50:51], s[50:51], s[54:55]
	s_and_saveexec_b64 s[54:55], s[52:53]
	s_cbranch_execz .LBB2_4709
; %bb.4713:                             ;   in Loop: Header=BB2_4710 Depth=2
	s_sleep 1
	s_trap 2
	ds_read_b64 v[2:3], v0
	v_accvgpr_read_b32 v4, a16
	v_accvgpr_read_b32 v5, a17
	s_andn2_b64 s[50:51], s[50:51], exec
	s_waitcnt lgkmcnt(0)
	v_cmp_ge_u64_e32 vcc, v[2:3], v[4:5]
	s_orn2_b64 vcc, vcc, exec
	s_branch .LBB2_4709
.LBB2_4714:                             ;   in Loop: Header=BB2_4677 Depth=1
	s_or_b64 exec, exec, s[46:47]
	s_and_saveexec_b64 vcc, s[48:49]
	s_xor_b64 vcc, exec, vcc
	s_cbranch_execz .LBB2_4716
; %bb.4715:                             ;   in Loop: Header=BB2_4677 Depth=1
	ds_write_b32 v0, v31
	s_trap 2
.LBB2_4716:                             ;   in Loop: Header=BB2_4677 Depth=1
	s_or_b64 exec, exec, s[44:45]
	;;#ASMSTART
	s_wakeup
	;;#ASMEND
.LBB2_4717:                             ;   in Loop: Header=BB2_4677 Depth=1
	s_or_b64 exec, exec, s[42:43]
.LBB2_4718:                             ;   in Loop: Header=BB2_4677 Depth=1
	s_andn2_saveexec_b64 vcc, s[40:41]
	s_cbranch_execz .LBB2_4720
; %bb.4719:                             ;   in Loop: Header=BB2_4677 Depth=1
	s_waitcnt vmcnt(0) lgkmcnt(0)
	buffer_wbinvl1_vol
	s_barrier
.LBB2_4720:                             ;   in Loop: Header=BB2_4677 Depth=1
	s_or_b64 exec, exec, vcc
.LBB2_4721:                             ;   in Loop: Header=BB2_4677 Depth=1
	s_or_b64 exec, exec, s[20:21]
	s_trap 2
	ds_read_b32 v2, v0
	v_and_b32_e32 v3, 0x4000, v62
	v_cmp_ne_u32_e32 vcc, 0, v3
	s_and_b64 vcc, s[34:35], vcc
	s_and_saveexec_b64 s[20:21], vcc
	s_cbranch_execz .LBB2_4740
; %bb.4722:                             ;   in Loop: Header=BB2_4677 Depth=1
	s_and_saveexec_b64 vcc, s[30:31]
	s_xor_b64 s[40:41], exec, vcc
	s_cbranch_execz .LBB2_4737
; %bb.4723:                             ;   in Loop: Header=BB2_4677 Depth=1
	s_and_saveexec_b64 s[42:43], s[12:13]
	s_cbranch_execz .LBB2_4736
; %bb.4724:                             ;   in Loop: Header=BB2_4677 Depth=1
	s_mov_b64 s[46:47], exec
	v_mbcnt_lo_u32_b32 v3, s46, 0
	v_mbcnt_hi_u32_b32 v3, s47, v3
	v_cmp_eq_u32_e32 vcc, 0, v3
	s_waitcnt vmcnt(0) lgkmcnt(0)
	buffer_wbinvl1_vol
	s_and_saveexec_b64 s[44:45], vcc
	s_cbranch_execz .LBB2_4726
; %bb.4725:                             ;   in Loop: Header=BB2_4677 Depth=1
	s_bcnt1_i32_b64 vcc_lo, s[46:47]
	v_mov_b32_e32 v4, vcc_lo
	v_mov_b32_e32 v5, v13
	ds_add_u64 v0, v[4:5]
	s_trap 2
.LBB2_4726:                             ;   in Loop: Header=BB2_4677 Depth=1
	s_or_b64 exec, exec, s[44:45]
	s_trap 2
	ds_read_b64 v[4:5], v0
	v_accvgpr_read_b32 v23, a17
	v_accvgpr_read_b32 v22, a16
	v_add_co_u32_e32 v22, vcc, v22, v10
	v_addc_co_u32_e32 v23, vcc, 0, v23, vcc
	v_accvgpr_write_b32 a16, v22
	v_accvgpr_write_b32 a17, v23
	s_waitcnt lgkmcnt(0)
	v_cmp_lt_u64_e32 vcc, v[4:5], v[22:23]
	s_and_saveexec_b64 s[44:45], vcc
	s_cbranch_execz .LBB2_4735
; %bb.4727:                             ;   in Loop: Header=BB2_4677 Depth=1
	s_mov_b32 s56, 0
	s_mov_b64 s[46:47], 0
                                        ; implicit-def: $sgpr48_sgpr49
                                        ; implicit-def: $sgpr50_sgpr51
	s_branch .LBB2_4729
.LBB2_4728:                             ;   in Loop: Header=BB2_4729 Depth=2
	s_or_b64 exec, exec, s[54:55]
	s_and_b64 vcc, exec, vcc
	s_or_b64 s[46:47], vcc, s[46:47]
	s_andn2_b64 vcc, s[48:49], exec
	s_and_b64 s[48:49], s[50:51], exec
	s_or_b64 s[48:49], vcc, s[48:49]
	s_andn2_b64 exec, exec, s[46:47]
	s_cbranch_execz .LBB2_4733
.LBB2_4729:                             ;   Parent Loop BB2_4677 Depth=1
                                        ; =>  This Inner Loop Header: Depth=2
	s_add_i32 s56, s56, 1
	s_cmpk_lg_i32 s56, 0x2710
	s_cselect_b64 s[52:53], -1, 0
	s_and_b64 vcc, exec, s[52:53]
                                        ; implicit-def: $sgpr54_sgpr55
	s_cbranch_vccnz .LBB2_4731
; %bb.4730:                             ;   in Loop: Header=BB2_4729 Depth=2
	s_trap 2
	ds_read_b64 v[4:5], v0
	s_andn2_b64 s[52:53], s[52:53], exec
	s_mov_b32 s56, 0
	s_mov_b64 s[54:55], -1
	s_waitcnt lgkmcnt(0)
	flat_load_dword v3, v[4:5] glc
	s_waitcnt vmcnt(0) lgkmcnt(0)
	buffer_invl2
	buffer_wbinvl1_vol
	v_cmp_eq_u32_e32 vcc, 0, v3
	s_and_b64 vcc, vcc, exec
	s_or_b64 s[52:53], s[52:53], vcc
.LBB2_4731:                             ;   in Loop: Header=BB2_4729 Depth=2
	s_andn2_b64 s[50:51], s[50:51], exec
	s_and_b64 s[54:55], s[54:55], exec
	s_mov_b64 vcc, -1
	s_or_b64 s[50:51], s[50:51], s[54:55]
	s_and_saveexec_b64 s[54:55], s[52:53]
	s_cbranch_execz .LBB2_4728
; %bb.4732:                             ;   in Loop: Header=BB2_4729 Depth=2
	s_sleep 1
	s_trap 2
	ds_read_b64 v[4:5], v0
	v_accvgpr_read_b32 v23, a17
	v_accvgpr_read_b32 v22, a16
	s_andn2_b64 s[50:51], s[50:51], exec
	s_waitcnt lgkmcnt(0)
	v_cmp_ge_u64_e32 vcc, v[4:5], v[22:23]
	s_orn2_b64 vcc, vcc, exec
	s_branch .LBB2_4728
.LBB2_4733:                             ;   in Loop: Header=BB2_4677 Depth=1
	s_or_b64 exec, exec, s[46:47]
	s_and_saveexec_b64 vcc, s[48:49]
	s_xor_b64 vcc, exec, vcc
	s_cbranch_execz .LBB2_4735
; %bb.4734:                             ;   in Loop: Header=BB2_4677 Depth=1
	ds_write_b32 v0, v31
	s_trap 2
.LBB2_4735:                             ;   in Loop: Header=BB2_4677 Depth=1
	s_or_b64 exec, exec, s[44:45]
	;;#ASMSTART
	s_wakeup
	;;#ASMEND
.LBB2_4736:                             ;   in Loop: Header=BB2_4677 Depth=1
	s_or_b64 exec, exec, s[42:43]
.LBB2_4737:                             ;   in Loop: Header=BB2_4677 Depth=1
	s_andn2_saveexec_b64 vcc, s[40:41]
	s_cbranch_execz .LBB2_4739
; %bb.4738:                             ;   in Loop: Header=BB2_4677 Depth=1
	s_waitcnt vmcnt(0) lgkmcnt(0)
	buffer_wbinvl1_vol
	s_barrier
.LBB2_4739:                             ;   in Loop: Header=BB2_4677 Depth=1
	s_or_b64 exec, exec, vcc
.LBB2_4740:                             ;   in Loop: Header=BB2_4677 Depth=1
	s_or_b64 exec, exec, s[20:21]
	s_trap 2
	ds_read_b64 v[4:5], v0
	s_waitcnt lgkmcnt(0)
	v_readfirstlane_b32 s20, v4
	v_readfirstlane_b32 s21, v5
	s_cmp_eq_u64 s[20:21], 0
	s_cselect_b64 s[20:21], -1, 0
	s_or_b64 vcc, s[20:21], s[20:21]
	s_mov_b64 s[20:21], 0
	s_and_b64 vcc, exec, vcc
	s_cbranch_vccnz .LBB2_4767
; %bb.4741:                             ;   in Loop: Header=BB2_4677 Depth=1
	s_mov_b64 s[20:21], -1
	s_and_saveexec_b64 s[40:41], s[14:15]
	s_cbranch_execz .LBB2_4743
; %bb.4742:                             ;   in Loop: Header=BB2_4677 Depth=1
	ds_read_b32 v3, v0 offset:720
	s_waitcnt lgkmcnt(0)
	v_and_b32_e32 v3, 15, v3
	v_cmp_eq_u32_e32 vcc, 0, v3
	s_orn2_b64 s[20:21], vcc, exec
.LBB2_4743:                             ;   in Loop: Header=BB2_4677 Depth=1
	s_or_b64 exec, exec, s[40:41]
	s_and_saveexec_b64 s[40:41], s[16:17]
	s_cbranch_execz .LBB2_4745
; %bb.4744:                             ;   in Loop: Header=BB2_4677 Depth=1
	ds_read_b32 v3, v0 offset:784
	s_waitcnt lgkmcnt(0)
	v_and_b32_e32 v3, 15, v3
	v_cmp_eq_u32_e32 vcc, 0, v3
	s_and_b64 vcc, s[20:21], vcc
	s_andn2_b64 s[20:21], s[20:21], exec
	s_and_b64 vcc, vcc, exec
	s_or_b64 s[20:21], s[20:21], vcc
.LBB2_4745:                             ;   in Loop: Header=BB2_4677 Depth=1
	s_or_b64 exec, exec, s[40:41]
	v_cmp_eq_u32_e32 vcc, 0, v2
	s_xor_b64 s[20:21], s[20:21], -1
	v_cndmask_b32_e32 v4, 0, v12, vcc
	v_cndmask_b32_e64 v2, 0, 1, s[20:21]
	v_mov_b32_e32 v21, 0
	s_mov_b64 s[42:43], -1
	;;#ASMSTART
	;;#ASMEND
	v_cmp_ne_u32_e32 vcc, 0, v2
	v_mov_b32_e32 v5, v4
	v_mov_b32_e32 v23, v58
	s_cbranch_vccz .LBB2_4747
; %bb.4746:                             ;   in Loop: Header=BB2_4677 Depth=1
	s_and_saveexec_b64 s[20:21], s[42:43]
	s_cbranch_execnz .LBB2_4758
	s_branch .LBB2_4766
.LBB2_4747:                             ;   in Loop: Header=BB2_4677 Depth=1
	v_and_b32_e32 v24, 0x3ff, v4
	v_lshrrev_b32_e32 v2, 10, v4
	v_cmp_lt_u32_e32 vcc, 15, v24
	v_sub_u32_e32 v5, v4, v14
	v_addc_co_u32_e64 v17, s[20:21], v2, v1, vcc
	v_cmp_lt_i32_e64 s[20:21], 15, v5
	s_and_saveexec_b64 s[40:41], s[20:21]
	s_cbranch_execz .LBB2_4751
; %bb.4748:                             ;   in Loop: Header=BB2_4677 Depth=1
	s_trap 2
	ds_read_b64 v[2:3], v0
	s_mov_b64 s[42:43], 0
	v_pk_mov_b32 v[22:23], v[14:15], v[14:15] op_sel:[0,1]
.LBB2_4749:                             ;   Parent Loop BB2_4677 Depth=1
                                        ; =>  This Inner Loop Header: Depth=2
	s_waitcnt lgkmcnt(0)
	v_add_co_u32_e64 v34, s[20:21], v2, v22
	v_addc_co_u32_e64 v35, s[20:21], v3, v23, s[20:21]
	global_load_dwordx4 v[48:51], v[34:35], off glc slc
	v_add_co_u32_e64 v22, s[20:21], v22, v27
	v_sub_u32_e32 v5, v5, v26
	v_addc_co_u32_e64 v23, s[20:21], v23, v28, s[20:21]
	v_cmp_gt_i32_e64 s[20:21], 16, v5
	v_sub_u32_e32 v17, v17, v10
	s_or_b64 s[42:43], s[20:21], s[42:43]
	s_waitcnt vmcnt(0)
	global_store_dwordx4 v[34:35], v[48:51], off glc slc
	s_andn2_b64 exec, exec, s[42:43]
	s_cbranch_execnz .LBB2_4749
; %bb.4750:                             ;   in Loop: Header=BB2_4677 Depth=1
	s_or_b64 exec, exec, s[42:43]
.LBB2_4751:                             ;   in Loop: Header=BB2_4677 Depth=1
	s_or_b64 exec, exec, s[40:41]
	v_and_b32_e32 v2, 15, v4
	v_cndmask_b32_e32 v5, v24, v2, vcc
	v_cmp_ne_u32_e64 s[20:21], 0, v5
	s_mov_b64 s[42:43], 0
	v_mov_b32_e32 v21, 0
                                        ; implicit-def: $vgpr23
	s_and_saveexec_b64 s[40:41], s[20:21]
	s_cbranch_execz .LBB2_4757
; %bb.4752:                             ;   in Loop: Header=BB2_4677 Depth=1
	v_sub_u32_e32 v2, v24, v2
	v_cndmask_b32_e32 v23, 0, v2, vcc
	v_cmp_lt_i32_e32 vcc, 0, v17
	v_cndmask_b32_e32 v2, 0, v10, vcc
	v_sub_u32_e32 v2, v2, v17
	v_lshl_add_u32 v2, v2, 6, v0
	v_ashrrev_i32_e32 v3, 31, v2
	v_lshrrev_b32_e32 v3, 26, v3
	v_add_u32_e32 v3, v2, v3
	v_ashrrev_i32_e32 v17, 6, v3
	v_and_b32_e32 v3, 0xffffffc0, v3
	v_sub_u32_e32 v25, v2, v3
	v_lshlrev_b32_e32 v2, 4, v25
	v_sub_u32_e32 v24, 0, v17
	v_lshl_add_u32 v17, v17, 10, v2
	v_sub_u32_e32 v34, v5, v17
	v_and_b32_e32 v21, 0x3ffffc00, v4
	v_cmp_lt_i32_e32 vcc, 15, v34
	s_and_saveexec_b64 s[20:21], vcc
	s_cbranch_execz .LBB2_4756
; %bb.4753:                             ;   in Loop: Header=BB2_4677 Depth=1
	s_trap 2
	ds_read_b64 v[2:3], v0
	v_add3_u32 v22, v23, v21, v17
	v_ashrrev_i32_e32 v17, 31, v22
.LBB2_4754:                             ;   Parent Loop BB2_4677 Depth=1
                                        ; =>  This Inner Loop Header: Depth=2
	s_waitcnt lgkmcnt(0)
	v_add_co_u32_e32 v38, vcc, v2, v22
	v_addc_co_u32_e32 v39, vcc, v3, v17, vcc
	global_load_dwordx4 v[48:51], v[38:39], off glc slc
	v_add_co_u32_e32 v22, vcc, v22, v27
	v_sub_u32_e32 v34, v34, v26
	v_addc_co_u32_e32 v17, vcc, v17, v28, vcc
	v_cmp_gt_i32_e32 vcc, 16, v34
	v_sub_u32_e32 v24, v24, v10
	s_or_b64 s[42:43], vcc, s[42:43]
	s_waitcnt vmcnt(0)
	global_store_dwordx4 v[38:39], v[48:51], off glc slc
	s_andn2_b64 exec, exec, s[42:43]
	s_cbranch_execnz .LBB2_4754
; %bb.4755:                             ;   in Loop: Header=BB2_4677 Depth=1
	s_or_b64 exec, exec, s[42:43]
.LBB2_4756:                             ;   in Loop: Header=BB2_4677 Depth=1
	s_or_b64 exec, exec, s[20:21]
	v_cmp_lt_i32_e32 vcc, 0, v24
	v_cndmask_b32_e32 v2, 0, v10, vcc
	v_sub_u32_e32 v2, v2, v24
	s_mov_b64 s[42:43], exec
	v_or_b32_e32 v21, v23, v21
	v_lshl_add_u32 v23, v2, 6, v25
.LBB2_4757:                             ;   in Loop: Header=BB2_4677 Depth=1
	s_or_b64 exec, exec, s[40:41]
	s_and_saveexec_b64 s[20:21], s[42:43]
	s_cbranch_execz .LBB2_4766
.LBB2_4758:                             ;   in Loop: Header=BB2_4677 Depth=1
	v_ashrrev_i32_e32 v2, 31, v23
	v_lshrrev_b32_e32 v2, 26, v2
	v_add_u32_e32 v17, v23, v2
	v_ashrrev_i32_e32 v34, 6, v17
	v_lshrrev_b32_e32 v2, 9, v5
	v_sub_u32_e32 v35, v2, v34
	v_cmp_lt_i32_e32 vcc, 0, v35
	s_and_saveexec_b64 s[40:41], vcc
	s_cbranch_execz .LBB2_4762
; %bb.4759:                             ;   in Loop: Header=BB2_4677 Depth=1
	s_trap 2
	ds_read_b64 v[2:3], v0
	v_and_b32_e32 v17, 0xffffffc0, v17
	v_sub_u32_e32 v17, v23, v17
	v_lshlrev_b32_e32 v22, 9, v34
	v_add3_u32 v22, v21, v17, v22
	v_ashrrev_i32_e32 v17, 31, v22
	s_mov_b64 s[42:43], 0
	s_waitcnt lgkmcnt(0)
	v_pk_mov_b32 v[24:25], v[2:3], v[2:3] op_sel:[0,1]
.LBB2_4760:                             ;   Parent Loop BB2_4677 Depth=1
                                        ; =>  This Inner Loop Header: Depth=2
	v_add_co_u32_e32 v38, vcc, v22, v24
	v_addc_co_u32_e32 v39, vcc, v17, v25, vcc
	flat_load_ubyte v48, v[38:39] glc slc
	flat_load_ubyte v49, v[38:39] offset:64 glc slc
	flat_load_ubyte v50, v[38:39] offset:128 glc slc
	;; [unrolled: 1-line block ×7, first 2 shown]
	v_add_co_u32_e32 v38, vcc, v22, v2
	v_addc_co_u32_e32 v39, vcc, v17, v3, vcc
	v_add_co_u32_e32 v24, vcc, v24, v29
	v_addc_co_u32_e32 v25, vcc, v25, v30, vcc
	v_add_co_u32_e32 v2, vcc, v2, v29
	v_sub_u32_e32 v35, v35, v10
	v_addc_co_u32_e32 v3, vcc, v3, v30, vcc
	v_cmp_gt_i32_e32 vcc, 1, v35
	s_or_b64 s[42:43], vcc, s[42:43]
	s_waitcnt vmcnt(0) lgkmcnt(0)
	flat_store_byte v[38:39], v48 glc slc
	flat_store_byte v[38:39], v49 offset:64 glc slc
	flat_store_byte v[38:39], v50 offset:128 glc slc
	;; [unrolled: 1-line block ×7, first 2 shown]
	s_andn2_b64 exec, exec, s[42:43]
	s_cbranch_execnz .LBB2_4760
; %bb.4761:                             ;   in Loop: Header=BB2_4677 Depth=1
	s_or_b64 exec, exec, s[42:43]
.LBB2_4762:                             ;   in Loop: Header=BB2_4677 Depth=1
	s_or_b64 exec, exec, s[40:41]
	v_and_b32_e32 v17, 0xfffffe00, v5
	v_cmp_ne_u32_e32 vcc, v5, v17
	s_and_b64 exec, exec, vcc
	s_cbranch_execz .LBB2_4766
; %bb.4763:                             ;   in Loop: Header=BB2_4677 Depth=1
	v_lshlrev_b32_e32 v2, 6, v34
	v_sub_u32_e32 v2, v23, v2
	v_lshlrev_b32_e32 v3, 6, v35
	v_sub_u32_e32 v22, v2, v3
	v_and_b32_e32 v2, 0x1ff, v5
	v_sub_u32_e32 v5, v2, v22
	v_cmp_lt_i32_e32 vcc, 0, v5
	s_and_b64 exec, exec, vcc
	s_cbranch_execz .LBB2_4766
; %bb.4764:                             ;   in Loop: Header=BB2_4677 Depth=1
	s_trap 2
	ds_read_b64 v[2:3], v0
	v_add3_u32 v22, v17, v21, v22
	v_ashrrev_i32_e32 v17, 31, v22
	s_mov_b64 s[40:41], 0
.LBB2_4765:                             ;   Parent Loop BB2_4677 Depth=1
                                        ; =>  This Inner Loop Header: Depth=2
	s_waitcnt lgkmcnt(0)
	v_add_co_u32_e32 v24, vcc, v2, v22
	v_addc_co_u32_e32 v25, vcc, v3, v17, vcc
	flat_load_ubyte v21, v[24:25] glc slc
	v_add_co_u32_e32 v22, vcc, v22, v16
	v_sub_u32_e32 v5, v5, v16
	v_addc_co_u32_e32 v17, vcc, v17, v11, vcc
	v_cmp_gt_i32_e32 vcc, 1, v5
	s_or_b64 s[40:41], vcc, s[40:41]
	s_waitcnt vmcnt(0) lgkmcnt(0)
	flat_store_byte v[24:25], v21 glc slc
	s_andn2_b64 exec, exec, s[40:41]
	s_cbranch_execnz .LBB2_4765
.LBB2_4766:                             ;   in Loop: Header=BB2_4677 Depth=1
	s_or_b64 exec, exec, s[20:21]
	v_accvgpr_read_b32 v35, a11
	v_cmp_ne_u32_e64 s[20:21], 0, v4
	v_accvgpr_read_b32 v34, a10
.LBB2_4767:                             ;   in Loop: Header=BB2_4677 Depth=1
	s_and_saveexec_b64 s[40:41], s[10:11]
	s_cbranch_execz .LBB2_4786
; %bb.4768:                             ;   in Loop: Header=BB2_4677 Depth=1
	s_and_saveexec_b64 vcc, s[30:31]
	s_xor_b64 s[42:43], exec, vcc
	s_cbranch_execz .LBB2_4783
; %bb.4769:                             ;   in Loop: Header=BB2_4677 Depth=1
	s_and_saveexec_b64 s[44:45], s[12:13]
	s_cbranch_execz .LBB2_4782
; %bb.4770:                             ;   in Loop: Header=BB2_4677 Depth=1
	s_mov_b64 s[48:49], exec
	v_mbcnt_lo_u32_b32 v2, s48, 0
	v_mbcnt_hi_u32_b32 v2, s49, v2
	v_cmp_eq_u32_e32 vcc, 0, v2
	s_waitcnt vmcnt(0) lgkmcnt(0)
	buffer_wbinvl1_vol
	s_and_saveexec_b64 s[46:47], vcc
	s_cbranch_execz .LBB2_4772
; %bb.4771:                             ;   in Loop: Header=BB2_4677 Depth=1
	s_bcnt1_i32_b64 vcc_lo, s[48:49]
	v_mov_b32_e32 v2, vcc_lo
	v_mov_b32_e32 v3, v13
	ds_add_u64 v0, v[2:3]
	s_trap 2
.LBB2_4772:                             ;   in Loop: Header=BB2_4677 Depth=1
	s_or_b64 exec, exec, s[46:47]
	s_trap 2
	ds_read_b64 v[2:3], v0
	v_accvgpr_read_b32 v4, a16
	v_accvgpr_read_b32 v5, a17
	v_add_co_u32_e32 v4, vcc, v4, v10
	v_addc_co_u32_e32 v5, vcc, 0, v5, vcc
	v_accvgpr_write_b32 a17, v5
	v_accvgpr_write_b32 a16, v4
	s_waitcnt lgkmcnt(0)
	v_cmp_lt_u64_e32 vcc, v[2:3], v[4:5]
	s_and_saveexec_b64 s[46:47], vcc
	s_cbranch_execz .LBB2_4781
; %bb.4773:                             ;   in Loop: Header=BB2_4677 Depth=1
	s_mov_b32 s60, 0
	s_mov_b64 s[48:49], 0
                                        ; implicit-def: $sgpr50_sgpr51
                                        ; implicit-def: $sgpr52_sgpr53
	s_branch .LBB2_4775
.LBB2_4774:                             ;   in Loop: Header=BB2_4775 Depth=2
	s_or_b64 exec, exec, s[56:57]
	s_and_b64 vcc, exec, vcc
	s_or_b64 s[48:49], vcc, s[48:49]
	s_andn2_b64 vcc, s[50:51], exec
	s_and_b64 s[50:51], s[52:53], exec
	s_or_b64 s[50:51], vcc, s[50:51]
	s_andn2_b64 exec, exec, s[48:49]
	s_cbranch_execz .LBB2_4779
.LBB2_4775:                             ;   Parent Loop BB2_4677 Depth=1
                                        ; =>  This Inner Loop Header: Depth=2
	s_add_i32 s60, s60, 1
	s_cmpk_lg_i32 s60, 0x2710
	s_cselect_b64 s[54:55], -1, 0
	s_and_b64 vcc, exec, s[54:55]
                                        ; implicit-def: $sgpr56_sgpr57
	s_cbranch_vccnz .LBB2_4777
; %bb.4776:                             ;   in Loop: Header=BB2_4775 Depth=2
	s_trap 2
	ds_read_b64 v[2:3], v0
	s_andn2_b64 s[54:55], s[54:55], exec
	s_mov_b32 s60, 0
	s_mov_b64 s[56:57], -1
	s_waitcnt lgkmcnt(0)
	flat_load_dword v2, v[2:3] glc
	s_waitcnt vmcnt(0) lgkmcnt(0)
	buffer_invl2
	buffer_wbinvl1_vol
	v_cmp_eq_u32_e32 vcc, 0, v2
	s_and_b64 vcc, vcc, exec
	s_or_b64 s[54:55], s[54:55], vcc
.LBB2_4777:                             ;   in Loop: Header=BB2_4775 Depth=2
	s_andn2_b64 s[52:53], s[52:53], exec
	s_and_b64 s[56:57], s[56:57], exec
	s_mov_b64 vcc, -1
	s_or_b64 s[52:53], s[52:53], s[56:57]
	s_and_saveexec_b64 s[56:57], s[54:55]
	s_cbranch_execz .LBB2_4774
; %bb.4778:                             ;   in Loop: Header=BB2_4775 Depth=2
	s_sleep 1
	s_trap 2
	ds_read_b64 v[2:3], v0
	v_accvgpr_read_b32 v4, a16
	v_accvgpr_read_b32 v5, a17
	s_andn2_b64 s[52:53], s[52:53], exec
	s_waitcnt lgkmcnt(0)
	v_cmp_ge_u64_e32 vcc, v[2:3], v[4:5]
	s_orn2_b64 vcc, vcc, exec
	s_branch .LBB2_4774
.LBB2_4779:                             ;   in Loop: Header=BB2_4677 Depth=1
	s_or_b64 exec, exec, s[48:49]
	s_and_saveexec_b64 vcc, s[50:51]
	s_xor_b64 vcc, exec, vcc
	s_cbranch_execz .LBB2_4781
; %bb.4780:                             ;   in Loop: Header=BB2_4677 Depth=1
	ds_write_b32 v0, v31
	s_trap 2
.LBB2_4781:                             ;   in Loop: Header=BB2_4677 Depth=1
	s_or_b64 exec, exec, s[46:47]
	;;#ASMSTART
	s_wakeup
	;;#ASMEND
.LBB2_4782:                             ;   in Loop: Header=BB2_4677 Depth=1
	s_or_b64 exec, exec, s[44:45]
.LBB2_4783:                             ;   in Loop: Header=BB2_4677 Depth=1
	s_andn2_saveexec_b64 vcc, s[42:43]
	s_cbranch_execz .LBB2_4785
; %bb.4784:                             ;   in Loop: Header=BB2_4677 Depth=1
	s_waitcnt vmcnt(0) lgkmcnt(0)
	buffer_wbinvl1_vol
	s_barrier
.LBB2_4785:                             ;   in Loop: Header=BB2_4677 Depth=1
	s_or_b64 exec, exec, vcc
.LBB2_4786:                             ;   in Loop: Header=BB2_4677 Depth=1
	s_or_b64 exec, exec, s[40:41]
	v_and_b32_e32 v2, 16, v62
	v_cmp_ne_u32_e32 vcc, 0, v2
	s_and_b64 vcc, vcc, s[20:21]
	s_and_saveexec_b64 s[20:21], vcc
	s_cbranch_execz .LBB2_4788
; %bb.4787:                             ;   in Loop: Header=BB2_4677 Depth=1
	s_waitcnt vmcnt(0) lgkmcnt(0)
	buffer_wbinvl1_vol
.LBB2_4788:                             ;   in Loop: Header=BB2_4677 Depth=1
	s_or_b64 exec, exec, s[20:21]
	v_cmp_ne_u32_e32 vcc, 0, v2
	s_and_saveexec_b64 s[20:21], vcc
	s_cbranch_execz .LBB2_4792
; %bb.4789:                             ;   in Loop: Header=BB2_4677 Depth=1
	s_and_saveexec_b64 vcc, s[18:19]
	s_cbranch_execz .LBB2_4791
; %bb.4790:                             ;   in Loop: Header=BB2_4677 Depth=1
	flat_store_dword v[42:43], v31
.LBB2_4791:                             ;   in Loop: Header=BB2_4677 Depth=1
	s_or_b64 exec, exec, vcc
	v_add_co_u32_e32 v8, vcc, 1, v8
	v_addc_co_u32_e32 v9, vcc, 0, v9, vcc
	flat_store_dwordx2 v[32:33], v[8:9]
.LBB2_4792:                             ;   in Loop: Header=BB2_4677 Depth=1
	s_or_b64 exec, exec, s[20:21]
	v_mov_b32_e32 v4, v12
.LBB2_4793:                             ;   in Loop: Header=BB2_4677 Depth=1
	s_or_b64 exec, exec, s[38:39]
	s_and_saveexec_b64 s[38:39], s[36:37]
	s_cbranch_execz .LBB2_4676
; %bb.4794:                             ;   in Loop: Header=BB2_4677 Depth=1
	v_and_b32_e32 v2, 8, v62
	v_cmp_ne_u32_e32 vcc, 0, v2
	s_mov_b64 s[36:37], -1
	s_and_saveexec_b64 s[20:21], vcc
	s_cbranch_execz .LBB2_4806
; %bb.4795:                             ;   in Loop: Header=BB2_4677 Depth=1
	v_add_co_u32_e32 v22, vcc, 8, v36
	v_addc_co_u32_e32 v23, vcc, 0, v37, vcc
	v_add_co_u32_e32 v2, vcc, 1, v8
	v_addc_co_u32_e32 v3, vcc, 0, v9, vcc
	v_cmp_lt_u64_e32 vcc, v[22:23], v[2:3]
	v_mov_b32_e32 v5, 1
	s_and_saveexec_b64 s[36:37], vcc
	s_cbranch_execz .LBB2_4805
; %bb.4796:                             ;   in Loop: Header=BB2_4677 Depth=1
	s_mov_b64 s[40:41], 0
	v_mov_b32_e32 v5, 0
                                        ; implicit-def: $sgpr42_sgpr43
	s_branch .LBB2_4800
.LBB2_4797:                             ;   in Loop: Header=BB2_4800 Depth=2
	s_or_b64 exec, exec, s[50:51]
	v_mov_b32_e32 v17, 0
	s_orn2_b64 s[48:49], s[48:49], exec
.LBB2_4798:                             ;   in Loop: Header=BB2_4800 Depth=2
	s_or_b64 exec, exec, s[46:47]
	s_andn2_b64 vcc, s[42:43], exec
	s_and_b64 s[42:43], s[48:49], exec
	s_or_b64 s[42:43], vcc, s[42:43]
	v_mov_b32_e32 v5, v17
.LBB2_4799:                             ;   in Loop: Header=BB2_4800 Depth=2
	s_or_b64 exec, exec, s[44:45]
	s_waitcnt vmcnt(0) lgkmcnt(0)
	v_add_co_u32_e32 v22, vcc, 8, v36
	v_addc_co_u32_e32 v23, vcc, 0, v37, vcc
	v_cmp_ge_u64_e32 vcc, v[22:23], v[2:3]
	s_xor_b64 s[44:45], s[42:43], -1
	s_or_b64 vcc, s[44:45], vcc
	s_and_b64 vcc, exec, vcc
	s_or_b64 s[40:41], vcc, s[40:41]
	s_andn2_b64 exec, exec, s[40:41]
	s_cbranch_execz .LBB2_4804
.LBB2_4800:                             ;   Parent Loop BB2_4677 Depth=1
                                        ; =>  This Inner Loop Header: Depth=2
	s_sleep 1
	flat_load_dwordx2 v[36:37], v[32:33] glc
	v_and_b32_e32 v17, 64, v62
	v_cmp_eq_u32_e32 vcc, 0, v17
	s_andn2_b64 s[42:43], s[42:43], exec
	s_and_saveexec_b64 s[44:45], vcc
	s_cbranch_execz .LBB2_4799
; %bb.4801:                             ;   in Loop: Header=BB2_4800 Depth=2
	v_add_u32_e32 v17, 1, v5
	v_cmp_lt_i32_e32 vcc, s59, v5
	s_mov_b64 s[48:49], -1
	s_and_saveexec_b64 s[46:47], vcc
	s_cbranch_execz .LBB2_4798
; %bb.4802:                             ;   in Loop: Header=BB2_4800 Depth=2
	s_trap 2
	ds_read_b64 v[22:23], v0
	s_waitcnt vmcnt(0) lgkmcnt(0)
	flat_load_dword v5, v[22:23] glc
	s_waitcnt vmcnt(0) lgkmcnt(0)
	buffer_invl2
	buffer_wbinvl1_vol
	v_cmp_ne_u32_e32 vcc, 0, v5
	s_and_saveexec_b64 s[50:51], vcc
	s_cbranch_execz .LBB2_4797
; %bb.4803:                             ;   in Loop: Header=BB2_4800 Depth=2
	v_or_b32_e32 v62, 64, v62
	s_xor_b64 s[48:49], exec, -1
	ds_write_b32 v0, v5
	s_trap 2
	s_branch .LBB2_4797
.LBB2_4804:                             ;   in Loop: Header=BB2_4677 Depth=1
	s_or_b64 exec, exec, s[40:41]
	v_and_b32_e32 v5, 8, v62
.LBB2_4805:                             ;   in Loop: Header=BB2_4677 Depth=1
	s_or_b64 exec, exec, s[36:37]
	v_cmp_eq_u32_e32 vcc, 0, v5
	s_orn2_b64 s[36:37], vcc, exec
	;;#ASMSTART
	s_wakeup
	;;#ASMEND
.LBB2_4806:                             ;   in Loop: Header=BB2_4677 Depth=1
	s_or_b64 exec, exec, s[20:21]
	v_sub_u32_e32 v2, v20, v4
	s_xor_b64 s[20:21], s[36:37], -1
	v_min_i32_e32 v2, v12, v2
	s_and_saveexec_b64 s[36:37], s[20:21]
	s_cbranch_execz .LBB2_4816
; %bb.4807:                             ;   in Loop: Header=BB2_4677 Depth=1
	v_and_b32_e32 v3, 0x100, v62
	v_cmp_ne_u32_e32 vcc, 0, v3
	v_and_b32_e32 v4, 7, v8
	s_mov_b64 s[20:21], -1
                                        ; implicit-def: $vgpr20_vgpr21
	s_and_saveexec_b64 s[40:41], vcc
	s_cbranch_execz .LBB2_4811
; %bb.4808:                             ;   in Loop: Header=BB2_4677 Depth=1
	v_mad_u64_u32 v[22:23], s[20:21], v4, 24, v[6:7]
	flat_load_dword v5, v[22:23]
	v_ashrrev_i32_e32 v3, 31, v2
	flat_store_dwordx2 v[22:23], v[2:3] offset:8
                                        ; implicit-def: $vgpr20_vgpr21
	s_waitcnt vmcnt(0) lgkmcnt(0)
	v_cmp_ne_u32_e32 vcc, 1, v5
	v_cmp_eq_u32_e64 s[20:21], 1, v5
	s_and_saveexec_b64 s[42:43], s[20:21]
	s_cbranch_execz .LBB2_4810
; %bb.4809:                             ;   in Loop: Header=BB2_4677 Depth=1
	flat_load_dword v20, v[22:23] offset:4 glc
	s_waitcnt vmcnt(0) lgkmcnt(0)
	v_ashrrev_i32_e32 v21, 31, v20
.LBB2_4810:                             ;   in Loop: Header=BB2_4677 Depth=1
	s_or_b64 exec, exec, s[42:43]
	s_orn2_b64 s[20:21], vcc, exec
.LBB2_4811:                             ;   in Loop: Header=BB2_4677 Depth=1
	s_or_b64 exec, exec, s[40:41]
	s_and_saveexec_b64 vcc, s[20:21]
; %bb.4812:                             ;   in Loop: Header=BB2_4677 Depth=1
	v_accvgpr_read_b32 v12, a12
	v_mad_i64_i32 v[20:21], s[20:21], v4, v12, 0
; %bb.4813:                             ;   in Loop: Header=BB2_4677 Depth=1
	s_or_b64 exec, exec, vcc
	v_accvgpr_read_b32 v4, a14
	v_accvgpr_read_b32 v5, a15
	v_add_co_u32_e32 v4, vcc, v4, v20
	v_addc_co_u32_e32 v5, vcc, v5, v21, vcc
	v_and_b32_e32 v3, 0x2000, v62
	v_cmp_ne_u32_e32 vcc, 0, v3
	ds_write_b64 v0, v[4:5] offset:784
	s_and_saveexec_b64 s[20:21], vcc
	s_cbranch_execz .LBB2_4815
; %bb.4814:                             ;   in Loop: Header=BB2_4677 Depth=1
	ds_read_b64 v[4:5], v0 offset:584
	s_waitcnt lgkmcnt(0)
	v_add_co_u32_e32 v4, vcc, 1, v4
	v_addc_co_u32_e32 v5, vcc, 0, v5, vcc
	ds_write_b64 v0, v[4:5] offset:584
.LBB2_4815:                             ;   in Loop: Header=BB2_4677 Depth=1
	s_or_b64 exec, exec, s[20:21]
	v_add_co_u32_e32 v8, vcc, 1, v8
	v_addc_co_u32_e32 v9, vcc, 0, v9, vcc
.LBB2_4816:                             ;   in Loop: Header=BB2_4677 Depth=1
	s_or_b64 exec, exec, s[36:37]
	s_and_saveexec_b64 s[20:21], s[10:11]
	s_cbranch_execz .LBB2_4835
; %bb.4817:                             ;   in Loop: Header=BB2_4677 Depth=1
	s_and_saveexec_b64 vcc, s[30:31]
	s_xor_b64 s[36:37], exec, vcc
	s_cbranch_execz .LBB2_4832
; %bb.4818:                             ;   in Loop: Header=BB2_4677 Depth=1
	s_and_saveexec_b64 s[40:41], s[12:13]
	s_cbranch_execz .LBB2_4831
; %bb.4819:                             ;   in Loop: Header=BB2_4677 Depth=1
	s_mov_b64 s[44:45], exec
	v_mbcnt_lo_u32_b32 v3, s44, 0
	v_mbcnt_hi_u32_b32 v3, s45, v3
	v_cmp_eq_u32_e32 vcc, 0, v3
	s_waitcnt vmcnt(0) lgkmcnt(0)
	buffer_wbinvl1_vol
	s_and_saveexec_b64 s[42:43], vcc
	s_cbranch_execz .LBB2_4821
; %bb.4820:                             ;   in Loop: Header=BB2_4677 Depth=1
	s_bcnt1_i32_b64 vcc_lo, s[44:45]
	v_mov_b32_e32 v12, vcc_lo
	ds_add_u64 v0, v[12:13]
	s_trap 2
.LBB2_4821:                             ;   in Loop: Header=BB2_4677 Depth=1
	s_or_b64 exec, exec, s[42:43]
	s_trap 2
	ds_read_b64 v[4:5], v0
	v_accvgpr_read_b32 v21, a17
	v_accvgpr_read_b32 v20, a16
	v_add_co_u32_e32 v20, vcc, v20, v10
	v_addc_co_u32_e32 v21, vcc, 0, v21, vcc
	v_accvgpr_write_b32 a16, v20
	v_accvgpr_write_b32 a17, v21
	s_waitcnt lgkmcnt(0)
	v_cmp_lt_u64_e32 vcc, v[4:5], v[20:21]
	s_and_saveexec_b64 s[42:43], vcc
	s_cbranch_execz .LBB2_4830
; %bb.4822:                             ;   in Loop: Header=BB2_4677 Depth=1
	s_mov_b32 s54, 0
	s_mov_b64 s[44:45], 0
                                        ; implicit-def: $sgpr46_sgpr47
                                        ; implicit-def: $sgpr48_sgpr49
	s_branch .LBB2_4824
.LBB2_4823:                             ;   in Loop: Header=BB2_4824 Depth=2
	s_or_b64 exec, exec, s[52:53]
	s_and_b64 vcc, exec, vcc
	s_or_b64 s[44:45], vcc, s[44:45]
	s_andn2_b64 vcc, s[46:47], exec
	s_and_b64 s[46:47], s[48:49], exec
	s_or_b64 s[46:47], vcc, s[46:47]
	s_andn2_b64 exec, exec, s[44:45]
	s_cbranch_execz .LBB2_4828
.LBB2_4824:                             ;   Parent Loop BB2_4677 Depth=1
                                        ; =>  This Inner Loop Header: Depth=2
	s_add_i32 s54, s54, 1
	s_cmpk_lg_i32 s54, 0x2710
	s_cselect_b64 s[50:51], -1, 0
	s_and_b64 vcc, exec, s[50:51]
                                        ; implicit-def: $sgpr52_sgpr53
	s_cbranch_vccnz .LBB2_4826
; %bb.4825:                             ;   in Loop: Header=BB2_4824 Depth=2
	s_trap 2
	ds_read_b64 v[4:5], v0
	s_andn2_b64 s[50:51], s[50:51], exec
	s_mov_b32 s54, 0
	s_mov_b64 s[52:53], -1
	s_waitcnt lgkmcnt(0)
	flat_load_dword v3, v[4:5] glc
	s_waitcnt vmcnt(0) lgkmcnt(0)
	buffer_invl2
	buffer_wbinvl1_vol
	v_cmp_eq_u32_e32 vcc, 0, v3
	s_and_b64 vcc, vcc, exec
	s_or_b64 s[50:51], s[50:51], vcc
.LBB2_4826:                             ;   in Loop: Header=BB2_4824 Depth=2
	s_andn2_b64 s[48:49], s[48:49], exec
	s_and_b64 s[52:53], s[52:53], exec
	s_mov_b64 vcc, -1
	s_or_b64 s[48:49], s[48:49], s[52:53]
	s_and_saveexec_b64 s[52:53], s[50:51]
	s_cbranch_execz .LBB2_4823
; %bb.4827:                             ;   in Loop: Header=BB2_4824 Depth=2
	s_sleep 1
	s_trap 2
	ds_read_b64 v[4:5], v0
	v_accvgpr_read_b32 v21, a17
	v_accvgpr_read_b32 v20, a16
	s_andn2_b64 s[48:49], s[48:49], exec
	s_waitcnt lgkmcnt(0)
	v_cmp_ge_u64_e32 vcc, v[4:5], v[20:21]
	s_orn2_b64 vcc, vcc, exec
	s_branch .LBB2_4823
.LBB2_4828:                             ;   in Loop: Header=BB2_4677 Depth=1
	s_or_b64 exec, exec, s[44:45]
	s_and_saveexec_b64 vcc, s[46:47]
	s_xor_b64 vcc, exec, vcc
	s_cbranch_execz .LBB2_4830
; %bb.4829:                             ;   in Loop: Header=BB2_4677 Depth=1
	ds_write_b32 v0, v31
	s_trap 2
.LBB2_4830:                             ;   in Loop: Header=BB2_4677 Depth=1
	s_or_b64 exec, exec, s[42:43]
	;;#ASMSTART
	s_wakeup
	;;#ASMEND
.LBB2_4831:                             ;   in Loop: Header=BB2_4677 Depth=1
	s_or_b64 exec, exec, s[40:41]
.LBB2_4832:                             ;   in Loop: Header=BB2_4677 Depth=1
	s_andn2_saveexec_b64 vcc, s[36:37]
	s_cbranch_execz .LBB2_4834
; %bb.4833:                             ;   in Loop: Header=BB2_4677 Depth=1
	s_waitcnt vmcnt(0) lgkmcnt(0)
	buffer_wbinvl1_vol
	s_barrier
.LBB2_4834:                             ;   in Loop: Header=BB2_4677 Depth=1
	s_or_b64 exec, exec, vcc
.LBB2_4835:                             ;   in Loop: Header=BB2_4677 Depth=1
	s_or_b64 exec, exec, s[20:21]
	s_trap 2
	ds_read_b32 v3, v0
	v_cmp_lt_i32_e32 vcc, 0, v2
	v_and_b32_e32 v2, 16, v62
	s_waitcnt lgkmcnt(0)
	v_readfirstlane_b32 s20, v3
	s_cmp_eq_u32 s20, 0
	s_cselect_b64 s[20:21], -1, 0
	s_and_b64 s[20:21], vcc, s[20:21]
	v_cmp_ne_u32_e32 vcc, 0, v2
	s_and_b64 vcc, vcc, s[20:21]
	s_and_saveexec_b64 s[20:21], vcc
	s_cbranch_execz .LBB2_4837
; %bb.4836:                             ;   in Loop: Header=BB2_4677 Depth=1
	s_waitcnt vmcnt(0)
	buffer_wbinvl1_vol
.LBB2_4837:                             ;   in Loop: Header=BB2_4677 Depth=1
	s_or_b64 exec, exec, s[20:21]
	v_cmp_ne_u32_e32 vcc, 0, v2
	s_and_saveexec_b64 s[20:21], vcc
	s_cbranch_execz .LBB2_4675
; %bb.4838:                             ;   in Loop: Header=BB2_4677 Depth=1
	s_and_saveexec_b64 vcc, s[18:19]
	s_cbranch_execz .LBB2_4674
; %bb.4839:                             ;   in Loop: Header=BB2_4677 Depth=1
	flat_store_dword v[42:43], v31
	s_branch .LBB2_4674
.LBB2_4840:
	s_or_b64 exec, exec, s[26:27]
.LBB2_4841:
	s_or_b64 exec, exec, s[24:25]
.LBB2_4842:
	s_or_b64 exec, exec, s[22:23]
	v_and_b32_e32 v0, 0x800, v62
	v_cmp_eq_u32_e32 vcc, 0, v0
	s_and_saveexec_b64 s[4:5], vcc
	s_cbranch_execz .LBB2_4877
; %bb.4843:
	v_and_b32_e32 v0, 48, v62
	v_cmp_ne_u32_e32 vcc, 0, v0
	s_and_saveexec_b64 s[6:7], vcc
	s_cbranch_execz .LBB2_4845
; %bb.4844:
	s_waitcnt vmcnt(0) lgkmcnt(0)
	flat_store_dwordx2 v[34:35], v[8:9] offset:104
.LBB2_4845:
	s_or_b64 exec, exec, s[6:7]
	s_movk_i32 s6, 0x88
	v_and_b32_e32 v0, 0x88, v62
	v_cmp_eq_u32_e32 vcc, s6, v0
	s_and_saveexec_b64 s[6:7], vcc
	s_cbranch_execz .LBB2_4857
; %bb.4846:
	s_waitcnt vmcnt(0) lgkmcnt(0)
	v_add_u32_e32 v0, -1, v8
	v_and_b32_e32 v0, 7, v0
	v_mad_u64_u32 v[0:1], s[10:11], v0, 24, v[6:7]
	v_add_co_u32_e32 v2, vcc, 8, v0
	v_addc_co_u32_e32 v3, vcc, 0, v1, vcc
	s_mov_b64 s[10:11], 0
	v_mov_b32_e32 v0, 0
	s_movk_i32 s24, 0x270e
                                        ; implicit-def: $sgpr12_sgpr13
	s_branch .LBB2_4851
.LBB2_4847:                             ;   in Loop: Header=BB2_4851 Depth=1
	s_or_b64 exec, exec, s[22:23]
	v_mov_b32_e32 v1, 0
	s_orn2_b64 s[20:21], s[20:21], exec
.LBB2_4848:                             ;   in Loop: Header=BB2_4851 Depth=1
	s_or_b64 exec, exec, s[18:19]
	s_and_b64 s[18:19], s[20:21], exec
	v_mov_b32_e32 v0, v1
.LBB2_4849:                             ;   in Loop: Header=BB2_4851 Depth=1
	s_or_b64 exec, exec, s[16:17]
	s_xor_b64 s[16:17], s[18:19], -1
	s_andn2_b64 s[12:13], s[12:13], exec
	s_and_b64 s[16:17], s[16:17], exec
	s_or_b64 s[12:13], s[12:13], s[16:17]
.LBB2_4850:                             ;   in Loop: Header=BB2_4851 Depth=1
	s_or_b64 exec, exec, s[14:15]
	s_and_b64 s[14:15], exec, s[12:13]
	s_or_b64 s[10:11], s[14:15], s[10:11]
	s_andn2_b64 exec, exec, s[10:11]
	s_cbranch_execz .LBB2_4856
.LBB2_4851:                             ; =>This Inner Loop Header: Depth=1
	flat_load_dwordx2 v[4:5], v[2:3] glc
	s_waitcnt vmcnt(0)
	s_or_b64 s[12:13], s[12:13], exec
	s_waitcnt lgkmcnt(0)
	v_cmp_ne_u64_e32 vcc, -1, v[4:5]
	s_and_saveexec_b64 s[14:15], vcc
	s_cbranch_execz .LBB2_4850
; %bb.4852:                             ;   in Loop: Header=BB2_4851 Depth=1
	v_and_b32_e32 v1, 64, v62
	v_cmp_eq_u32_e32 vcc, 0, v1
	s_mov_b64 s[18:19], 0
	s_and_saveexec_b64 s[16:17], vcc
	s_cbranch_execz .LBB2_4849
; %bb.4853:                             ;   in Loop: Header=BB2_4851 Depth=1
	v_add_u32_e32 v1, 1, v0
	v_cmp_lt_i32_e32 vcc, s24, v0
	s_mov_b64 s[20:21], -1
	s_and_saveexec_b64 s[18:19], vcc
	s_cbranch_execz .LBB2_4848
; %bb.4854:                             ;   in Loop: Header=BB2_4851 Depth=1
	s_trap 2
	ds_read_b64 v[0:1], v0
	s_waitcnt lgkmcnt(0)
	flat_load_dword v0, v[0:1] glc
	s_waitcnt vmcnt(0) lgkmcnt(0)
	buffer_invl2
	buffer_wbinvl1_vol
	v_cmp_ne_u32_e32 vcc, 0, v0
	s_and_saveexec_b64 s[22:23], vcc
	s_cbranch_execz .LBB2_4847
; %bb.4855:                             ;   in Loop: Header=BB2_4851 Depth=1
	v_or_b32_e32 v62, 64, v62
	s_xor_b64 s[20:21], exec, -1
	ds_write_b32 v0, v0
	s_trap 2
	s_branch .LBB2_4847
.LBB2_4856:
	s_or_b64 exec, exec, s[10:11]
.LBB2_4857:
	s_or_b64 exec, exec, s[6:7]
	v_and_b32_e32 v0, 0x2000, v62
	v_cmp_ne_u32_e32 vcc, 0, v0
	s_and_saveexec_b64 s[6:7], vcc
	s_cbranch_execz .LBB2_4859
; %bb.4858:
	s_trap 2
	ds_read_b64 v[0:1], v0
	v_accvgpr_read_b32 v2, a8
	v_accvgpr_read_b32 v3, a9
	s_waitcnt lgkmcnt(0)
	flat_store_dwordx2 v[2:3], v[0:1] offset:16
.LBB2_4859:
	s_or_b64 exec, exec, s[6:7]
	v_cmp_ne_u32_e32 vcc, 64, v46
	s_and_b64 exec, exec, vcc
	s_cbranch_execz .LBB2_4877
; %bb.4860:
	s_waitcnt vmcnt(0)
	v_cmp_ne_u32_sdwa s[6:7], v56, v46 src0_sel:WORD_0 src1_sel:DWORD
	s_and_saveexec_b64 s[10:11], s[6:7]
	s_xor_b64 s[6:7], exec, s[10:11]
	s_cbranch_execz .LBB2_4875
; %bb.4861:
	v_and_b32_e32 v0, 63, v47
	v_cmp_eq_u32_e32 vcc, 0, v0
	s_and_saveexec_b64 s[10:11], vcc
	s_cbranch_execz .LBB2_4874
; %bb.4862:
	s_mov_b64 s[14:15], exec
	v_mbcnt_lo_u32_b32 v0, s14, 0
	v_mbcnt_hi_u32_b32 v0, s15, v0
	v_cmp_eq_u32_e32 vcc, 0, v0
	s_waitcnt lgkmcnt(0)
	buffer_wbinvl1_vol
	s_and_saveexec_b64 s[12:13], vcc
	s_cbranch_execz .LBB2_4864
; %bb.4863:
	s_bcnt1_i32_b64 s14, s[14:15]
	v_mov_b32_e32 v0, s14
	v_mov_b32_e32 v1, 0
	ds_add_u64 v0, v[0:1]
	s_trap 2
.LBB2_4864:
	s_or_b64 exec, exec, s[12:13]
	v_ashrrev_i32_e32 v0, 31, v46
	v_lshrrev_b32_e32 v0, 26, v0
	v_add_u32_e32 v0, v46, v0
	v_ashrrev_i32_e32 v0, 6, v0
	s_trap 2
	ds_read_b64 v[2:3], v0
	v_accvgpr_read_b32 v4, a16
	v_ashrrev_i32_e32 v1, 31, v0
	v_accvgpr_read_b32 v5, a17
	v_add_co_u32_e32 v0, vcc, v4, v0
	v_addc_co_u32_e32 v1, vcc, v5, v1, vcc
	s_waitcnt lgkmcnt(0)
	v_cmp_lt_u64_e32 vcc, v[2:3], v[0:1]
	s_and_saveexec_b64 s[12:13], vcc
	s_cbranch_execz .LBB2_4873
; %bb.4865:
	s_mov_b32 s26, 0
	s_mov_b64 s[14:15], 0
                                        ; implicit-def: $sgpr16_sgpr17
                                        ; implicit-def: $sgpr18_sgpr19
	s_branch .LBB2_4867
.LBB2_4866:                             ;   in Loop: Header=BB2_4867 Depth=1
	s_or_b64 exec, exec, s[24:25]
	s_and_b64 s[20:21], exec, s[22:23]
	s_or_b64 s[14:15], s[20:21], s[14:15]
	s_andn2_b64 s[16:17], s[16:17], exec
	s_and_b64 s[20:21], s[18:19], exec
	s_or_b64 s[16:17], s[16:17], s[20:21]
	s_andn2_b64 exec, exec, s[14:15]
	s_cbranch_execz .LBB2_4871
.LBB2_4867:                             ; =>This Inner Loop Header: Depth=1
	s_add_i32 s26, s26, 1
	s_cmpk_lg_i32 s26, 0x2710
	s_cselect_b64 s[20:21], -1, 0
	s_and_b64 vcc, exec, s[20:21]
                                        ; implicit-def: $sgpr24_sgpr25
	s_cbranch_vccnz .LBB2_4869
; %bb.4868:                             ;   in Loop: Header=BB2_4867 Depth=1
	s_trap 2
	ds_read_b64 v[2:3], v0
	s_andn2_b64 s[20:21], s[20:21], exec
	s_mov_b32 s26, 0
	s_mov_b64 s[24:25], -1
	s_waitcnt lgkmcnt(0)
	flat_load_dword v2, v[2:3] glc
	s_waitcnt vmcnt(0) lgkmcnt(0)
	buffer_invl2
	buffer_wbinvl1_vol
	v_cmp_eq_u32_e32 vcc, 0, v2
	s_and_b64 s[22:23], vcc, exec
	s_or_b64 s[20:21], s[20:21], s[22:23]
.LBB2_4869:                             ;   in Loop: Header=BB2_4867 Depth=1
	s_andn2_b64 s[18:19], s[18:19], exec
	s_and_b64 s[24:25], s[24:25], exec
	s_mov_b64 s[22:23], -1
	s_or_b64 s[18:19], s[18:19], s[24:25]
	s_and_saveexec_b64 s[24:25], s[20:21]
	s_cbranch_execz .LBB2_4866
; %bb.4870:                             ;   in Loop: Header=BB2_4867 Depth=1
	s_sleep 1
	s_trap 2
	ds_read_b64 v[2:3], v0
	s_andn2_b64 s[18:19], s[18:19], exec
	s_waitcnt lgkmcnt(0)
	v_cmp_ge_u64_e32 vcc, v[2:3], v[0:1]
	s_orn2_b64 s[22:23], vcc, exec
	s_branch .LBB2_4866
.LBB2_4871:
	s_or_b64 exec, exec, s[14:15]
	s_and_saveexec_b64 s[14:15], s[16:17]
	s_xor_b64 s[14:15], exec, s[14:15]
	s_cbranch_execz .LBB2_4873
; %bb.4872:
	v_mov_b32_e32 v0, 1
	ds_write_b32 v0, v0
	s_trap 2
.LBB2_4873:
	s_or_b64 exec, exec, s[12:13]
	;;#ASMSTART
	s_wakeup
	;;#ASMEND
.LBB2_4874:
	s_or_b64 exec, exec, s[10:11]
.LBB2_4875:
	s_andn2_saveexec_b64 s[6:7], s[6:7]
	s_cbranch_execz .LBB2_4877
; %bb.4876:
	s_waitcnt lgkmcnt(0)
	buffer_wbinvl1_vol
	s_barrier
.LBB2_4877:
	s_or_b64 exec, exec, s[4:5]
.LBB2_4878:
	s_andn2_saveexec_b64 s[26:27], s[28:29]
	s_cbranch_execz .LBB2_4880
; %bb.4879:
	s_getpc_b64 s[4:5]
	s_add_u32 s4, s4, __PRETTY_FUNCTION__._ZN10PrimitivesI14__hip_fp8_e4m310FuncMinMaxIS0_E12FanSymmetricILi1EELi0E11ProtoSimpleILi1ELi1ELi0ELi1ELi0ELi0EELi0ELb0ELi0ELi0ELi0EEC2EiiPKiS9_PKvPvmhhhP15ncclDevWorkCollP14ncclDevWorkP2pii@rel32@lo+4
	s_addc_u32 s5, s5, __PRETTY_FUNCTION__._ZN10PrimitivesI14__hip_fp8_e4m310FuncMinMaxIS0_E12FanSymmetricILi1EELi0E11ProtoSimpleILi1ELi1ELi0ELi1ELi0ELi0EELi0ELb0ELi0ELi0ELi0EEC2EiiPKiS9_PKvPvmhhhP15ncclDevWorkCollP14ncclDevWorkP2pii@rel32@hi+12
	v_mov_b32_e32 v0, s4
	v_mov_b32_e32 v1, s5
	s_getpc_b64 s[6:7]
	s_add_u32 s6, s6, __assert_fail@rel32@lo+4
	s_addc_u32 s7, s7, __assert_fail@rel32@hi+12
	s_swappc_b64 s[30:31], s[6:7]
	; divergent unreachable
.LBB2_4880:
	s_or_b64 exec, exec, s[26:27]
	buffer_load_dword a39, off, s[0:3], s33 ; 4-byte Folded Reload
	buffer_load_dword a38, off, s[0:3], s33 offset:4 ; 4-byte Folded Reload
	buffer_load_dword a37, off, s[0:3], s33 offset:8 ; 4-byte Folded Reload
	;; [unrolled: 1-line block ×18, first 2 shown]
	s_waitcnt lgkmcnt(0)
	buffer_load_dword v43, off, s[0:3], s33 offset:76 ; 4-byte Folded Reload
	buffer_load_dword v42, off, s[0:3], s33 offset:80 ; 4-byte Folded Reload
	;; [unrolled: 1-line block ×4, first 2 shown]
	v_readlane_b32 s30, v63, 48
	v_readlane_b32 s31, v63, 49
	;; [unrolled: 1-line block ×51, first 2 shown]
	s_or_saveexec_b64 s[6:7], -1
	buffer_load_dword v63, off, s[0:3], s33 offset:92 ; 4-byte Folded Reload
	s_mov_b64 exec, s[6:7]
	s_addk_i32 s32, 0xe400
	s_mov_b32 s33, s4
	s_waitcnt vmcnt(0)
	s_setpc_b64 s[30:31]
.Lfunc_end2:
	.size	_ZN12_GLOBAL__N_17runRingI14__hip_fp8_e4m310FuncMinMaxIS1_E11ProtoSimpleILi1ELi1ELi0ELi1ELi0ELi0EELi0ELi1ELi0EEEviiP15ncclDevWorkColl, .Lfunc_end2-_ZN12_GLOBAL__N_17runRingI14__hip_fp8_e4m310FuncMinMaxIS1_E11ProtoSimpleILi1ELi1ELi0ELi1ELi0ELi0EELi0ELi1ELi0EEEviiP15ncclDevWorkColl
                                        ; -- End function
	.section	.AMDGPU.csdata,"",@progbits
; Function info:
; codeLenInByte = 138472
; NumSgprs: 88
; NumVgprs: 64
; NumAgprs: 40
; TotalNumVgprs: 104
; ScratchSize: 176
; MemoryBound: 1
	.text
	.p2align	2                               ; -- Begin function _Z50ncclDevFunc_Reduce_RING_SIMPLE_MinMax_f8e4m3_0_0_1v
	.type	_Z50ncclDevFunc_Reduce_RING_SIMPLE_MinMax_f8e4m3_0_0_1v,@function
_Z50ncclDevFunc_Reduce_RING_SIMPLE_MinMax_f8e4m3_0_0_1v: ; @_Z50ncclDevFunc_Reduce_RING_SIMPLE_MinMax_f8e4m3_0_0_1v
; %bb.0:
	s_waitcnt vmcnt(0) expcnt(0) lgkmcnt(0)
	s_mov_b32 s4, s33
	s_mov_b32 s33, s32
	s_or_saveexec_b64 s[6:7], -1
	buffer_store_dword v43, off, s[0:3], s33 offset:16 ; 4-byte Folded Spill
	s_mov_b64 exec, s[6:7]
	v_writelane_b32 v43, s4, 60
	s_addk_i32 s32, 0x800
	buffer_store_dword v40, off, s[0:3], s33 offset:12 ; 4-byte Folded Spill
	buffer_store_dword v41, off, s[0:3], s33 offset:8 ; 4-byte Folded Spill
	;; [unrolled: 1-line block ×3, first 2 shown]
	buffer_store_dword v63, off, s[0:3], s33 ; 4-byte Folded Spill
	v_writelane_b32 v43, s34, 0
	v_writelane_b32 v43, s35, 1
	v_writelane_b32 v43, s36, 2
	v_writelane_b32 v43, s37, 3
	v_writelane_b32 v43, s38, 4
	v_writelane_b32 v43, s39, 5
	v_writelane_b32 v43, s40, 6
	v_writelane_b32 v43, s41, 7
	v_writelane_b32 v43, s42, 8
	v_writelane_b32 v43, s43, 9
	v_writelane_b32 v43, s44, 10
	v_writelane_b32 v43, s45, 11
	v_writelane_b32 v43, s46, 12
	v_writelane_b32 v43, s47, 13
	v_writelane_b32 v43, s48, 14
	v_writelane_b32 v43, s49, 15
	v_writelane_b32 v43, s50, 16
	v_writelane_b32 v43, s51, 17
	v_writelane_b32 v43, s52, 18
	v_writelane_b32 v43, s53, 19
	v_writelane_b32 v43, s54, 20
	v_writelane_b32 v43, s55, 21
	v_writelane_b32 v43, s56, 22
	v_writelane_b32 v43, s57, 23
	v_writelane_b32 v43, s58, 24
	v_writelane_b32 v43, s59, 25
	v_writelane_b32 v43, s60, 26
	v_writelane_b32 v43, s61, 27
	v_writelane_b32 v43, s62, 28
	v_writelane_b32 v43, s63, 29
	v_writelane_b32 v43, s64, 30
	v_writelane_b32 v43, s65, 31
	v_writelane_b32 v43, s66, 32
	v_writelane_b32 v43, s67, 33
	v_writelane_b32 v43, s68, 34
	v_writelane_b32 v43, s69, 35
	v_writelane_b32 v43, s70, 36
	v_writelane_b32 v43, s71, 37
	v_writelane_b32 v43, s72, 38
	v_writelane_b32 v43, s73, 39
	v_writelane_b32 v43, s74, 40
	v_writelane_b32 v43, s75, 41
	v_writelane_b32 v43, s76, 42
	v_writelane_b32 v43, s77, 43
	v_writelane_b32 v43, s78, 44
	v_writelane_b32 v43, s79, 45
	v_writelane_b32 v43, s80, 46
	v_writelane_b32 v43, s81, 47
	v_writelane_b32 v43, s82, 48
	v_writelane_b32 v43, s83, 49
	v_writelane_b32 v43, s84, 50
	v_writelane_b32 v43, s85, 51
	v_writelane_b32 v43, s86, 52
	v_writelane_b32 v43, s87, 53
	v_writelane_b32 v43, s88, 54
	v_writelane_b32 v43, s89, 55
	v_writelane_b32 v43, s90, 56
	v_writelane_b32 v43, s91, 57
	v_writelane_b32 v43, s30, 58
	v_writelane_b32 v43, s31, 59
	s_trap 2
	ds_read_b32 v0, v0
	v_mov_b32_e32 v40, v31
	v_and_b32_e32 v41, 0x3ff, v40
	s_mov_b32 s86, s12
	s_mov_b64 s[84:85], s[8:9]
	s_waitcnt lgkmcnt(0)
	v_cmp_lt_i32_e32 vcc, v41, v0
	s_and_saveexec_b64 s[4:5], vcc
	s_cbranch_execz .LBB3_5
; %bb.1:
	s_load_dword s6, s[84:85], 0x0
	v_mov_b32_e32 v1, 0
	s_mov_b32 s10, 0
	v_mov_b32_e32 v4, v41
                                        ; implicit-def: $vgpr2
	s_waitcnt lgkmcnt(0)
	s_cmp_lt_u32 s86, s6
	s_cselect_b32 s6, 12, 18
	s_add_u32 s6, s84, s6
	s_addc_u32 s7, s85, 0
	global_load_ushort v1, v1, s[6:7]
	s_trap 2
	ds_read_b32 v3, v0
	s_mov_b64 s[6:7], 0
	s_waitcnt vmcnt(0) lgkmcnt(0)
	v_mul_lo_u32 v3, v3, v1
	s_branch .LBB3_3
.LBB3_2:                                ;   in Loop: Header=BB3_3 Depth=1
	s_or_b64 exec, exec, s[8:9]
	v_add_u32_e32 v4, v4, v1
	v_cmp_ge_i32_e32 vcc, v4, v0
	s_or_b64 s[6:7], vcc, s[6:7]
	v_add_u32_e32 v2, v2, v3
	s_andn2_b64 exec, exec, s[6:7]
	s_cbranch_execz .LBB3_5
.LBB3_3:                                ; =>This Inner Loop Header: Depth=1
	ds_read_b32 v5, v2
	s_waitcnt lgkmcnt(0)
	v_and_b32_e32 v5, 0x1000000, v5
	v_cmp_ne_u32_e32 vcc, 0, v5
	s_and_saveexec_b64 s[8:9], vcc
	s_cbranch_execz .LBB3_2
; %bb.4:                                ;   in Loop: Header=BB3_3 Depth=1
	ds_read_b64 v[6:7], v2 offset:104
	s_waitcnt lgkmcnt(0)
	flat_load_ubyte v5, v[6:7]
	v_mov_b32_e32 v7, s10
	s_waitcnt vmcnt(0) lgkmcnt(0)
	v_and_b32_e32 v6, 0xffff, v5
	ds_write_b64 v2, v[6:7] offset:104
	s_branch .LBB3_2
.LBB3_5:
	s_or_b64 exec, exec, s[4:5]
	s_waitcnt lgkmcnt(0)
	s_barrier
	s_trap 2
	ds_read_b32 v0, v0
	s_waitcnt lgkmcnt(0)
	v_cmp_gt_i32_e32 vcc, 1, v0
	s_cbranch_vccnz .LBB3_13
; %bb.6:
	s_mov_b32 s87, 0
	s_mov_b64 s[88:89], src_shared_base
	v_mov_b32_e32 v42, 6
	s_branch .LBB3_8
.LBB3_7:                                ;   in Loop: Header=BB3_8 Depth=1
	s_or_b64 exec, exec, s[90:91]
	s_trap 2
	ds_read_b32 v0, v0
	s_add_i32 s87, s87, 1
	s_waitcnt lgkmcnt(0)
	v_cmp_lt_i32_e32 vcc, s87, v0
	s_cbranch_vccz .LBB3_13
.LBB3_8:                                ; =>This Inner Loop Header: Depth=1
	s_trap 2
	ds_read_b32 v0, v0
	s_cmp_eq_u32 s87, 0
	s_cbranch_scc1 .LBB3_11
; %bb.9:                                ;   in Loop: Header=BB3_8 Depth=1
	s_trap 2
	s_waitcnt lgkmcnt(0)
	ds_read_b32 v1, v0
	s_waitcnt lgkmcnt(0)
	v_xor_b32_e32 v1, v1, v0
	v_and_b32_e32 v1, 0xff0000, v1
	v_cmp_eq_u32_e32 vcc, 0, v1
	s_cbranch_vccnz .LBB3_11
; %bb.10:                               ;   in Loop: Header=BB3_8 Depth=1
	s_barrier
	ds_read_b32 v0, v0
.LBB3_11:                               ;   in Loop: Header=BB3_8 Depth=1
	s_waitcnt lgkmcnt(0)
	v_lshlrev_b32_sdwa v1, v42, v0 dst_sel:DWORD dst_unused:UNUSED_PAD src0_sel:DWORD src1_sel:BYTE_2
	v_cmp_lt_u32_e32 vcc, v41, v1
	s_and_saveexec_b64 s[90:91], vcc
	s_cbranch_execz .LBB3_7
; %bb.12:                               ;   in Loop: Header=BB3_8 Depth=1
	s_mov_b64 s[8:9], s[84:85]
	s_mov_b32 s12, s86
	v_mov_b32_e32 v31, v40
	v_mov_b32_e32 v0, v41
	;; [unrolled: 1-line block ×3, first 2 shown]
	s_getpc_b64 s[4:5]
	s_add_u32 s4, s4, _ZN12_GLOBAL__N_17runRingI14__hip_fp8_e4m310FuncMinMaxIS1_E11ProtoSimpleILi1ELi1ELi0ELi1ELi0ELi0EELi0ELi1ELi0EEEviiP15ncclDevWorkColl@rel32@lo+4
	s_addc_u32 s5, s5, _ZN12_GLOBAL__N_17runRingI14__hip_fp8_e4m310FuncMinMaxIS1_E11ProtoSimpleILi1ELi1ELi0ELi1ELi0ELi0EELi0ELi1ELi0EEEviiP15ncclDevWorkColl@rel32@hi+12
	s_swappc_b64 s[30:31], s[4:5]
	s_branch .LBB3_7
.LBB3_13:
	buffer_load_dword v63, off, s[0:3], s33 ; 4-byte Folded Reload
	buffer_load_dword v42, off, s[0:3], s33 offset:4 ; 4-byte Folded Reload
	buffer_load_dword v41, off, s[0:3], s33 offset:8 ; 4-byte Folded Reload
	;; [unrolled: 1-line block ×3, first 2 shown]
	v_readlane_b32 s30, v43, 58
	v_readlane_b32 s31, v43, 59
	;; [unrolled: 1-line block ×61, first 2 shown]
	s_or_saveexec_b64 s[6:7], -1
	buffer_load_dword v43, off, s[0:3], s33 offset:16 ; 4-byte Folded Reload
	s_mov_b64 exec, s[6:7]
	s_addk_i32 s32, 0xf800
	s_mov_b32 s33, s4
	s_waitcnt vmcnt(0)
	s_setpc_b64 s[30:31]
.Lfunc_end3:
	.size	_Z50ncclDevFunc_Reduce_RING_SIMPLE_MinMax_f8e4m3_0_0_1v, .Lfunc_end3-_Z50ncclDevFunc_Reduce_RING_SIMPLE_MinMax_f8e4m3_0_0_1v
                                        ; -- End function
	.section	.AMDGPU.csdata,"",@progbits
; Function info:
; codeLenInByte = 1568
; NumSgprs: 96
; NumVgprs: 64
; NumAgprs: 40
; TotalNumVgprs: 104
; ScratchSize: 208
; MemoryBound: 0
	.text
	.p2align	2                               ; -- Begin function _ZN12_GLOBAL__N_17runRingI14__hip_fp8_e4m310FuncMinMaxIS1_E11ProtoSimpleILi1ELi1ELi0ELi2ELi0ELi0EELi0ELi2ELi0EEEviiP15ncclDevWorkColl
	.type	_ZN12_GLOBAL__N_17runRingI14__hip_fp8_e4m310FuncMinMaxIS1_E11ProtoSimpleILi1ELi1ELi0ELi2ELi0ELi0EELi0ELi2ELi0EEEviiP15ncclDevWorkColl,@function
_ZN12_GLOBAL__N_17runRingI14__hip_fp8_e4m310FuncMinMaxIS1_E11ProtoSimpleILi1ELi1ELi0ELi2ELi0ELi0EELi0ELi2ELi0EEEviiP15ncclDevWorkColl: ; @_ZN12_GLOBAL__N_17runRingI14__hip_fp8_e4m310FuncMinMaxIS1_E11ProtoSimpleILi1ELi1ELi0ELi2ELi0ELi0EELi0ELi2ELi0EEEviiP15ncclDevWorkColl
; %bb.0:
	s_waitcnt vmcnt(0) expcnt(0) lgkmcnt(0)
	s_mov_b32 s4, s33
	s_mov_b32 s33, s32
	s_or_saveexec_b64 s[6:7], -1
	buffer_store_dword v63, off, s[0:3], s33 offset:100 ; 4-byte Folded Spill
	s_mov_b64 exec, s[6:7]
	v_writelane_b32 v63, s4, 50
	s_addk_i32 s32, 0x1c00
	buffer_store_dword v40, off, s[0:3], s33 offset:96 ; 4-byte Folded Spill
	buffer_store_dword v41, off, s[0:3], s33 offset:92 ; 4-byte Folded Spill
	;; [unrolled: 1-line block ×24, first 2 shown]
	buffer_store_dword a42, off, s[0:3], s33 ; 4-byte Folded Spill
	v_writelane_b32 v63, s34, 0
	v_writelane_b32 v63, s35, 1
	;; [unrolled: 1-line block ×50, first 2 shown]
	s_trap 2
	ds_read_b64 v[14:15], v0
	ds_read_b32 v6, v0
	v_mov_b32_e32 v46, v1
	v_mov_b32_e32 v58, v0
	flat_load_ushort v17, v[2:3] offset:8
	flat_load_dwordx2 v[8:9], v[2:3]
	s_waitcnt lgkmcnt(0)
	v_ashrrev_i32_e32 v1, 31, v15
	v_mov_b32_e32 v0, v15
	v_lshlrev_b64 v[0:1], 2, v[0:1]
	v_add_co_u32_e32 v0, vcc, v14, v0
	v_addc_co_u32_e32 v1, vcc, v15, v1, vcc
	v_add_co_u32_e32 v0, vcc, -4, v0
	v_addc_co_u32_e32 v1, vcc, -1, v1, vcc
	flat_load_dword v0, v[0:1]
	v_mov_b32_e32 v47, v31
                                        ; implicit-def: $vgpr18_vgpr19
                                        ; implicit-def: $vgpr40_vgpr41
                                        ; implicit-def: $vgpr38_vgpr39
	s_waitcnt vmcnt(0)
	v_mov_b32_e32 v16, v9
	v_cmp_ne_u32_sdwa s[4:5], v8, v6 src0_sel:BYTE_0 src1_sel:DWORD
	s_and_saveexec_b64 s[6:7], s[4:5]
	s_xor_b64 s[4:5], exec, s[6:7]
	s_cbranch_execz .LBB4_6
; %bb.1:
	v_not_b32_sdwa v1, v8 dst_sel:DWORD dst_unused:UNUSED_PAD src0_sel:BYTE_0
	v_cmp_ne_u32_sdwa s[6:7], v8, v6 src0_sel:BYTE_1 src1_sel:DWORD
                                        ; implicit-def: $vgpr18_vgpr19
                                        ; implicit-def: $vgpr40_vgpr41
                                        ; implicit-def: $vgpr38_vgpr39
	s_and_saveexec_b64 s[10:11], s[6:7]
	s_xor_b64 s[6:7], exec, s[10:11]
	s_cbranch_execz .LBB4_3
; %bb.2:
	flat_load_dwordx4 v[8:11], v[2:3] offset:72
	flat_load_dwordx2 v[4:5], v[2:3] offset:96
	v_add_u32_e32 v1, v6, v1
	v_ashrrev_i32_e32 v6, 31, v1
	s_waitcnt vmcnt(0) lgkmcnt(0)
	v_mul_lo_u32 v6, v10, v6
	v_mad_u64_u32 v[38:39], s[10:11], v10, v1, v[8:9]
	v_mul_lo_u32 v1, v11, v1
	v_lshrrev_b64 v[18:19], 12, v[4:5]
	v_add3_u32 v39, v1, v39, v6
	v_pk_mov_b32 v[40:41], v[10:11], v[10:11] op_sel:[0,1]
                                        ; implicit-def: $vgpr8
                                        ; implicit-def: $vgpr1
.LBB4_3:
	s_andn2_saveexec_b64 s[6:7], s[6:7]
	s_cbranch_execz .LBB4_5
; %bb.4:
	flat_load_dwordx4 v[4:7], v[2:3] offset:72
	flat_load_dwordx4 v[40:43], v[2:3] offset:88
	v_add_u32_sdwa v1, v8, v1 dst_sel:DWORD dst_unused:UNUSED_PAD src0_sel:BYTE_1 src1_sel:DWORD
	v_ashrrev_i32_e32 v8, 31, v1
	s_waitcnt vmcnt(0) lgkmcnt(0)
	v_mul_lo_u32 v8, v6, v8
	v_mad_u64_u32 v[38:39], s[10:11], v6, v1, v[4:5]
	v_mul_lo_u32 v1, v7, v1
	v_add3_u32 v39, v1, v39, v8
	v_lshrrev_b32_e32 v18, 1, v43
.LBB4_5:
	s_or_b64 exec, exec, s[6:7]
.LBB4_6:
	s_andn2_saveexec_b64 s[4:5], s[4:5]
	s_cbranch_execz .LBB4_8
; %bb.7:
	flat_load_dwordx2 v[4:5], v[2:3] offset:96
	flat_load_dwordx2 v[40:41], v[2:3] offset:72
	v_pk_mov_b32 v[38:39], 0, 0
	s_waitcnt vmcnt(0) lgkmcnt(0)
	v_lshlrev_b64 v[18:19], 9, v[4:5]
.LBB4_8:
	s_or_b64 exec, exec, s[4:5]
	s_trap 2
	s_waitcnt lgkmcnt(0)
	ds_read_b64 v[4:5], v0
	s_waitcnt lgkmcnt(0)
	v_cmp_ne_u32_e32 vcc, -1, v4
	v_cndmask_b32_e64 v1, 0, 1, vcc
	v_cmp_ne_u32_e32 vcc, -1, v5
	v_addc_co_u32_e64 v6, s[4:5], 0, v1, vcc
	v_lshlrev_b32_e32 v4, 1, v6
	v_cmp_le_i32_e64 s[4:5], v4, v46
	s_and_saveexec_b64 s[6:7], s[4:5]
	s_xor_b64 s[28:29], exec, s[6:7]
	s_cbranch_execnz .LBB4_9
; %bb.5235:
	s_getpc_b64 s[82:83]
.Lpost_getpc1:
	s_add_u32 s82, s82, (.LBB4_5232-.Lpost_getpc1)&4294967295
	s_addc_u32 s83, s83, (.LBB4_5232-.Lpost_getpc1)>>32
	s_setpc_b64 s[82:83]
.LBB4_9:
	flat_load_dwordx4 v[10:13], v[2:3] offset:16
	flat_load_dwordx2 v[20:21], v[2:3] offset:104
	s_trap 2
	s_load_dword s4, s[8:9], 0x0
	v_mov_b32_e32 v2, 0
	v_mov_b32_e32 v62, 4
	s_waitcnt lgkmcnt(0)
	s_cmp_lt_u32 s12, s4
	s_cselect_b32 s4, 12, 18
	s_add_u32 s4, s8, s4
	s_addc_u32 s5, s9, 0
	global_load_ushort v56, v2, s[4:5]
	ds_read_b32 v2, v0
	v_cmp_ge_i32_e64 s[4:5], v58, v1
	s_waitcnt lgkmcnt(0)
	v_readfirstlane_b32 s70, v2
	s_and_saveexec_b64 s[6:7], s[4:5]
	s_cbranch_execz .LBB4_19
; %bb.10:
	v_cmp_le_u32_e64 s[4:5], v6, v58
                                        ; implicit-def: $vgpr62
	s_and_saveexec_b64 s[10:11], s[4:5]
	s_xor_b64 s[4:5], exec, s[10:11]
	s_cbranch_execz .LBB4_16
; %bb.11:
	v_cndmask_b32_e64 v2, 0, 1, vcc
	v_sub_u32_e32 v2, v46, v2
	v_cmp_ge_u32_e32 vcc, v58, v2
                                        ; implicit-def: $sgpr12
	s_and_saveexec_b64 s[10:11], vcc
	s_xor_b64 s[10:11], exec, s[10:11]
; %bb.12:
	s_mov_b32 s12, 16
                                        ; implicit-def: $vgpr6
; %bb.13:
	s_or_saveexec_b64 s[10:11], s[10:11]
	v_mov_b32_e32 v62, s12
	s_xor_b64 exec, exec, s[10:11]
; %bb.14:
	v_sub_u32_e32 v2, v46, v6
	v_cmp_ge_i32_e32 vcc, v58, v2
	v_cndmask_b32_e64 v2, 0, 1, vcc
	v_lshlrev_b32_e32 v62, 5, v2
; %bb.15:
	s_or_b64 exec, exec, s[10:11]
.LBB4_16:
	s_andn2_saveexec_b64 s[4:5], s[4:5]
; %bb.17:
	v_mov_b32_e32 v62, 8
; %bb.18:
	s_or_b64 exec, exec, s[4:5]
.LBB4_19:
	s_or_b64 exec, exec, s[6:7]
	v_and_b32_e32 v2, 36, v62
	v_cmp_ne_u32_e32 vcc, 0, v2
	v_mov_b32_e32 v2, -1
	s_and_saveexec_b64 s[4:5], vcc
	s_cbranch_execz .LBB4_21
; %bb.20:
	s_trap 2
	ds_read_b32 v2, v0
.LBB4_21:
	s_or_b64 exec, exec, s[4:5]
	v_and_b32_e32 v3, 24, v62
	v_cmp_ne_u32_e64 s[4:5], 0, v3
	s_and_saveexec_b64 s[6:7], s[4:5]
	s_cbranch_execz .LBB4_23
; %bb.22:
	s_trap 2
	s_waitcnt lgkmcnt(0)
	ds_read_b32 v2, v0
.LBB4_23:
	s_or_b64 exec, exec, s[6:7]
	v_lshrrev_b64 v[4:5], 31, v[16:17]
	v_pk_mov_b32 v[44:45], 0, 0
	v_and_b32_e32 v15, 3, v4
	s_waitcnt lgkmcnt(0)
	v_ashrrev_i32_e32 v3, 31, v2
	v_pk_mov_b32 v[52:53], v[44:45], v[44:45] op_sel:[0,1]
                                        ; implicit-def: $agpr8_agpr9
                                        ; implicit-def: $agpr16
                                        ; implicit-def: $vgpr36_vgpr37
                                        ; implicit-def: $agpr18_agpr19
                                        ; implicit-def: $vgpr32_vgpr33
	s_and_saveexec_b64 s[4:5], vcc
	s_cbranch_execz .LBB4_33
; %bb.24:
	s_trap 2
	ds_read_b64 v[4:5], v0
	v_lshlrev_b64 v[6:7], 3, v[2:3]
	s_movk_i32 s6, 0xa8
                                        ; implicit-def: $agpr8_agpr9
	s_waitcnt lgkmcnt(0)
	v_add_co_u32_e32 v4, vcc, v4, v6
	v_addc_co_u32_e32 v5, vcc, v5, v7, vcc
	flat_load_dwordx2 v[4:5], v[4:5]
	v_and_b32_e32 v6, 0xffff, v15
	s_waitcnt vmcnt(0) lgkmcnt(0)
	v_mad_u64_u32 v[4:5], s[6:7], v6, s6, v[4:5]
	flat_load_dword v6, v[4:5] offset:640
	v_add_co_u32_e32 v44, vcc, 0x1f8, v4
	v_addc_co_u32_e32 v45, vcc, 0, v5, vcc
	s_waitcnt vmcnt(0) lgkmcnt(0)
	v_cmp_eq_u32_e32 vcc, 1, v6
	s_and_saveexec_b64 s[6:7], vcc
	s_cbranch_execz .LBB4_26
; %bb.25:
	flat_load_dwordx2 v[6:7], v[44:45] offset:144
	v_or_b32_e32 v62, 0x2000, v62
	s_waitcnt vmcnt(0) lgkmcnt(0)
	flat_load_dwordx2 v[4:5], v[6:7]
	s_trap 2
	v_accvgpr_write_b32 a9, v7
	v_accvgpr_write_b32 a8, v6
	s_waitcnt vmcnt(0) lgkmcnt(0)
	ds_write_b64 v0, v[4:5]
	flat_load_dwordx2 v[4:5], v[6:7] offset:8
	s_waitcnt vmcnt(0) lgkmcnt(0)
	ds_write_b64 v0, v[4:5]
	flat_load_dwordx2 v[4:5], v[6:7] offset:16
	s_waitcnt vmcnt(0) lgkmcnt(0)
	ds_write_b64 v0, v[4:5]
.LBB4_26:
	s_or_b64 exec, exec, s[6:7]
	flat_load_dwordx2 v[54:55], v[44:45] offset:104
	v_and_b32_e32 v4, 32, v62
	v_cmp_ne_u32_e32 vcc, 0, v4
                                        ; implicit-def: $vgpr32_vgpr33
	s_and_saveexec_b64 s[6:7], vcc
	s_cbranch_execz .LBB4_28
; %bb.27:
	flat_load_dwordx2 v[32:33], v[44:45] offset:56
	s_waitcnt vmcnt(0) lgkmcnt(0)
	flat_store_dwordx2 v[32:33], v[54:55]
.LBB4_28:
	s_or_b64 exec, exec, s[6:7]
	v_and_b32_e32 v4, 4, v62
	v_cmp_ne_u32_e32 vcc, 0, v4
	v_pk_mov_b32 v[52:53], 0, 0
                                        ; implicit-def: $agpr16
                                        ; implicit-def: $vgpr36_vgpr37
                                        ; implicit-def: $agpr18_agpr19
	s_and_saveexec_b64 s[6:7], vcc
	s_cbranch_execz .LBB4_32
; %bb.29:
	v_and_b32_e32 v4, 0x800, v62
	v_cmp_eq_u32_e32 vcc, 0, v4
	s_and_saveexec_b64 s[10:11], vcc
	s_cbranch_execz .LBB4_31
; %bb.30:
	s_trap 2
	ds_write_b64 v0, v[44:45]
.LBB4_31:
	s_or_b64 exec, exec, s[10:11]
	flat_load_dwordx2 v[32:33], v[44:45] offset:48
	v_or_b32_e32 v4, 0x100, v62
	s_waitcnt vmcnt(0) lgkmcnt(0)
	flat_load_dwordx2 v[36:37], v[32:33] glc
	flat_load_dwordx2 v[52:53], v[44:45] offset:96
	flat_load_dword a16, v[44:45] offset:72
	flat_load_dwordx2 a[18:19], v[44:45] offset:16
	s_waitcnt vmcnt(0) lgkmcnt(0)
	v_cmp_eq_u64_e32 vcc, 0, v[52:53]
	v_cndmask_b32_e32 v62, v4, v62, vcc
.LBB4_32:
	s_or_b64 exec, exec, s[6:7]
.LBB4_33:
	s_or_b64 exec, exec, s[4:5]
	v_and_b32_e32 v4, 24, v62
	v_cmp_ne_u32_e32 vcc, 0, v4
                                        ; implicit-def: $vgpr60_vgpr61
	s_and_saveexec_b64 s[4:5], vcc
	s_cbranch_execz .LBB4_41
; %bb.34:
	s_trap 2
	ds_read_b64 v[4:5], v0
	v_lshlrev_b64 v[2:3], 3, v[2:3]
	s_movk_i32 s6, 0xa8
                                        ; implicit-def: $vgpr60_vgpr61
	s_waitcnt lgkmcnt(0)
	v_add_co_u32_e32 v2, vcc, v4, v2
	v_addc_co_u32_e32 v3, vcc, v5, v3, vcc
	flat_load_dwordx2 v[2:3], v[2:3]
	v_and_b32_e32 v4, 0xffff, v15
	s_waitcnt vmcnt(0) lgkmcnt(0)
	v_mad_u64_u32 v[44:45], s[6:7], v4, s6, v[2:3]
	flat_load_dwordx4 v[52:55], v[44:45] offset:96
	v_or_b32_e32 v2, 0x100, v62
	s_waitcnt vmcnt(0) lgkmcnt(0)
	v_cmp_eq_u64_e32 vcc, 0, v[52:53]
	v_cndmask_b32_e32 v62, v2, v62, vcc
	v_and_b32_e32 v2, 16, v62
	v_cmp_ne_u32_e32 vcc, 0, v2
	s_and_saveexec_b64 s[6:7], vcc
	s_cbranch_execz .LBB4_36
; %bb.35:
	flat_load_dwordx2 v[60:61], v[44:45] offset:120
	flat_load_dwordx2 v[32:33], v[44:45] offset:48
	;; [unrolled: 1-line block ×3, first 2 shown]
.LBB4_36:
	s_or_b64 exec, exec, s[6:7]
	v_and_b32_e32 v2, 8, v62
	v_cmp_ne_u32_e32 vcc, 0, v2
	s_and_saveexec_b64 s[6:7], vcc
	s_cbranch_execz .LBB4_40
; %bb.37:
	v_and_b32_e32 v2, 0x800, v62
	v_cmp_eq_u32_e32 vcc, 0, v2
	s_and_saveexec_b64 s[10:11], vcc
	s_cbranch_execz .LBB4_39
; %bb.38:
	s_trap 2
	ds_write_b64 v0, v[44:45]
.LBB4_39:
	s_or_b64 exec, exec, s[10:11]
	s_waitcnt vmcnt(0) lgkmcnt(0)
	flat_load_dwordx2 v[32:33], v[44:45] offset:56
	s_waitcnt vmcnt(0) lgkmcnt(0)
	flat_load_dwordx2 v[36:37], v[32:33] glc
	flat_load_dword a16, v[44:45] offset:72
	flat_load_dwordx2 a[18:19], v[44:45] offset:16
.LBB4_40:
	s_or_b64 exec, exec, s[6:7]
.LBB4_41:
	s_or_b64 exec, exec, s[4:5]
	v_cmp_eq_u32_e64 s[4:5], 0, v58
	s_and_saveexec_b64 s[6:7], s[4:5]
	s_cbranch_execz .LBB4_43
; %bb.42:
	s_waitcnt vmcnt(0)
	v_mov_b32_e32 v2, v12
	v_mov_b32_e32 v3, v13
	;; [unrolled: 1-line block ×4, first 2 shown]
	ds_write2_b64 v0, v[2:3], v[4:5] offset1:1
	v_mov_b32_e32 v2, 0
	v_mov_b32_e32 v3, v2
	s_trap 2
	ds_write_b64 v0, v[2:3]
	ds_write_b64 v0, v[20:21]
.LBB4_43:
	s_or_b64 exec, exec, s[6:7]
	v_bfe_u32 v2, v16, 1, 30
	s_waitcnt vmcnt(0)
	v_and_b32_e32 v20, 0x3ffffe00, v18
	v_mov_b32_e32 v21, 0
	v_cmp_ne_u32_e32 vcc, v0, v2
                                        ; implicit-def: $vgpr16_vgpr17
	s_and_saveexec_b64 s[6:7], vcc
	s_xor_b64 s[30:31], exec, s[6:7]
	s_cbranch_execnz .LBB4_44
; %bb.5237:
	s_getpc_b64 s[82:83]
.Lpost_getpc2:
	s_add_u32 s82, s82, (.LBB4_5023-.Lpost_getpc2)&4294967295
	s_addc_u32 s83, s83, (.LBB4_5023-.Lpost_getpc2)>>32
	s_setpc_b64 s[82:83]
.LBB4_44:
	v_cmp_ne_u32_e32 vcc, v14, v2
	v_cmp_ne_u64_e64 s[6:7], 0, v[40:41]
                                        ; implicit-def: $vgpr16_vgpr17
	s_and_saveexec_b64 s[10:11], vcc
	s_xor_b64 s[34:35], exec, s[10:11]
	s_cbranch_execz .LBB4_2537
; %bb.45:
	v_pk_mov_b32 v[16:17], 0, 0
	s_and_saveexec_b64 s[36:37], s[6:7]
	s_cbranch_execz .LBB4_2536
; %bb.46:
	s_waitcnt lgkmcnt(0)
	v_accvgpr_read_b32 v0, a16
	v_ashrrev_i32_e32 v3, 31, v0
	v_and_b32_e32 v0, 63, v47
	v_cmp_eq_u32_e64 s[14:15], 0, v0
	v_ashrrev_i32_e32 v0, 31, v58
	v_lshrrev_b32_e32 v0, 26, v0
	v_accvgpr_write_b32 a6, v38
	v_add_u32_e32 v0, v58, v0
	v_accvgpr_write_b32 a7, v39
	v_and_b32_e32 v2, 0xffffffc0, v0
	v_ashrrev_i32_e32 v39, 6, v0
	v_sub_u32_e32 v2, v58, v2
	v_lshlrev_b32_e32 v0, 11, v39
	v_lshl_add_u32 v0, v2, 4, v0
	v_lshrrev_b32_e32 v42, 6, v46
	v_cmp_le_i32_e64 s[16:17], v2, v1
	v_cmp_lt_i32_e64 s[18:19], v2, v1
	v_accvgpr_write_b32 a28, v0
	v_ashrrev_i32_e32 v1, 31, v0
	v_mov_b32_e32 v0, 0xfffff800
	v_lshl_add_u32 v0, v42, 11, v0
	s_movk_i32 s20, 0x800
	v_accvgpr_write_b32 a29, v1
	v_ashrrev_i32_e32 v1, 31, v0
	v_add_co_u32_e64 v38, s[20:21], s20, v0
	v_addc_co_u32_e64 v0, s[20:21], 0, v1, s[20:21]
	v_lshlrev_b32_e32 v43, 10, v42
	v_accvgpr_write_b32 a31, v0
	v_add_u32_e32 v0, 0xfffffc00, v43
	s_movk_i32 s20, 0x400
	v_accvgpr_write_b32 a12, v52
	v_ashrrev_i32_e32 v1, 31, v0
	v_add_co_u32_e64 v59, s[20:21], s20, v0
	v_accvgpr_write_b32 a13, v53
	v_accvgpr_write_b32 a14, v54
	v_accvgpr_write_b32 a15, v55
	v_addc_co_u32_e64 v52, s[20:21], 0, v1, s[20:21]
	v_mov_b32_e32 v0, 0xfffffe00
	s_ashr_i32 s10, s70, 31
	v_lshl_add_u32 v0, v42, 9, v0
	s_movk_i32 s20, 0x200
	v_accvgpr_write_b32 a10, v44
	s_lshr_b32 s10, s10, 24
	v_ashrrev_i32_e32 v1, 31, v0
	v_add_co_u32_e64 v53, s[20:21], s20, v0
	v_and_b32_e32 v0, 0xffffffc0, v46
	v_accvgpr_write_b32 a11, v45
	s_add_i32 s10, s70, s10
	v_cmp_eq_u32_e32 vcc, 64, v46
	v_addc_co_u32_e64 v57, s[20:21], 0, v1, s[20:21]
	v_ashrrev_i32_e32 v1, 31, v0
	v_pk_mov_b32 v[44:45], 0, 0
	s_mov_b32 s48, -1
	s_ashr_i32 s71, s10, 8
	v_cmp_ge_i32_e64 s[10:11], v58, v46
	v_accvgpr_write_b32 a3, v3
	v_cmp_ne_u32_e64 s[12:13], 64, v46
	v_cmp_ne_u32_sdwa s[38:39], v56, v46 src0_sel:WORD_0 src1_sel:DWORD
	v_mov_b32_e32 v55, 0
	s_movk_i32 s72, 0xffc0
	v_accvgpr_write_b32 a17, v2
	v_accvgpr_write_b32 a38, v0
	;; [unrolled: 1-line block ×3, first 2 shown]
	s_mov_b64 s[40:41], 0
	v_cmp_eq_u64_e64 s[20:21], 0, v[60:61]
	s_movk_i32 s73, 0x270e
	s_movk_i32 s74, 0x108
	v_mov_b32_e32 v18, 1
	s_xor_b64 s[42:43], vcc, -1
	s_movk_i32 s75, 0x80
	s_movk_i32 s76, 0x7f
	s_brev_b32 s77, 1
	s_mov_b64 s[44:45], 0x7f800000
	s_mov_b64 s[46:47], 0x43e00001
	s_movk_i32 s78, 0x7a
	s_mov_b32 s49, 0xffffff
	s_mov_b64 s[50:51], 0xffffff
	s_mov_b32 s79, 0xc0c0500
	v_bfrev_b32_e32 v0, 60
	v_pk_mov_b32 v[16:17], v[44:45], v[44:45] op_sel:[0,1]
	v_accvgpr_write_b32 a30, v38
	s_trap 2
	s_branch .LBB4_49
.LBB4_47:                               ;   in Loop: Header=BB4_49 Depth=1
	s_or_b64 exec, exec, s[22:23]
.LBB4_48:                               ;   in Loop: Header=BB4_49 Depth=1
	s_or_b64 exec, exec, s[24:25]
	v_add_co_u32_e32 v44, vcc, v44, v20
	v_addc_co_u32_e32 v45, vcc, 0, v45, vcc
	v_cmp_ge_u64_e32 vcc, v[44:45], v[40:41]
	s_or_b64 s[40:41], vcc, s[40:41]
	s_andn2_b64 exec, exec, s[40:41]
	s_cbranch_execz .LBB4_2535
.LBB4_49:                               ; =>This Loop Header: Depth=1
                                        ;     Child Loop BB4_58 Depth 2
                                        ;     Child Loop BB4_84 Depth 2
                                        ;     Child Loop BB4_103 Depth 2
                                        ;     Child Loop BB4_124 Depth 2
                                        ;     Child Loop BB4_1409 Depth 2
                                        ;     Child Loop BB4_2057 Depth 2
                                        ;     Child Loop BB4_2414 Depth 2
                                        ;     Child Loop BB4_2467 Depth 2
                                        ;     Child Loop BB4_2492 Depth 2
                                        ;     Child Loop BB4_2518 Depth 2
	v_sub_co_u32_e32 v2, vcc, v40, v44
	v_subb_co_u32_e32 v3, vcc, v41, v45, vcc
	v_cmp_lt_u64_e32 vcc, v[20:21], v[2:3]
	v_cndmask_b32_e64 v3, v3, 0, vcc
	v_cndmask_b32_e32 v2, v2, v20, vcc
	v_add_u32_e32 v1, 15, v2
	v_cmp_eq_u64_e32 vcc, 0, v[2:3]
	v_and_b32_e32 v1, 0x7ffffff0, v1
	s_or_b64 s[52:53], s[10:11], vcc
	v_max_i32_e32 v8, s71, v1
	v_accvgpr_write_b32 a40, v2
	s_xor_b64 s[22:23], s[52:53], -1
	v_mov_b32_e32 v1, v55
	s_and_saveexec_b64 s[54:55], s[22:23]
	s_cbranch_execz .LBB4_2485
; %bb.50:                               ;   in Loop: Header=BB4_49 Depth=1
	s_and_saveexec_b64 s[22:23], s[4:5]
	s_cbranch_execz .LBB4_52
; %bb.51:                               ;   in Loop: Header=BB4_49 Depth=1
	s_trap 2
	ds_read_b64 v[2:3], v0
	v_accvgpr_read_b32 v4, a6
	v_accvgpr_read_b32 v5, a7
	v_mov_b32_e32 v54, v55
	ds_write_b64 v0, v[54:55]
	s_waitcnt lgkmcnt(0)
	v_add_co_u32_e32 v1, vcc, v2, v4
	v_addc_co_u32_e32 v3, vcc, v3, v5, vcc
	v_add_co_u32_e32 v2, vcc, v1, v44
	v_addc_co_u32_e32 v3, vcc, v3, v45, vcc
	ds_write_b64 v0, v[2:3]
.LBB4_52:                               ;   in Loop: Header=BB4_49 Depth=1
	s_or_b64 exec, exec, s[22:23]
	v_and_b32_e32 v1, 12, v62
	v_cmp_ne_u32_e32 vcc, 0, v1
	s_mov_b64 s[24:25], -1
	s_and_saveexec_b64 s[22:23], vcc
	s_cbranch_execz .LBB4_64
; %bb.53:                               ;   in Loop: Header=BB4_49 Depth=1
	v_and_b32_e32 v2, 8, v62
	v_mov_b32_e32 v12, v8
	v_add_co_u32_e32 v4, vcc, v36, v2
	v_accvgpr_read_b32 v6, a12
	v_addc_co_u32_e32 v5, vcc, 0, v37, vcc
	v_accvgpr_read_b32 v8, a14
	v_accvgpr_read_b32 v9, a15
	v_add_co_u32_e32 v10, vcc, 1, v8
	v_addc_co_u32_e32 v11, vcc, 0, v9, vcc
	v_cmp_lt_u64_e32 vcc, v[4:5], v[10:11]
	v_mov_b32_e32 v1, 1
	v_accvgpr_read_b32 v7, a13
	s_and_saveexec_b64 s[24:25], vcc
	s_cbranch_execz .LBB4_63
; %bb.54:                               ;   in Loop: Header=BB4_49 Depth=1
	s_mov_b64 s[26:27], 0
	v_mov_b32_e32 v1, 0
                                        ; implicit-def: $sgpr56_sgpr57
	s_branch .LBB4_58
.LBB4_55:                               ;   in Loop: Header=BB4_58 Depth=2
	s_or_b64 exec, exec, s[64:65]
	v_mov_b32_e32 v3, 0
	s_orn2_b64 s[62:63], s[62:63], exec
.LBB4_56:                               ;   in Loop: Header=BB4_58 Depth=2
	s_or_b64 exec, exec, s[60:61]
	s_andn2_b64 vcc, s[56:57], exec
	s_and_b64 s[56:57], s[62:63], exec
	s_or_b64 s[56:57], vcc, s[56:57]
	v_mov_b32_e32 v1, v3
.LBB4_57:                               ;   in Loop: Header=BB4_58 Depth=2
	s_or_b64 exec, exec, s[58:59]
	s_waitcnt vmcnt(0) lgkmcnt(0)
	v_add_co_u32_e32 v4, vcc, v36, v2
	v_addc_co_u32_e32 v5, vcc, 0, v37, vcc
	v_cmp_ge_u64_e32 vcc, v[4:5], v[10:11]
	s_xor_b64 s[58:59], s[56:57], -1
	s_or_b64 vcc, s[58:59], vcc
	s_and_b64 vcc, exec, vcc
	s_or_b64 s[26:27], vcc, s[26:27]
	s_andn2_b64 exec, exec, s[26:27]
	s_cbranch_execz .LBB4_62
.LBB4_58:                               ;   Parent Loop BB4_49 Depth=1
                                        ; =>  This Inner Loop Header: Depth=2
	s_sleep 1
	flat_load_dwordx2 v[36:37], v[32:33] glc
	v_and_b32_e32 v3, 64, v62
	v_cmp_eq_u32_e32 vcc, 0, v3
	s_andn2_b64 s[56:57], s[56:57], exec
	s_and_saveexec_b64 s[58:59], vcc
	s_cbranch_execz .LBB4_57
; %bb.59:                               ;   in Loop: Header=BB4_58 Depth=2
	v_add_u32_e32 v3, 1, v1
	v_cmp_lt_i32_e32 vcc, s73, v1
	s_mov_b64 s[62:63], -1
	s_and_saveexec_b64 s[60:61], vcc
	s_cbranch_execz .LBB4_56
; %bb.60:                               ;   in Loop: Header=BB4_58 Depth=2
	s_trap 2
	ds_read_b64 v[4:5], v0
	s_waitcnt vmcnt(0) lgkmcnt(0)
	flat_load_dword v1, v[4:5] glc
	s_waitcnt vmcnt(0) lgkmcnt(0)
	buffer_invl2
	buffer_wbinvl1_vol
	v_cmp_ne_u32_e32 vcc, 0, v1
	s_and_saveexec_b64 s[64:65], vcc
	s_cbranch_execz .LBB4_55
; %bb.61:                               ;   in Loop: Header=BB4_58 Depth=2
	v_or_b32_e32 v62, 64, v62
	s_xor_b64 s[62:63], exec, -1
	ds_write_b32 v0, v1
	s_trap 2
	s_branch .LBB4_55
.LBB4_62:                               ;   in Loop: Header=BB4_49 Depth=1
	s_or_b64 exec, exec, s[26:27]
	v_and_b32_e32 v1, 12, v62
.LBB4_63:                               ;   in Loop: Header=BB4_49 Depth=1
	s_or_b64 exec, exec, s[24:25]
	v_cmp_eq_u32_e32 vcc, 0, v1
	s_orn2_b64 s[24:25], vcc, exec
	v_mov_b32_e32 v8, v12
	;;#ASMSTART
	s_wakeup
	;;#ASMEND
.LBB4_64:                               ;   in Loop: Header=BB4_49 Depth=1
	s_or_b64 exec, exec, s[22:23]
	v_accvgpr_read_b32 v2, a40
	s_xor_b64 s[22:23], s[24:25], -1
	v_min_u32_e32 v8, v8, v2
	s_and_saveexec_b64 s[24:25], s[22:23]
	s_cbranch_execz .LBB4_76
; %bb.65:                               ;   in Loop: Header=BB4_49 Depth=1
	v_accvgpr_read_b32 v2, a12
	v_and_b32_e32 v1, 0x108, v62
	v_accvgpr_read_b32 v4, a14
	v_cmp_ne_u32_e32 vcc, s74, v1
	v_and_b32_e32 v2, 7, v4
	v_accvgpr_read_b32 v3, a13
	v_accvgpr_read_b32 v5, a15
	s_and_saveexec_b64 s[22:23], vcc
	s_xor_b64 s[22:23], exec, s[22:23]
	s_andn2_saveexec_b64 s[22:23], s[22:23]
	s_cbranch_execz .LBB4_67
; %bb.66:                               ;   in Loop: Header=BB4_49 Depth=1
	v_accvgpr_read_b32 v4, a12
	v_accvgpr_read_b32 v5, a13
	v_mad_u64_u32 v[4:5], s[26:27], v2, 24, v[4:5]
	v_mov_b32_e32 v9, v55
	v_accvgpr_read_b32 v6, a14
	v_accvgpr_read_b32 v7, a15
	flat_store_dwordx2 v[4:5], v[8:9] offset:8
.LBB4_67:                               ;   in Loop: Header=BB4_49 Depth=1
	s_or_b64 exec, exec, s[22:23]
	v_and_b32_e32 v1, 0x100, v62
	v_cmp_ne_u32_e32 vcc, 0, v1
	s_mov_b64 s[22:23], -1
                                        ; implicit-def: $vgpr10_vgpr11
	s_and_saveexec_b64 s[26:27], vcc
	s_cbranch_execz .LBB4_71
; %bb.68:                               ;   in Loop: Header=BB4_49 Depth=1
	v_accvgpr_read_b32 v4, a12
	v_accvgpr_read_b32 v5, a13
	v_mad_u64_u32 v[12:13], s[22:23], v2, 24, v[4:5]
	v_mov_b32_e32 v4, v13
	v_mad_u64_u32 v[4:5], s[22:23], v55, 24, v[4:5]
	v_mov_b32_e32 v13, v4
	flat_load_dword v1, v[12:13]
	v_accvgpr_read_b32 v6, a14
	v_accvgpr_read_b32 v7, a15
                                        ; implicit-def: $vgpr10_vgpr11
	s_waitcnt vmcnt(0) lgkmcnt(0)
	v_cmp_ne_u32_e32 vcc, 1, v1
	v_cmp_eq_u32_e64 s[22:23], 1, v1
	s_and_saveexec_b64 s[56:57], s[22:23]
	s_cbranch_execz .LBB4_70
; %bb.69:                               ;   in Loop: Header=BB4_49 Depth=1
	flat_load_dword v10, v[12:13] offset:4 glc
	s_waitcnt vmcnt(0) lgkmcnt(0)
	v_ashrrev_i32_e32 v11, 31, v10
.LBB4_70:                               ;   in Loop: Header=BB4_49 Depth=1
	s_or_b64 exec, exec, s[56:57]
	s_orn2_b64 s[22:23], vcc, exec
.LBB4_71:                               ;   in Loop: Header=BB4_49 Depth=1
	s_or_b64 exec, exec, s[26:27]
	s_and_saveexec_b64 s[26:27], s[22:23]
; %bb.72:                               ;   in Loop: Header=BB4_49 Depth=1
	v_accvgpr_read_b32 v4, a16
	v_accvgpr_read_b32 v3, a3
	v_mul_lo_u32 v1, v55, v4
	v_mul_lo_u32 v3, v2, v3
	v_mad_u64_u32 v[10:11], s[22:23], v2, v4, 0
	v_add3_u32 v11, v11, v3, v1
; %bb.73:                               ;   in Loop: Header=BB4_49 Depth=1
	s_or_b64 exec, exec, s[26:27]
	v_accvgpr_read_b32 v2, a18
	v_accvgpr_read_b32 v3, a19
	v_add_co_u32_e32 v2, vcc, v2, v10
	v_addc_co_u32_e32 v3, vcc, v3, v11, vcc
	v_and_b32_e32 v1, 0x2000, v62
	v_cmp_ne_u32_e32 vcc, 0, v1
	s_trap 2
	ds_write_b64 v0, v[2:3]
	s_and_saveexec_b64 s[22:23], vcc
	s_cbranch_execz .LBB4_75
; %bb.74:                               ;   in Loop: Header=BB4_49 Depth=1
	ds_read_b64 v[2:3], v0 offset:584
	s_waitcnt lgkmcnt(0)
	v_add_co_u32_e32 v2, vcc, 1, v2
	v_addc_co_u32_e32 v3, vcc, 0, v3, vcc
	ds_write_b64 v0, v[2:3] offset:584
.LBB4_75:                               ;   in Loop: Header=BB4_49 Depth=1
	s_or_b64 exec, exec, s[22:23]
	v_accvgpr_read_b32 v2, a12
	v_accvgpr_read_b32 v4, a14
	;; [unrolled: 1-line block ×3, first 2 shown]
	v_add_co_u32_e32 v4, vcc, 1, v4
	v_addc_co_u32_e32 v5, vcc, 0, v5, vcc
	v_accvgpr_read_b32 v3, a13
	v_accvgpr_write_b32 a15, v5
	v_accvgpr_write_b32 a14, v4
	;; [unrolled: 1-line block ×4, first 2 shown]
.LBB4_76:                               ;   in Loop: Header=BB4_49 Depth=1
	s_or_b64 exec, exec, s[24:25]
	s_and_saveexec_b64 s[22:23], s[12:13]
	s_cbranch_execz .LBB4_95
; %bb.77:                               ;   in Loop: Header=BB4_49 Depth=1
	s_and_saveexec_b64 s[24:25], s[38:39]
	s_xor_b64 s[24:25], exec, s[24:25]
	s_cbranch_execz .LBB4_92
; %bb.78:                               ;   in Loop: Header=BB4_49 Depth=1
	s_and_saveexec_b64 s[26:27], s[14:15]
	s_cbranch_execz .LBB4_91
; %bb.79:                               ;   in Loop: Header=BB4_49 Depth=1
	s_mov_b64 s[58:59], exec
	v_mbcnt_lo_u32_b32 v1, s58, 0
	v_mbcnt_hi_u32_b32 v1, s59, v1
	v_cmp_eq_u32_e32 vcc, 0, v1
	s_waitcnt vmcnt(0) lgkmcnt(0)
	buffer_wbinvl1_vol
	s_and_saveexec_b64 s[56:57], vcc
	s_cbranch_execz .LBB4_81
; %bb.80:                               ;   in Loop: Header=BB4_49 Depth=1
	s_bcnt1_i32_b64 vcc_lo, s[58:59]
	v_mov_b32_e32 v54, vcc_lo
	ds_add_u64 v0, v[54:55]
	s_trap 2
.LBB4_81:                               ;   in Loop: Header=BB4_49 Depth=1
	s_or_b64 exec, exec, s[56:57]
	s_trap 2
	ds_read_b64 v[2:3], v0
	v_add_co_u32_e32 v16, vcc, v16, v42
	v_addc_co_u32_e32 v17, vcc, 0, v17, vcc
	s_waitcnt lgkmcnt(0)
	v_cmp_lt_u64_e32 vcc, v[2:3], v[16:17]
	s_and_saveexec_b64 s[56:57], vcc
	s_cbranch_execz .LBB4_90
; %bb.82:                               ;   in Loop: Header=BB4_49 Depth=1
	s_mov_b32 s68, 0
	s_mov_b64 s[58:59], 0
                                        ; implicit-def: $sgpr60_sgpr61
                                        ; implicit-def: $sgpr62_sgpr63
	s_branch .LBB4_84
.LBB4_83:                               ;   in Loop: Header=BB4_84 Depth=2
	s_or_b64 exec, exec, s[66:67]
	s_and_b64 vcc, exec, vcc
	s_or_b64 s[58:59], vcc, s[58:59]
	s_andn2_b64 vcc, s[60:61], exec
	s_and_b64 s[60:61], s[62:63], exec
	s_or_b64 s[60:61], vcc, s[60:61]
	s_andn2_b64 exec, exec, s[58:59]
	s_cbranch_execz .LBB4_88
.LBB4_84:                               ;   Parent Loop BB4_49 Depth=1
                                        ; =>  This Inner Loop Header: Depth=2
	s_add_i32 s68, s68, 1
	s_cmpk_lg_i32 s68, 0x2710
	s_cselect_b64 s[64:65], -1, 0
	s_and_b64 vcc, exec, s[64:65]
                                        ; implicit-def: $sgpr66_sgpr67
	s_cbranch_vccnz .LBB4_86
; %bb.85:                               ;   in Loop: Header=BB4_84 Depth=2
	s_trap 2
	ds_read_b64 v[2:3], v0
	s_andn2_b64 s[64:65], s[64:65], exec
	s_mov_b32 s68, 0
	s_mov_b64 s[66:67], -1
	s_waitcnt lgkmcnt(0)
	flat_load_dword v1, v[2:3] glc
	s_waitcnt vmcnt(0) lgkmcnt(0)
	buffer_invl2
	buffer_wbinvl1_vol
	v_cmp_eq_u32_e32 vcc, 0, v1
	s_and_b64 vcc, vcc, exec
	s_or_b64 s[64:65], s[64:65], vcc
.LBB4_86:                               ;   in Loop: Header=BB4_84 Depth=2
	s_andn2_b64 s[62:63], s[62:63], exec
	s_and_b64 s[66:67], s[66:67], exec
	s_mov_b64 vcc, -1
	s_or_b64 s[62:63], s[62:63], s[66:67]
	s_and_saveexec_b64 s[66:67], s[64:65]
	s_cbranch_execz .LBB4_83
; %bb.87:                               ;   in Loop: Header=BB4_84 Depth=2
	s_sleep 1
	s_trap 2
	ds_read_b64 v[2:3], v0
	s_andn2_b64 s[62:63], s[62:63], exec
	s_waitcnt lgkmcnt(0)
	v_cmp_ge_u64_e32 vcc, v[2:3], v[16:17]
	s_orn2_b64 vcc, vcc, exec
	s_branch .LBB4_83
.LBB4_88:                               ;   in Loop: Header=BB4_49 Depth=1
	s_or_b64 exec, exec, s[58:59]
	s_and_saveexec_b64 vcc, s[60:61]
	s_xor_b64 vcc, exec, vcc
	s_cbranch_execz .LBB4_90
; %bb.89:                               ;   in Loop: Header=BB4_49 Depth=1
	ds_write_b32 v0, v18
	s_trap 2
.LBB4_90:                               ;   in Loop: Header=BB4_49 Depth=1
	s_or_b64 exec, exec, s[56:57]
	;;#ASMSTART
	s_wakeup
	;;#ASMEND
.LBB4_91:                               ;   in Loop: Header=BB4_49 Depth=1
	s_or_b64 exec, exec, s[26:27]
.LBB4_92:                               ;   in Loop: Header=BB4_49 Depth=1
	s_andn2_saveexec_b64 s[24:25], s[24:25]
	s_cbranch_execz .LBB4_94
; %bb.93:                               ;   in Loop: Header=BB4_49 Depth=1
	s_waitcnt vmcnt(0) lgkmcnt(0)
	buffer_wbinvl1_vol
	s_barrier
.LBB4_94:                               ;   in Loop: Header=BB4_49 Depth=1
	s_or_b64 exec, exec, s[24:25]
.LBB4_95:                               ;   in Loop: Header=BB4_49 Depth=1
	s_or_b64 exec, exec, s[22:23]
	s_trap 2
	ds_read_b32 v2, v0
	v_and_b32_e32 v1, 0x4000, v62
	v_cmp_ne_u32_e32 vcc, 0, v1
	s_and_b64 s[24:25], s[42:43], vcc
	s_and_saveexec_b64 s[22:23], s[24:25]
	s_cbranch_execz .LBB4_114
; %bb.96:                               ;   in Loop: Header=BB4_49 Depth=1
	s_and_saveexec_b64 s[24:25], s[38:39]
	s_xor_b64 s[24:25], exec, s[24:25]
	s_cbranch_execz .LBB4_111
; %bb.97:                               ;   in Loop: Header=BB4_49 Depth=1
	s_and_saveexec_b64 s[26:27], s[14:15]
	s_cbranch_execz .LBB4_110
; %bb.98:                               ;   in Loop: Header=BB4_49 Depth=1
	s_mov_b64 s[58:59], exec
	v_mbcnt_lo_u32_b32 v1, s58, 0
	v_mbcnt_hi_u32_b32 v1, s59, v1
	v_cmp_eq_u32_e32 vcc, 0, v1
	s_waitcnt vmcnt(0) lgkmcnt(0)
	buffer_wbinvl1_vol
	s_and_saveexec_b64 s[56:57], vcc
	s_cbranch_execz .LBB4_100
; %bb.99:                               ;   in Loop: Header=BB4_49 Depth=1
	s_bcnt1_i32_b64 vcc_lo, s[58:59]
	v_mov_b32_e32 v54, vcc_lo
	ds_add_u64 v0, v[54:55]
	s_trap 2
.LBB4_100:                              ;   in Loop: Header=BB4_49 Depth=1
	s_or_b64 exec, exec, s[56:57]
	s_trap 2
	ds_read_b64 v[4:5], v0
	v_add_co_u32_e32 v16, vcc, v16, v42
	v_addc_co_u32_e32 v17, vcc, 0, v17, vcc
	s_waitcnt lgkmcnt(0)
	v_cmp_lt_u64_e32 vcc, v[4:5], v[16:17]
	s_and_saveexec_b64 s[56:57], vcc
	s_cbranch_execz .LBB4_109
; %bb.101:                              ;   in Loop: Header=BB4_49 Depth=1
	s_mov_b32 s68, 0
	s_mov_b64 s[58:59], 0
                                        ; implicit-def: $sgpr60_sgpr61
                                        ; implicit-def: $sgpr62_sgpr63
	s_branch .LBB4_103
.LBB4_102:                              ;   in Loop: Header=BB4_103 Depth=2
	s_or_b64 exec, exec, s[66:67]
	s_and_b64 vcc, exec, vcc
	s_or_b64 s[58:59], vcc, s[58:59]
	s_andn2_b64 vcc, s[60:61], exec
	s_and_b64 s[60:61], s[62:63], exec
	s_or_b64 s[60:61], vcc, s[60:61]
	s_andn2_b64 exec, exec, s[58:59]
	s_cbranch_execz .LBB4_107
.LBB4_103:                              ;   Parent Loop BB4_49 Depth=1
                                        ; =>  This Inner Loop Header: Depth=2
	s_add_i32 s68, s68, 1
	s_cmpk_lg_i32 s68, 0x2710
	s_cselect_b64 s[64:65], -1, 0
	s_and_b64 vcc, exec, s[64:65]
                                        ; implicit-def: $sgpr66_sgpr67
	s_cbranch_vccnz .LBB4_105
; %bb.104:                              ;   in Loop: Header=BB4_103 Depth=2
	s_trap 2
	ds_read_b64 v[4:5], v0
	s_andn2_b64 s[64:65], s[64:65], exec
	s_mov_b32 s68, 0
	s_mov_b64 s[66:67], -1
	s_waitcnt lgkmcnt(0)
	flat_load_dword v1, v[4:5] glc
	s_waitcnt vmcnt(0) lgkmcnt(0)
	buffer_invl2
	buffer_wbinvl1_vol
	v_cmp_eq_u32_e32 vcc, 0, v1
	s_and_b64 vcc, vcc, exec
	s_or_b64 s[64:65], s[64:65], vcc
.LBB4_105:                              ;   in Loop: Header=BB4_103 Depth=2
	s_andn2_b64 s[62:63], s[62:63], exec
	s_and_b64 s[66:67], s[66:67], exec
	s_mov_b64 vcc, -1
	s_or_b64 s[62:63], s[62:63], s[66:67]
	s_and_saveexec_b64 s[66:67], s[64:65]
	s_cbranch_execz .LBB4_102
; %bb.106:                              ;   in Loop: Header=BB4_103 Depth=2
	s_sleep 1
	s_trap 2
	ds_read_b64 v[4:5], v0
	s_andn2_b64 s[62:63], s[62:63], exec
	s_waitcnt lgkmcnt(0)
	v_cmp_ge_u64_e32 vcc, v[4:5], v[16:17]
	s_orn2_b64 vcc, vcc, exec
	s_branch .LBB4_102
.LBB4_107:                              ;   in Loop: Header=BB4_49 Depth=1
	s_or_b64 exec, exec, s[58:59]
	s_and_saveexec_b64 vcc, s[60:61]
	s_xor_b64 vcc, exec, vcc
	s_cbranch_execz .LBB4_109
; %bb.108:                              ;   in Loop: Header=BB4_49 Depth=1
	ds_write_b32 v0, v18
	s_trap 2
.LBB4_109:                              ;   in Loop: Header=BB4_49 Depth=1
	s_or_b64 exec, exec, s[56:57]
	;;#ASMSTART
	s_wakeup
	;;#ASMEND
.LBB4_110:                              ;   in Loop: Header=BB4_49 Depth=1
	s_or_b64 exec, exec, s[26:27]
.LBB4_111:                              ;   in Loop: Header=BB4_49 Depth=1
	s_andn2_saveexec_b64 s[24:25], s[24:25]
	s_cbranch_execz .LBB4_113
; %bb.112:                              ;   in Loop: Header=BB4_49 Depth=1
	s_waitcnt vmcnt(0) lgkmcnt(0)
	buffer_wbinvl1_vol
	s_barrier
.LBB4_113:                              ;   in Loop: Header=BB4_49 Depth=1
	s_or_b64 exec, exec, s[24:25]
.LBB4_114:                              ;   in Loop: Header=BB4_49 Depth=1
	s_or_b64 exec, exec, s[22:23]
	s_trap 2
	ds_read_b64 v[4:5], v0
	s_waitcnt lgkmcnt(0)
	v_readfirstlane_b32 s22, v4
	v_readfirstlane_b32 s23, v5
	s_cmp_eq_u64 s[22:23], 0
	s_cselect_b64 s[22:23], -1, 0
	s_or_b64 s[24:25], s[22:23], s[22:23]
	s_mov_b64 s[22:23], 0
	s_and_b64 vcc, exec, s[24:25]
	s_cbranch_vccnz .LBB4_2459
; %bb.115:                              ;   in Loop: Header=BB4_49 Depth=1
	s_trap 2
	ds_read_b64 v[4:5], v0
	s_mov_b64 s[24:25], -1
	s_waitcnt lgkmcnt(0)
	v_readfirstlane_b32 s68, v4
	s_and_saveexec_b64 s[22:23], s[16:17]
	s_cbranch_execz .LBB4_117
; %bb.116:                              ;   in Loop: Header=BB4_49 Depth=1
	ds_read_b32 v1, v0 offset:720
	s_waitcnt lgkmcnt(0)
	v_and_b32_e32 v1, 15, v1
	v_cmp_eq_u32_e32 vcc, 0, v1
	s_orn2_b64 s[24:25], vcc, exec
.LBB4_117:                              ;   in Loop: Header=BB4_49 Depth=1
	s_or_b64 exec, exec, s[22:23]
	s_and_saveexec_b64 s[22:23], s[18:19]
	s_cbranch_execz .LBB4_119
; %bb.118:                              ;   in Loop: Header=BB4_49 Depth=1
	ds_read_b32 v1, v0 offset:784
	s_waitcnt lgkmcnt(0)
	v_and_b32_e32 v1, 15, v1
	v_cmp_eq_u32_e32 vcc, 0, v1
	s_and_b64 s[26:27], s[24:25], vcc
	s_andn2_b64 s[24:25], s[24:25], exec
	s_and_b64 s[26:27], s[26:27], exec
	s_or_b64 s[24:25], s[24:25], s[26:27]
.LBB4_119:                              ;   in Loop: Header=BB4_49 Depth=1
	s_or_b64 exec, exec, s[22:23]
	s_xor_b64 s[24:25], s[24:25], -1
	v_accvgpr_write_b32 a21, v17
	v_cmp_eq_u32_e32 vcc, 0, v2
	v_cndmask_b32_e64 v2, 0, 1, s[24:25]
	v_accvgpr_write_b32 a23, v21
	v_accvgpr_write_b32 a20, v16
	v_cndmask_b32_e32 v17, 0, v8, vcc
	;;#ASMSTART
	;;#ASMEND
	v_accvgpr_write_b32 a22, v20
	v_mov_b32_e32 v1, 0
	s_mov_b64 s[22:23], -1
	v_cmp_ne_u32_e32 vcc, 0, v2
	v_accvgpr_write_b32 a39, v17
	v_mov_b32_e32 v18, v58
	v_mov_b32_e32 v2, v39
	v_accvgpr_write_b32 a42, v8
	s_cbranch_vccz .LBB4_121
; %bb.120:                              ;   in Loop: Header=BB4_49 Depth=1
	s_and_saveexec_b64 s[56:57], s[22:23]
	s_cbranch_execnz .LBB4_2054
	s_branch .LBB4_2458
.LBB4_121:                              ;   in Loop: Header=BB4_49 Depth=1
	v_accvgpr_read_b32 v1, a39
	v_lshrrev_b32_e32 v1, 11, v1
	v_accvgpr_write_b32 a36, v57
	v_sub_u32_e32 v57, v1, v39
	v_accvgpr_write_b32 a35, v53
	v_accvgpr_write_b32 a34, v52
	v_cmp_lt_i32_e32 vcc, 0, v57
	s_and_saveexec_b64 s[26:27], vcc
	s_cbranch_execz .LBB4_1405
; %bb.122:                              ;   in Loop: Header=BB4_49 Depth=1
	s_trap 2
	ds_read_b128 v[2:5], v0
	ds_read_b64 v[6:7], v0
	v_accvgpr_read_b32 v8, a28
	v_accvgpr_write_b32 a2, v58
	v_accvgpr_read_b32 v1, a29
	s_waitcnt lgkmcnt(0)
	v_add_co_u32_e32 v58, vcc, v2, v8
	v_accvgpr_write_b32 a33, v59
	v_accvgpr_write_b32 a24, v60
	v_addc_co_u32_e32 v59, vcc, v3, v1, vcc
	v_accvgpr_write_b32 a25, v61
	v_add_co_u32_e32 v60, vcc, v4, v8
	v_accvgpr_write_b32 a4, v40
	v_addc_co_u32_e32 v61, vcc, v5, v1, vcc
	v_accvgpr_write_b32 a5, v41
	v_add_co_u32_e32 v40, vcc, v6, v8
	s_bitcmp1_b32 s68, 0
	v_accvgpr_write_b32 a32, v43
	v_accvgpr_write_b32 a27, v39
	;; [unrolled: 1-line block ×4, first 2 shown]
	v_mov_b32_e32 v39, v46
	v_addc_co_u32_e32 v41, vcc, v7, v1, vcc
	s_mov_b64 s[56:57], 0
	s_cselect_b64 s[58:59], -1, 0
	s_branch .LBB4_124
.LBB4_123:                              ;   in Loop: Header=BB4_124 Depth=2
	s_or_b64 exec, exec, s[22:23]
	v_lshlrev_b32_e32 v3, 8, v30
	v_perm_b32 v3, v3, v50, s79
	v_lshl_or_b32 v3, v31, 16, v3
	v_lshl_or_b32 v5, v23, 24, v3
	v_and_b32_e32 v3, 0xff, v35
	v_lshlrev_b32_e32 v6, 8, v34
	v_lshlrev_b32_e32 v4, 24, v42
	;; [unrolled: 1-line block ×3, first 2 shown]
	v_perm_b32 v6, v6, v47, s79
	v_or3_b32 v4, v4, v3, v6
	v_and_b32_e32 v3, 0xff, v52
	v_lshlrev_b32_e32 v7, 8, v51
	v_lshlrev_b32_e32 v6, 24, v46
	;; [unrolled: 1-line block ×3, first 2 shown]
	v_perm_b32 v7, v7, v28, s79
	v_or3_b32 v6, v6, v3, v7
	v_lshlrev_b32_e32 v3, 8, v22
	v_perm_b32 v3, v3, v56, s79
	v_lshl_or_b32 v3, v53, 16, v3
	v_lshl_or_b32 v7, v21, 24, v3
	v_lshlrev_b32_e32 v3, 8, v19
	v_perm_b32 v3, v3, v43, s79
	v_lshl_or_b32 v3, v20, 16, v3
	v_lshl_or_b32 v9, v15, 24, v3
	v_and_b32_e32 v3, 0xff, v29
	v_lshlrev_b32_e32 v8, 8, v25
	v_lshlrev_b32_e32 v1, 24, v1
	;; [unrolled: 1-line block ×3, first 2 shown]
	v_perm_b32 v8, v8, v24, s79
	v_or3_b32 v8, v1, v3, v8
	v_and_b32_e32 v1, 0xff, v27
	v_lshlrev_b32_e32 v10, 8, v26
	v_lshlrev_b32_e32 v3, 24, v48
	;; [unrolled: 1-line block ×3, first 2 shown]
	v_perm_b32 v10, v10, v18, s79
	v_or3_b32 v10, v3, v1, v10
	v_lshlrev_b32_e32 v1, 8, v11
	v_perm_b32 v1, v1, v49, s79
	v_lshl_or_b32 v1, v14, 16, v1
	v_lshl_or_b32 v11, v2, 24, v1
	v_add_co_u32_e32 v58, vcc, v58, v38
	v_accvgpr_read_b32 v1, a31
	v_addc_co_u32_e32 v59, vcc, v59, v1, vcc
	v_add_co_u32_e32 v60, vcc, v60, v38
	v_accvgpr_read_b32 v42, a26
	v_addc_co_u32_e32 v61, vcc, v61, v1, vcc
	v_sub_u32_e32 v57, v57, v42
	v_cmp_gt_i32_e32 vcc, 1, v57
	global_store_dwordx4 v[40:41], v[4:7], off glc slc
	global_store_dwordx4 v[40:41], v[8:11], off offset:1024 glc slc
	s_or_b64 s[56:57], vcc, s[56:57]
	v_add_co_u32_e32 v40, vcc, v40, v38
	v_addc_co_u32_e32 v41, vcc, v41, v1, vcc
	s_andn2_b64 exec, exec, s[56:57]
	s_cbranch_execz .LBB4_1404
.LBB4_124:                              ;   Parent Loop BB4_49 Depth=1
                                        ; =>  This Inner Loop Header: Depth=2
	global_load_dwordx4 v[22:25], v[58:59], off glc slc
	global_load_dwordx4 v[14:17], v[58:59], off offset:1024 glc slc
	global_load_dwordx4 v[18:21], v[60:61], off glc slc
	global_load_dwordx4 v[10:13], v[60:61], off offset:1024 glc slc
	s_and_b64 vcc, exec, s[58:59]
	s_waitcnt vmcnt(0)
	v_cmp_ne_u16_sdwa s[22:23], v22, v55 src0_sel:BYTE_0 src1_sel:DWORD
	s_cbranch_vccz .LBB4_138
; %bb.125:                              ;   in Loop: Header=BB4_124 Depth=2
	v_mov_b32_e32 v2, 0
	v_mov_b32_e32 v1, 0
	s_and_saveexec_b64 s[24:25], s[22:23]
	s_cbranch_execz .LBB4_131
; %bb.126:                              ;   in Loop: Header=BB4_124 Depth=2
	v_cmp_ne_u16_sdwa vcc, v22, s75 src0_sel:BYTE_0 src1_sel:DWORD
	v_bfrev_b32_e32 v1, 1
	s_and_saveexec_b64 s[60:61], vcc
	s_cbranch_execz .LBB4_130
; %bb.127:                              ;   in Loop: Header=BB4_124 Depth=2
	v_and_b32_e32 v3, 0x7f, v22
	v_cmp_ne_u32_e32 vcc, s76, v3
	v_mov_b32_e32 v1, 0x7f800001
	s_and_saveexec_b64 s[62:63], vcc
	s_cbranch_execz .LBB4_129
; %bb.128:                              ;   in Loop: Header=BB4_124 Depth=2
	v_and_b32_e32 v1, 7, v22
	v_ffbh_u32_e32 v1, v1
	v_min_u32_e32 v1, 32, v1
	v_subrev_u32_e32 v5, 28, v1
	v_cmp_gt_u32_e32 vcc, 8, v3
	v_lshrrev_b32_e32 v4, 3, v3
	v_sub_u32_e32 v1, 29, v1
	v_cndmask_b32_e32 v3, 0, v5, vcc
	v_cndmask_b32_e32 v1, v4, v1, vcc
	v_lshlrev_b64 v[4:5], v3, v[22:23]
	v_lshlrev_b32_e32 v3, 20, v4
	v_lshlrev_b32_e32 v4, 24, v22
	v_and_b32_e32 v3, 0x700000, v3
	v_and_b32_e32 v4, 0x80000000, v4
	v_lshl_add_u32 v1, v1, 23, v0
	v_or3_b32 v1, v4, v1, v3
.LBB4_129:                              ;   in Loop: Header=BB4_124 Depth=2
	s_or_b64 exec, exec, s[62:63]
.LBB4_130:                              ;   in Loop: Header=BB4_124 Depth=2
	s_or_b64 exec, exec, s[60:61]
.LBB4_131:                              ;   in Loop: Header=BB4_124 Depth=2
	s_or_b64 exec, exec, s[24:25]
	v_cmp_ne_u16_sdwa vcc, v18, v55 src0_sel:BYTE_0 src1_sel:DWORD
	s_and_saveexec_b64 s[24:25], vcc
	s_cbranch_execz .LBB4_137
; %bb.132:                              ;   in Loop: Header=BB4_124 Depth=2
	v_cmp_ne_u16_sdwa vcc, v18, s75 src0_sel:BYTE_0 src1_sel:DWORD
	v_bfrev_b32_e32 v2, 1
	s_and_saveexec_b64 s[60:61], vcc
	s_cbranch_execz .LBB4_136
; %bb.133:                              ;   in Loop: Header=BB4_124 Depth=2
	v_and_b32_e32 v3, 0x7f, v18
	v_cmp_ne_u32_e32 vcc, s76, v3
	v_mov_b32_e32 v2, 0x7f800001
	s_and_saveexec_b64 s[62:63], vcc
	s_cbranch_execz .LBB4_135
; %bb.134:                              ;   in Loop: Header=BB4_124 Depth=2
	v_and_b32_e32 v2, 7, v18
	v_ffbh_u32_e32 v2, v2
	v_min_u32_e32 v2, 32, v2
	v_lshrrev_b32_e32 v4, 3, v3
	v_subrev_u32_e32 v5, 28, v2
	v_sub_u32_e32 v2, 29, v2
	v_cmp_gt_u32_e32 vcc, 8, v3
	v_cndmask_b32_e32 v4, v4, v2, vcc
	v_cndmask_b32_e32 v2, 0, v5, vcc
	v_lshlrev_b64 v[2:3], v2, v[18:19]
	v_lshlrev_b32_e32 v2, 20, v2
	v_lshlrev_b32_e32 v3, 24, v18
	v_and_b32_e32 v2, 0x700000, v2
	v_and_b32_e32 v3, 0x80000000, v3
	v_lshl_add_u32 v4, v4, 23, v0
	v_or3_b32 v2, v3, v4, v2
.LBB4_135:                              ;   in Loop: Header=BB4_124 Depth=2
	s_or_b64 exec, exec, s[62:63]
.LBB4_136:                              ;   in Loop: Header=BB4_124 Depth=2
	s_or_b64 exec, exec, s[60:61]
.LBB4_137:                              ;   in Loop: Header=BB4_124 Depth=2
	s_or_b64 exec, exec, s[24:25]
	v_max_f32_e32 v2, v2, v2
	v_max_f32_e32 v1, v1, v1
	;; [unrolled: 1-line block ×3, first 2 shown]
	s_branch .LBB4_152
.LBB4_138:                              ;   in Loop: Header=BB4_124 Depth=2
                                        ; implicit-def: $vgpr2
	s_cbranch_execz .LBB4_152
; %bb.139:                              ;   in Loop: Header=BB4_124 Depth=2
	v_mov_b32_e32 v2, 0
	v_mov_b32_e32 v1, 0
	s_and_saveexec_b64 s[24:25], s[22:23]
	s_cbranch_execz .LBB4_145
; %bb.140:                              ;   in Loop: Header=BB4_124 Depth=2
	v_cmp_ne_u16_sdwa vcc, v22, s75 src0_sel:BYTE_0 src1_sel:DWORD
	v_bfrev_b32_e32 v1, 1
	s_and_saveexec_b64 s[22:23], vcc
	s_cbranch_execz .LBB4_144
; %bb.141:                              ;   in Loop: Header=BB4_124 Depth=2
	v_and_b32_e32 v3, 0x7f, v22
	v_cmp_ne_u32_e32 vcc, s76, v3
	v_mov_b32_e32 v1, 0x7f800001
	s_and_saveexec_b64 s[60:61], vcc
	s_cbranch_execz .LBB4_143
; %bb.142:                              ;   in Loop: Header=BB4_124 Depth=2
	v_and_b32_e32 v1, 7, v22
	v_ffbh_u32_e32 v1, v1
	v_min_u32_e32 v1, 32, v1
	v_subrev_u32_e32 v5, 28, v1
	v_cmp_gt_u32_e32 vcc, 8, v3
	v_lshrrev_b32_e32 v4, 3, v3
	v_sub_u32_e32 v1, 29, v1
	v_cndmask_b32_e32 v3, 0, v5, vcc
	v_cndmask_b32_e32 v1, v4, v1, vcc
	v_lshlrev_b64 v[4:5], v3, v[22:23]
	v_lshlrev_b32_e32 v3, 20, v4
	v_lshlrev_b32_e32 v4, 24, v22
	v_and_b32_e32 v3, 0x700000, v3
	v_and_b32_e32 v4, 0x80000000, v4
	v_lshl_add_u32 v1, v1, 23, v0
	v_or3_b32 v1, v4, v1, v3
.LBB4_143:                              ;   in Loop: Header=BB4_124 Depth=2
	s_or_b64 exec, exec, s[60:61]
.LBB4_144:                              ;   in Loop: Header=BB4_124 Depth=2
	s_or_b64 exec, exec, s[22:23]
.LBB4_145:                              ;   in Loop: Header=BB4_124 Depth=2
	s_or_b64 exec, exec, s[24:25]
	v_cmp_ne_u16_sdwa s[24:25], v18, v55 src0_sel:BYTE_0 src1_sel:DWORD
	s_and_saveexec_b64 s[22:23], s[24:25]
	s_cbranch_execz .LBB4_151
; %bb.146:                              ;   in Loop: Header=BB4_124 Depth=2
	v_cmp_ne_u16_sdwa vcc, v18, s75 src0_sel:BYTE_0 src1_sel:DWORD
	v_bfrev_b32_e32 v2, 1
	s_and_saveexec_b64 s[24:25], vcc
	s_cbranch_execz .LBB4_150
; %bb.147:                              ;   in Loop: Header=BB4_124 Depth=2
	v_and_b32_e32 v3, 0x7f, v18
	v_cmp_ne_u32_e32 vcc, s76, v3
	v_mov_b32_e32 v2, 0x7f800001
	s_and_saveexec_b64 s[60:61], vcc
	s_cbranch_execz .LBB4_149
; %bb.148:                              ;   in Loop: Header=BB4_124 Depth=2
	v_and_b32_e32 v2, 7, v18
	v_ffbh_u32_e32 v2, v2
	v_min_u32_e32 v2, 32, v2
	v_lshrrev_b32_e32 v4, 3, v3
	v_subrev_u32_e32 v5, 28, v2
	v_sub_u32_e32 v2, 29, v2
	v_cmp_gt_u32_e32 vcc, 8, v3
	v_cndmask_b32_e32 v4, v4, v2, vcc
	v_cndmask_b32_e32 v2, 0, v5, vcc
	v_lshlrev_b64 v[2:3], v2, v[18:19]
	v_lshlrev_b32_e32 v2, 20, v2
	v_lshlrev_b32_e32 v3, 24, v18
	v_and_b32_e32 v2, 0x700000, v2
	v_and_b32_e32 v3, 0x80000000, v3
	v_lshl_add_u32 v4, v4, 23, v0
	v_or3_b32 v2, v3, v4, v2
.LBB4_149:                              ;   in Loop: Header=BB4_124 Depth=2
	s_or_b64 exec, exec, s[60:61]
.LBB4_150:                              ;   in Loop: Header=BB4_124 Depth=2
	s_or_b64 exec, exec, s[24:25]
.LBB4_151:                              ;   in Loop: Header=BB4_124 Depth=2
	s_or_b64 exec, exec, s[22:23]
	v_max_f32_e32 v2, v2, v2
	v_max_f32_e32 v1, v1, v1
	v_min_f32_e32 v2, v1, v2
.LBB4_152:                              ;   in Loop: Header=BB4_124 Depth=2
	v_and_b32_sdwa v1, v2, s75 dst_sel:DWORD dst_unused:UNUSED_PAD src0_sel:BYTE_3 src1_sel:DWORD
	v_and_b32_e32 v4, 0x7f800000, v2
	v_mov_b32_e32 v5, v55
	v_and_b32_e32 v54, 0x7fffff, v2
	v_or_b32_e32 v47, 0x7e, v1
	v_cmp_ne_u64_e32 vcc, s[44:45], v[4:5]
	s_and_saveexec_b64 s[22:23], vcc
	s_xor_b64 s[24:25], exec, s[22:23]
	s_cbranch_execz .LBB4_162
; %bb.153:                              ;   in Loop: Header=BB4_124 Depth=2
	v_and_b32_e32 v4, 0x7fffffff, v2
	v_mov_b32_e32 v5, v55
	v_cmp_gt_u64_e32 vcc, s[46:47], v[4:5]
	s_and_saveexec_b64 s[60:61], vcc
	s_cbranch_execz .LBB4_161
; %bb.154:                              ;   in Loop: Header=BB4_124 Depth=2
	v_cmp_ne_u32_e32 vcc, 0, v2
	v_mov_b32_e32 v47, 0
	s_and_saveexec_b64 s[62:63], vcc
	s_cbranch_execz .LBB4_160
; %bb.155:                              ;   in Loop: Header=BB4_124 Depth=2
	v_bfe_u32 v2, v2, 23, 8
	v_sub_u32_e32 v4, 0x79, v2
	v_cmp_gt_u32_e32 vcc, s78, v2
	v_add_u32_e32 v3, 0xffffff81, v2
	v_cndmask_b32_e32 v4, 0, v4, vcc
	v_cmp_eq_u32_e32 vcc, 0, v2
	v_mov_b32_e32 v2, 0xffffff82
	v_cndmask_b32_e32 v26, v3, v2, vcc
	v_mov_b32_e32 v2, 0x78
	v_or_b32_e32 v5, 0x800000, v54
	v_cndmask_b32_e32 v4, v4, v2, vcc
	v_cndmask_b32_e32 v54, v5, v54, vcc
	v_add_u32_e32 v2, 20, v4
	v_lshlrev_b64 v[2:3], v2, -1
	v_add_u32_e32 v5, 19, v4
	v_lshrrev_b64 v[8:9], v4, v[54:55]
	v_not_b32_e32 v3, v3
	v_not_b32_e32 v2, v2
	v_lshlrev_b64 v[6:7], v5, 1
	v_lshrrev_b32_e32 v5, 23, v8
	v_and_b32_e32 v3, 0, v3
	v_and_b32_e32 v2, v54, v2
	v_add3_u32 v4, v4, v26, v5
	v_bfe_u32 v5, v8, 20, 1
	v_add_u32_e32 v5, -1, v5
	v_cmp_eq_u64_e32 vcc, v[2:3], v[6:7]
	v_cndmask_b32_e32 v2, 0, v5, vcc
	v_add_u32_e32 v2, v2, v8
	v_and_b32_e32 v2, 0xfffff, v2
	v_add_co_u32_e32 v2, vcc, v2, v8
	v_add_u32_e32 v27, 6, v4
	v_addc_co_u32_e32 v3, vcc, 0, v9, vcc
	v_cmp_ne_u32_e32 vcc, 0, v27
                                        ; implicit-def: $vgpr26
	s_and_saveexec_b64 s[22:23], vcc
	s_xor_b64 s[22:23], exec, s[22:23]
; %bb.156:                              ;   in Loop: Header=BB4_124 Depth=2
	v_add_u32_e32 v4, 7, v4
	v_cmp_lt_u64_e32 vcc, s[50:51], v[2:3]
	v_cndmask_b32_e32 v26, v27, v4, vcc
	v_cndmask_b32_e64 v4, 0, 1, vcc
	v_lshrrev_b64 v[2:3], v4, v[2:3]
; %bb.157:                              ;   in Loop: Header=BB4_124 Depth=2
	s_andn2_saveexec_b64 s[22:23], s[22:23]
; %bb.158:                              ;   in Loop: Header=BB4_124 Depth=2
	v_bfe_u32 v26, v2, 23, 1
; %bb.159:                              ;   in Loop: Header=BB4_124 Depth=2
	s_or_b64 exec, exec, s[22:23]
	v_lshrrev_b64 v[2:3], 20, v[2:3]
	v_cmp_gt_i32_e32 vcc, 16, v26
	v_cndmask_b32_e32 v3, 0, v3, vcc
	v_cndmask_b32_e32 v2, 7, v2, vcc
	v_cmp_eq_u64_e64 s[22:23], 0, v[2:3]
	v_min_i32_e32 v3, 15, v26
	v_cmp_eq_u32_e32 vcc, 0, v26
	v_lshlrev_b32_e32 v3, 3, v3
	v_and_or_b32 v2, v2, 7, v3
	s_and_b64 s[22:23], vcc, s[22:23]
	v_cndmask_b32_e64 v2, v2, 0, s[22:23]
	v_or_b32_e32 v47, v2, v1
.LBB4_160:                              ;   in Loop: Header=BB4_124 Depth=2
	s_or_b64 exec, exec, s[62:63]
.LBB4_161:                              ;   in Loop: Header=BB4_124 Depth=2
	s_or_b64 exec, exec, s[60:61]
                                        ; implicit-def: $vgpr2
.LBB4_162:                              ;   in Loop: Header=BB4_124 Depth=2
	s_andn2_saveexec_b64 s[22:23], s[24:25]
; %bb.163:                              ;   in Loop: Header=BB4_124 Depth=2
	v_or_b32_sdwa v1, v2, s76 dst_sel:DWORD dst_unused:UNUSED_PAD src0_sel:BYTE_3 src1_sel:DWORD
	v_cmp_eq_u64_e32 vcc, 0, v[54:55]
	v_cndmask_b32_e32 v47, v1, v47, vcc
; %bb.164:                              ;   in Loop: Header=BB4_124 Depth=2
	s_or_b64 exec, exec, s[22:23]
	v_lshrrev_b16_e32 v28, 8, v22
	v_lshrrev_b16_e32 v2, 8, v18
	v_cmp_ne_u16_e64 s[22:23], 0, v28
	s_and_b64 vcc, exec, s[58:59]
	s_cbranch_vccz .LBB4_178
; %bb.165:                              ;   in Loop: Header=BB4_124 Depth=2
	v_mov_b32_e32 v3, 0
	v_mov_b32_e32 v1, 0
	s_and_saveexec_b64 s[24:25], s[22:23]
	s_cbranch_execz .LBB4_171
; %bb.166:                              ;   in Loop: Header=BB4_124 Depth=2
	v_cmp_ne_u16_e32 vcc, s75, v28
	v_bfrev_b32_e32 v1, 1
	s_and_saveexec_b64 s[60:61], vcc
	s_cbranch_execz .LBB4_170
; %bb.167:                              ;   in Loop: Header=BB4_124 Depth=2
	v_and_b32_e32 v4, 0x7f, v28
	v_cmp_ne_u32_e32 vcc, s76, v4
	v_mov_b32_e32 v1, 0x7f800001
	s_and_saveexec_b64 s[62:63], vcc
	s_cbranch_execz .LBB4_169
; %bb.168:                              ;   in Loop: Header=BB4_124 Depth=2
	v_and_b32_e32 v1, 7, v28
	v_ffbh_u32_e32 v6, v1
	v_min_u32_e32 v8, 32, v6
	v_subrev_u32_e32 v6, 28, v8
	v_lshlrev_b64 v[6:7], v6, v[28:29]
	v_lshrrev_b32_e32 v5, 3, v4
	v_sub_u32_e32 v7, 29, v8
	v_and_b32_e32 v6, 7, v6
	v_cmp_gt_u32_e32 vcc, 8, v4
	v_cndmask_b32_e32 v4, v5, v7, vcc
	v_cndmask_b32_e32 v1, v1, v6, vcc
	v_lshlrev_b32_e32 v5, 16, v22
	v_lshlrev_b32_e32 v1, 20, v1
	v_and_b32_e32 v5, 0x80000000, v5
	v_lshl_add_u32 v4, v4, 23, v0
	v_or3_b32 v1, v5, v4, v1
.LBB4_169:                              ;   in Loop: Header=BB4_124 Depth=2
	s_or_b64 exec, exec, s[62:63]
.LBB4_170:                              ;   in Loop: Header=BB4_124 Depth=2
	s_or_b64 exec, exec, s[60:61]
.LBB4_171:                              ;   in Loop: Header=BB4_124 Depth=2
	s_or_b64 exec, exec, s[24:25]
	v_cmp_ne_u16_e32 vcc, 0, v2
	s_and_saveexec_b64 s[24:25], vcc
	s_cbranch_execz .LBB4_177
; %bb.172:                              ;   in Loop: Header=BB4_124 Depth=2
	v_cmp_ne_u16_e32 vcc, s75, v2
	v_bfrev_b32_e32 v3, 1
	s_and_saveexec_b64 s[60:61], vcc
	s_cbranch_execz .LBB4_176
; %bb.173:                              ;   in Loop: Header=BB4_124 Depth=2
	v_and_b32_e32 v4, 0x7f, v2
	v_cmp_ne_u32_e32 vcc, s76, v4
	v_mov_b32_e32 v3, 0x7f800001
	s_and_saveexec_b64 s[62:63], vcc
	s_cbranch_execz .LBB4_175
; %bb.174:                              ;   in Loop: Header=BB4_124 Depth=2
	v_and_b32_e32 v3, 7, v2
	v_ffbh_u32_e32 v6, v3
	v_min_u32_e32 v8, 32, v6
	v_subrev_u32_e32 v6, 28, v8
	v_lshlrev_b64 v[6:7], v6, v[2:3]
	v_lshrrev_b32_e32 v5, 3, v4
	v_sub_u32_e32 v7, 29, v8
	v_and_b32_e32 v6, 7, v6
	v_cmp_gt_u32_e32 vcc, 8, v4
	v_cndmask_b32_e32 v4, v5, v7, vcc
	v_cndmask_b32_e32 v3, v3, v6, vcc
	v_lshlrev_b32_e32 v5, 16, v18
	v_lshlrev_b32_e32 v3, 20, v3
	v_and_b32_e32 v5, 0x80000000, v5
	v_lshl_add_u32 v4, v4, 23, v0
	v_or3_b32 v3, v5, v4, v3
.LBB4_175:                              ;   in Loop: Header=BB4_124 Depth=2
	s_or_b64 exec, exec, s[62:63]
.LBB4_176:                              ;   in Loop: Header=BB4_124 Depth=2
	s_or_b64 exec, exec, s[60:61]
.LBB4_177:                              ;   in Loop: Header=BB4_124 Depth=2
	s_or_b64 exec, exec, s[24:25]
	v_max_f32_e32 v3, v3, v3
	v_max_f32_e32 v1, v1, v1
	;; [unrolled: 1-line block ×3, first 2 shown]
	s_branch .LBB4_192
.LBB4_178:                              ;   in Loop: Header=BB4_124 Depth=2
                                        ; implicit-def: $vgpr3
	s_cbranch_execz .LBB4_192
; %bb.179:                              ;   in Loop: Header=BB4_124 Depth=2
	v_mov_b32_e32 v3, 0
	v_mov_b32_e32 v1, 0
	s_and_saveexec_b64 s[24:25], s[22:23]
	s_cbranch_execz .LBB4_185
; %bb.180:                              ;   in Loop: Header=BB4_124 Depth=2
	v_cmp_ne_u16_e32 vcc, s75, v28
	v_bfrev_b32_e32 v1, 1
	s_and_saveexec_b64 s[22:23], vcc
	s_cbranch_execz .LBB4_184
; %bb.181:                              ;   in Loop: Header=BB4_124 Depth=2
	v_and_b32_e32 v4, 0x7f, v28
	v_cmp_ne_u32_e32 vcc, s76, v4
	v_mov_b32_e32 v1, 0x7f800001
	s_and_saveexec_b64 s[60:61], vcc
	s_cbranch_execz .LBB4_183
; %bb.182:                              ;   in Loop: Header=BB4_124 Depth=2
	v_and_b32_e32 v1, 7, v28
	v_ffbh_u32_e32 v6, v1
	v_min_u32_e32 v8, 32, v6
	v_subrev_u32_e32 v6, 28, v8
	v_lshlrev_b64 v[6:7], v6, v[28:29]
	v_lshrrev_b32_e32 v5, 3, v4
	v_sub_u32_e32 v7, 29, v8
	v_and_b32_e32 v6, 7, v6
	v_cmp_gt_u32_e32 vcc, 8, v4
	v_cndmask_b32_e32 v4, v5, v7, vcc
	v_cndmask_b32_e32 v1, v1, v6, vcc
	v_lshlrev_b32_e32 v5, 16, v22
	v_lshlrev_b32_e32 v1, 20, v1
	v_and_b32_e32 v5, 0x80000000, v5
	v_lshl_add_u32 v4, v4, 23, v0
	v_or3_b32 v1, v5, v4, v1
.LBB4_183:                              ;   in Loop: Header=BB4_124 Depth=2
	s_or_b64 exec, exec, s[60:61]
.LBB4_184:                              ;   in Loop: Header=BB4_124 Depth=2
	s_or_b64 exec, exec, s[22:23]
.LBB4_185:                              ;   in Loop: Header=BB4_124 Depth=2
	s_or_b64 exec, exec, s[24:25]
	v_cmp_ne_u16_e32 vcc, 0, v2
	s_and_saveexec_b64 s[22:23], vcc
	s_cbranch_execz .LBB4_191
; %bb.186:                              ;   in Loop: Header=BB4_124 Depth=2
	v_cmp_ne_u16_e32 vcc, s75, v2
	v_bfrev_b32_e32 v3, 1
	s_and_saveexec_b64 s[24:25], vcc
	s_cbranch_execz .LBB4_190
; %bb.187:                              ;   in Loop: Header=BB4_124 Depth=2
	v_and_b32_e32 v4, 0x7f, v2
	v_cmp_ne_u32_e32 vcc, s76, v4
	v_mov_b32_e32 v3, 0x7f800001
	s_and_saveexec_b64 s[60:61], vcc
	s_cbranch_execz .LBB4_189
; %bb.188:                              ;   in Loop: Header=BB4_124 Depth=2
	v_and_b32_e32 v5, 7, v2
	v_ffbh_u32_e32 v3, v5
	v_min_u32_e32 v7, 32, v3
	v_subrev_u32_e32 v3, 28, v7
	v_lshlrev_b64 v[2:3], v3, v[2:3]
	v_lshrrev_b32_e32 v6, 3, v4
	v_sub_u32_e32 v3, 29, v7
	v_and_b32_e32 v2, 7, v2
	v_cmp_gt_u32_e32 vcc, 8, v4
	v_cndmask_b32_e32 v3, v6, v3, vcc
	v_cndmask_b32_e32 v2, v5, v2, vcc
	v_lshlrev_b32_e32 v4, 16, v18
	v_lshlrev_b32_e32 v2, 20, v2
	v_and_b32_e32 v4, 0x80000000, v4
	v_lshl_add_u32 v3, v3, 23, v0
	v_or3_b32 v3, v4, v3, v2
.LBB4_189:                              ;   in Loop: Header=BB4_124 Depth=2
	s_or_b64 exec, exec, s[60:61]
.LBB4_190:                              ;   in Loop: Header=BB4_124 Depth=2
	s_or_b64 exec, exec, s[24:25]
.LBB4_191:                              ;   in Loop: Header=BB4_124 Depth=2
	s_or_b64 exec, exec, s[22:23]
	v_max_f32_e32 v2, v3, v3
	v_max_f32_e32 v1, v1, v1
	v_min_f32_e32 v3, v1, v2
.LBB4_192:                              ;   in Loop: Header=BB4_124 Depth=2
	v_and_b32_sdwa v1, v3, s75 dst_sel:DWORD dst_unused:UNUSED_PAD src0_sel:BYTE_3 src1_sel:DWORD
	v_and_b32_e32 v4, 0x7f800000, v3
	v_mov_b32_e32 v5, v55
	v_and_b32_e32 v54, 0x7fffff, v3
	v_or_b32_e32 v34, 0x7e, v1
	v_cmp_ne_u64_e32 vcc, s[44:45], v[4:5]
	s_and_saveexec_b64 s[22:23], vcc
	s_xor_b64 s[24:25], exec, s[22:23]
	s_cbranch_execz .LBB4_202
; %bb.193:                              ;   in Loop: Header=BB4_124 Depth=2
	v_and_b32_e32 v4, 0x7fffffff, v3
	v_mov_b32_e32 v5, v55
	v_cmp_gt_u64_e32 vcc, s[46:47], v[4:5]
	s_and_saveexec_b64 s[60:61], vcc
	s_cbranch_execz .LBB4_201
; %bb.194:                              ;   in Loop: Header=BB4_124 Depth=2
	v_cmp_ne_u32_e32 vcc, 0, v3
	v_mov_b32_e32 v34, 0
	s_and_saveexec_b64 s[62:63], vcc
	s_cbranch_execz .LBB4_200
; %bb.195:                              ;   in Loop: Header=BB4_124 Depth=2
	v_bfe_u32 v2, v3, 23, 8
	v_sub_u32_e32 v4, 0x79, v2
	v_cmp_gt_u32_e32 vcc, s78, v2
	v_add_u32_e32 v3, 0xffffff81, v2
	v_cndmask_b32_e32 v4, 0, v4, vcc
	v_cmp_eq_u32_e32 vcc, 0, v2
	v_mov_b32_e32 v2, 0xffffff82
	v_cndmask_b32_e32 v26, v3, v2, vcc
	v_mov_b32_e32 v2, 0x78
	v_or_b32_e32 v5, 0x800000, v54
	v_cndmask_b32_e32 v4, v4, v2, vcc
	v_cndmask_b32_e32 v54, v5, v54, vcc
	v_add_u32_e32 v2, 20, v4
	v_lshlrev_b64 v[2:3], v2, -1
	v_add_u32_e32 v5, 19, v4
	v_lshrrev_b64 v[8:9], v4, v[54:55]
	v_not_b32_e32 v3, v3
	v_not_b32_e32 v2, v2
	v_lshlrev_b64 v[6:7], v5, 1
	v_lshrrev_b32_e32 v5, 23, v8
	v_and_b32_e32 v3, 0, v3
	v_and_b32_e32 v2, v54, v2
	v_add3_u32 v4, v4, v26, v5
	v_bfe_u32 v5, v8, 20, 1
	v_add_u32_e32 v5, -1, v5
	v_cmp_eq_u64_e32 vcc, v[2:3], v[6:7]
	v_cndmask_b32_e32 v2, 0, v5, vcc
	v_add_u32_e32 v2, v2, v8
	v_and_b32_e32 v2, 0xfffff, v2
	v_add_co_u32_e32 v2, vcc, v2, v8
	v_add_u32_e32 v27, 6, v4
	v_addc_co_u32_e32 v3, vcc, 0, v9, vcc
	v_cmp_ne_u32_e32 vcc, 0, v27
                                        ; implicit-def: $vgpr26
	s_and_saveexec_b64 s[22:23], vcc
	s_xor_b64 s[22:23], exec, s[22:23]
; %bb.196:                              ;   in Loop: Header=BB4_124 Depth=2
	v_add_u32_e32 v4, 7, v4
	v_cmp_lt_u64_e32 vcc, s[50:51], v[2:3]
	v_cndmask_b32_e32 v26, v27, v4, vcc
	v_cndmask_b32_e64 v4, 0, 1, vcc
	v_lshrrev_b64 v[2:3], v4, v[2:3]
; %bb.197:                              ;   in Loop: Header=BB4_124 Depth=2
	s_andn2_saveexec_b64 s[22:23], s[22:23]
; %bb.198:                              ;   in Loop: Header=BB4_124 Depth=2
	v_bfe_u32 v26, v2, 23, 1
; %bb.199:                              ;   in Loop: Header=BB4_124 Depth=2
	s_or_b64 exec, exec, s[22:23]
	v_lshrrev_b64 v[2:3], 20, v[2:3]
	v_cmp_gt_i32_e32 vcc, 16, v26
	v_cndmask_b32_e32 v3, 0, v3, vcc
	v_cndmask_b32_e32 v2, 7, v2, vcc
	v_cmp_eq_u64_e64 s[22:23], 0, v[2:3]
	v_min_i32_e32 v3, 15, v26
	v_cmp_eq_u32_e32 vcc, 0, v26
	v_lshlrev_b32_e32 v3, 3, v3
	v_and_or_b32 v2, v2, 7, v3
	s_and_b64 s[22:23], vcc, s[22:23]
	v_cndmask_b32_e64 v2, v2, 0, s[22:23]
	v_or_b32_e32 v34, v2, v1
.LBB4_200:                              ;   in Loop: Header=BB4_124 Depth=2
	s_or_b64 exec, exec, s[62:63]
.LBB4_201:                              ;   in Loop: Header=BB4_124 Depth=2
	s_or_b64 exec, exec, s[60:61]
                                        ; implicit-def: $vgpr3
.LBB4_202:                              ;   in Loop: Header=BB4_124 Depth=2
	s_andn2_saveexec_b64 s[22:23], s[24:25]
; %bb.203:                              ;   in Loop: Header=BB4_124 Depth=2
	v_or_b32_sdwa v1, v3, s76 dst_sel:DWORD dst_unused:UNUSED_PAD src0_sel:BYTE_3 src1_sel:DWORD
	v_cmp_eq_u64_e32 vcc, 0, v[54:55]
	v_cndmask_b32_e32 v34, v1, v34, vcc
; %bb.204:                              ;   in Loop: Header=BB4_124 Depth=2
	s_or_b64 exec, exec, s[22:23]
	v_lshrrev_b32_e32 v28, 16, v22
	v_lshrrev_b32_e32 v2, 16, v18
	v_cmp_ne_u16_sdwa s[22:23], v28, v55 src0_sel:BYTE_0 src1_sel:DWORD
	s_and_b64 vcc, exec, s[58:59]
	s_cbranch_vccz .LBB4_218
; %bb.205:                              ;   in Loop: Header=BB4_124 Depth=2
	v_mov_b32_e32 v3, 0
	v_mov_b32_e32 v1, 0
	s_and_saveexec_b64 s[24:25], s[22:23]
	s_cbranch_execz .LBB4_211
; %bb.206:                              ;   in Loop: Header=BB4_124 Depth=2
	v_cmp_ne_u16_sdwa vcc, v28, s75 src0_sel:BYTE_0 src1_sel:DWORD
	v_bfrev_b32_e32 v1, 1
	s_and_saveexec_b64 s[60:61], vcc
	s_cbranch_execz .LBB4_210
; %bb.207:                              ;   in Loop: Header=BB4_124 Depth=2
	v_bfe_u32 v4, v22, 16, 7
	v_cmp_ne_u32_e32 vcc, s76, v4
	v_mov_b32_e32 v1, 0x7f800001
	s_and_saveexec_b64 s[62:63], vcc
	s_cbranch_execz .LBB4_209
; %bb.208:                              ;   in Loop: Header=BB4_124 Depth=2
	v_and_b32_e32 v1, 7, v28
	v_ffbh_u32_e32 v6, v1
	v_min_u32_e32 v8, 32, v6
	v_subrev_u32_e32 v6, 28, v8
	v_lshlrev_b64 v[6:7], v6, v[28:29]
	v_lshrrev_b32_e32 v5, 3, v4
	v_sub_u32_e32 v7, 29, v8
	v_and_b32_e32 v6, 7, v6
	v_cmp_gt_u32_e32 vcc, 8, v4
	v_cndmask_b32_e32 v4, v5, v7, vcc
	v_cndmask_b32_e32 v1, v1, v6, vcc
	v_lshlrev_b32_e32 v5, 24, v28
	v_lshlrev_b32_e32 v1, 20, v1
	v_and_b32_e32 v5, 0x80000000, v5
	v_lshl_add_u32 v4, v4, 23, v0
	v_or3_b32 v1, v5, v4, v1
.LBB4_209:                              ;   in Loop: Header=BB4_124 Depth=2
	s_or_b64 exec, exec, s[62:63]
.LBB4_210:                              ;   in Loop: Header=BB4_124 Depth=2
	s_or_b64 exec, exec, s[60:61]
.LBB4_211:                              ;   in Loop: Header=BB4_124 Depth=2
	s_or_b64 exec, exec, s[24:25]
	v_cmp_ne_u16_sdwa vcc, v2, v55 src0_sel:BYTE_0 src1_sel:DWORD
	s_and_saveexec_b64 s[24:25], vcc
	s_cbranch_execz .LBB4_217
; %bb.212:                              ;   in Loop: Header=BB4_124 Depth=2
	v_cmp_ne_u16_sdwa vcc, v2, s75 src0_sel:BYTE_0 src1_sel:DWORD
	v_bfrev_b32_e32 v3, 1
	s_and_saveexec_b64 s[60:61], vcc
	s_cbranch_execz .LBB4_216
; %bb.213:                              ;   in Loop: Header=BB4_124 Depth=2
	v_bfe_u32 v4, v18, 16, 7
	v_cmp_ne_u32_e32 vcc, s76, v4
	v_mov_b32_e32 v3, 0x7f800001
	s_and_saveexec_b64 s[62:63], vcc
	s_cbranch_execz .LBB4_215
; %bb.214:                              ;   in Loop: Header=BB4_124 Depth=2
	v_and_b32_e32 v3, 7, v2
	v_ffbh_u32_e32 v6, v3
	v_min_u32_e32 v8, 32, v6
	v_subrev_u32_e32 v6, 28, v8
	v_lshlrev_b64 v[6:7], v6, v[2:3]
	v_lshrrev_b32_e32 v5, 3, v4
	v_sub_u32_e32 v7, 29, v8
	v_and_b32_e32 v6, 7, v6
	v_cmp_gt_u32_e32 vcc, 8, v4
	v_cndmask_b32_e32 v4, v5, v7, vcc
	v_cndmask_b32_e32 v3, v3, v6, vcc
	v_lshlrev_b32_e32 v5, 24, v2
	v_lshlrev_b32_e32 v3, 20, v3
	v_and_b32_e32 v5, 0x80000000, v5
	v_lshl_add_u32 v4, v4, 23, v0
	v_or3_b32 v3, v5, v4, v3
.LBB4_215:                              ;   in Loop: Header=BB4_124 Depth=2
	s_or_b64 exec, exec, s[62:63]
.LBB4_216:                              ;   in Loop: Header=BB4_124 Depth=2
	s_or_b64 exec, exec, s[60:61]
.LBB4_217:                              ;   in Loop: Header=BB4_124 Depth=2
	s_or_b64 exec, exec, s[24:25]
	v_max_f32_e32 v3, v3, v3
	v_max_f32_e32 v1, v1, v1
	;; [unrolled: 1-line block ×3, first 2 shown]
	s_branch .LBB4_232
.LBB4_218:                              ;   in Loop: Header=BB4_124 Depth=2
                                        ; implicit-def: $vgpr3
	s_cbranch_execz .LBB4_232
; %bb.219:                              ;   in Loop: Header=BB4_124 Depth=2
	v_mov_b32_e32 v3, 0
	v_mov_b32_e32 v1, 0
	s_and_saveexec_b64 s[24:25], s[22:23]
	s_cbranch_execz .LBB4_225
; %bb.220:                              ;   in Loop: Header=BB4_124 Depth=2
	v_cmp_ne_u16_sdwa vcc, v28, s75 src0_sel:BYTE_0 src1_sel:DWORD
	v_bfrev_b32_e32 v1, 1
	s_and_saveexec_b64 s[22:23], vcc
	s_cbranch_execz .LBB4_224
; %bb.221:                              ;   in Loop: Header=BB4_124 Depth=2
	v_bfe_u32 v4, v22, 16, 7
	v_cmp_ne_u32_e32 vcc, s76, v4
	v_mov_b32_e32 v1, 0x7f800001
	s_and_saveexec_b64 s[60:61], vcc
	s_cbranch_execz .LBB4_223
; %bb.222:                              ;   in Loop: Header=BB4_124 Depth=2
	v_and_b32_e32 v1, 7, v28
	v_ffbh_u32_e32 v6, v1
	v_min_u32_e32 v8, 32, v6
	v_subrev_u32_e32 v6, 28, v8
	v_lshlrev_b64 v[6:7], v6, v[28:29]
	v_lshrrev_b32_e32 v5, 3, v4
	v_sub_u32_e32 v7, 29, v8
	v_and_b32_e32 v6, 7, v6
	v_cmp_gt_u32_e32 vcc, 8, v4
	v_cndmask_b32_e32 v4, v5, v7, vcc
	v_cndmask_b32_e32 v1, v1, v6, vcc
	v_lshlrev_b32_e32 v5, 24, v28
	v_lshlrev_b32_e32 v1, 20, v1
	v_and_b32_e32 v5, 0x80000000, v5
	v_lshl_add_u32 v4, v4, 23, v0
	v_or3_b32 v1, v5, v4, v1
.LBB4_223:                              ;   in Loop: Header=BB4_124 Depth=2
	s_or_b64 exec, exec, s[60:61]
.LBB4_224:                              ;   in Loop: Header=BB4_124 Depth=2
	s_or_b64 exec, exec, s[22:23]
.LBB4_225:                              ;   in Loop: Header=BB4_124 Depth=2
	s_or_b64 exec, exec, s[24:25]
	v_cmp_ne_u16_sdwa s[24:25], v2, v55 src0_sel:BYTE_0 src1_sel:DWORD
	s_and_saveexec_b64 s[22:23], s[24:25]
	s_cbranch_execz .LBB4_231
; %bb.226:                              ;   in Loop: Header=BB4_124 Depth=2
	v_cmp_ne_u16_sdwa vcc, v2, s75 src0_sel:BYTE_0 src1_sel:DWORD
	v_bfrev_b32_e32 v3, 1
	s_and_saveexec_b64 s[24:25], vcc
	s_cbranch_execz .LBB4_230
; %bb.227:                              ;   in Loop: Header=BB4_124 Depth=2
	v_bfe_u32 v4, v18, 16, 7
	v_cmp_ne_u32_e32 vcc, s76, v4
	v_mov_b32_e32 v3, 0x7f800001
	s_and_saveexec_b64 s[60:61], vcc
	s_cbranch_execz .LBB4_229
; %bb.228:                              ;   in Loop: Header=BB4_124 Depth=2
	v_and_b32_e32 v3, 7, v2
	v_ffbh_u32_e32 v6, v3
	v_min_u32_e32 v8, 32, v6
	v_subrev_u32_e32 v6, 28, v8
	v_lshlrev_b64 v[6:7], v6, v[2:3]
	v_lshrrev_b32_e32 v5, 3, v4
	v_sub_u32_e32 v7, 29, v8
	v_and_b32_e32 v6, 7, v6
	v_cmp_gt_u32_e32 vcc, 8, v4
	v_cndmask_b32_e32 v4, v5, v7, vcc
	v_cndmask_b32_e32 v3, v3, v6, vcc
	v_lshlrev_b32_e32 v2, 24, v2
	v_lshlrev_b32_e32 v3, 20, v3
	v_and_b32_e32 v2, 0x80000000, v2
	v_lshl_add_u32 v4, v4, 23, v0
	v_or3_b32 v3, v2, v4, v3
.LBB4_229:                              ;   in Loop: Header=BB4_124 Depth=2
	s_or_b64 exec, exec, s[60:61]
.LBB4_230:                              ;   in Loop: Header=BB4_124 Depth=2
	s_or_b64 exec, exec, s[24:25]
.LBB4_231:                              ;   in Loop: Header=BB4_124 Depth=2
	s_or_b64 exec, exec, s[22:23]
	v_max_f32_e32 v2, v3, v3
	v_max_f32_e32 v1, v1, v1
	v_min_f32_e32 v3, v1, v2
.LBB4_232:                              ;   in Loop: Header=BB4_124 Depth=2
	v_and_b32_sdwa v1, v3, s75 dst_sel:DWORD dst_unused:UNUSED_PAD src0_sel:BYTE_3 src1_sel:DWORD
	v_and_b32_e32 v4, 0x7f800000, v3
	v_mov_b32_e32 v5, v55
	v_and_b32_e32 v54, 0x7fffff, v3
	v_or_b32_e32 v35, 0x7e, v1
	v_cmp_ne_u64_e32 vcc, s[44:45], v[4:5]
	s_and_saveexec_b64 s[22:23], vcc
	s_xor_b64 s[24:25], exec, s[22:23]
	s_cbranch_execz .LBB4_242
; %bb.233:                              ;   in Loop: Header=BB4_124 Depth=2
	v_and_b32_e32 v4, 0x7fffffff, v3
	v_mov_b32_e32 v5, v55
	v_cmp_gt_u64_e32 vcc, s[46:47], v[4:5]
	s_and_saveexec_b64 s[60:61], vcc
	s_cbranch_execz .LBB4_241
; %bb.234:                              ;   in Loop: Header=BB4_124 Depth=2
	v_cmp_ne_u32_e32 vcc, 0, v3
	v_mov_b32_e32 v35, 0
	s_and_saveexec_b64 s[62:63], vcc
	s_cbranch_execz .LBB4_240
; %bb.235:                              ;   in Loop: Header=BB4_124 Depth=2
	v_bfe_u32 v2, v3, 23, 8
	v_sub_u32_e32 v4, 0x79, v2
	v_cmp_gt_u32_e32 vcc, s78, v2
	v_add_u32_e32 v3, 0xffffff81, v2
	v_cndmask_b32_e32 v4, 0, v4, vcc
	v_cmp_eq_u32_e32 vcc, 0, v2
	v_mov_b32_e32 v2, 0xffffff82
	v_cndmask_b32_e32 v26, v3, v2, vcc
	v_mov_b32_e32 v2, 0x78
	v_or_b32_e32 v5, 0x800000, v54
	v_cndmask_b32_e32 v4, v4, v2, vcc
	v_cndmask_b32_e32 v54, v5, v54, vcc
	v_add_u32_e32 v2, 20, v4
	v_lshlrev_b64 v[2:3], v2, -1
	v_add_u32_e32 v5, 19, v4
	v_lshrrev_b64 v[8:9], v4, v[54:55]
	v_not_b32_e32 v3, v3
	v_not_b32_e32 v2, v2
	v_lshlrev_b64 v[6:7], v5, 1
	v_lshrrev_b32_e32 v5, 23, v8
	v_and_b32_e32 v3, 0, v3
	v_and_b32_e32 v2, v54, v2
	v_add3_u32 v4, v4, v26, v5
	v_bfe_u32 v5, v8, 20, 1
	v_add_u32_e32 v5, -1, v5
	v_cmp_eq_u64_e32 vcc, v[2:3], v[6:7]
	v_cndmask_b32_e32 v2, 0, v5, vcc
	v_add_u32_e32 v2, v2, v8
	v_and_b32_e32 v2, 0xfffff, v2
	v_add_co_u32_e32 v2, vcc, v2, v8
	v_add_u32_e32 v27, 6, v4
	v_addc_co_u32_e32 v3, vcc, 0, v9, vcc
	v_cmp_ne_u32_e32 vcc, 0, v27
                                        ; implicit-def: $vgpr26
	s_and_saveexec_b64 s[22:23], vcc
	s_xor_b64 s[22:23], exec, s[22:23]
; %bb.236:                              ;   in Loop: Header=BB4_124 Depth=2
	v_add_u32_e32 v4, 7, v4
	v_cmp_lt_u64_e32 vcc, s[50:51], v[2:3]
	v_cndmask_b32_e32 v26, v27, v4, vcc
	v_cndmask_b32_e64 v4, 0, 1, vcc
	v_lshrrev_b64 v[2:3], v4, v[2:3]
; %bb.237:                              ;   in Loop: Header=BB4_124 Depth=2
	s_andn2_saveexec_b64 s[22:23], s[22:23]
; %bb.238:                              ;   in Loop: Header=BB4_124 Depth=2
	v_bfe_u32 v26, v2, 23, 1
; %bb.239:                              ;   in Loop: Header=BB4_124 Depth=2
	s_or_b64 exec, exec, s[22:23]
	v_lshrrev_b64 v[2:3], 20, v[2:3]
	v_cmp_gt_i32_e32 vcc, 16, v26
	v_cndmask_b32_e32 v3, 0, v3, vcc
	v_cndmask_b32_e32 v2, 7, v2, vcc
	v_cmp_eq_u64_e64 s[22:23], 0, v[2:3]
	v_min_i32_e32 v3, 15, v26
	v_cmp_eq_u32_e32 vcc, 0, v26
	v_lshlrev_b32_e32 v3, 3, v3
	v_and_or_b32 v2, v2, 7, v3
	s_and_b64 s[22:23], vcc, s[22:23]
	v_cndmask_b32_e64 v2, v2, 0, s[22:23]
	v_or_b32_e32 v35, v2, v1
.LBB4_240:                              ;   in Loop: Header=BB4_124 Depth=2
	s_or_b64 exec, exec, s[62:63]
.LBB4_241:                              ;   in Loop: Header=BB4_124 Depth=2
	s_or_b64 exec, exec, s[60:61]
                                        ; implicit-def: $vgpr3
.LBB4_242:                              ;   in Loop: Header=BB4_124 Depth=2
	s_andn2_saveexec_b64 s[22:23], s[24:25]
; %bb.243:                              ;   in Loop: Header=BB4_124 Depth=2
	v_or_b32_sdwa v1, v3, s76 dst_sel:DWORD dst_unused:UNUSED_PAD src0_sel:BYTE_3 src1_sel:DWORD
	v_cmp_eq_u64_e32 vcc, 0, v[54:55]
	v_cndmask_b32_e32 v35, v1, v35, vcc
; %bb.244:                              ;   in Loop: Header=BB4_124 Depth=2
	s_or_b64 exec, exec, s[22:23]
	v_lshrrev_b32_e32 v28, 24, v22
	v_lshrrev_b32_e32 v2, 24, v18
	v_cmp_lt_u32_e64 s[22:23], s49, v22
	s_and_b64 vcc, exec, s[58:59]
	s_cbranch_vccz .LBB4_258
; %bb.245:                              ;   in Loop: Header=BB4_124 Depth=2
	v_mov_b32_e32 v3, 0
	v_mov_b32_e32 v1, 0
	s_and_saveexec_b64 s[24:25], s[22:23]
	s_cbranch_execz .LBB4_251
; %bb.246:                              ;   in Loop: Header=BB4_124 Depth=2
	v_cmp_ne_u32_e32 vcc, s75, v28
	v_bfrev_b32_e32 v1, 1
	s_and_saveexec_b64 s[60:61], vcc
	s_cbranch_execz .LBB4_250
; %bb.247:                              ;   in Loop: Header=BB4_124 Depth=2
	v_bfe_u32 v4, v22, 24, 7
	v_cmp_ne_u32_e32 vcc, s76, v4
	v_mov_b32_e32 v1, 0x7f800001
	s_and_saveexec_b64 s[62:63], vcc
	s_cbranch_execz .LBB4_249
; %bb.248:                              ;   in Loop: Header=BB4_124 Depth=2
	v_and_b32_e32 v1, 7, v28
	v_ffbh_u32_e32 v6, v1
	v_min_u32_e32 v8, 32, v6
	v_subrev_u32_e32 v6, 28, v8
	v_lshlrev_b64 v[6:7], v6, v[28:29]
	v_lshrrev_b32_e32 v5, 3, v4
	v_sub_u32_e32 v7, 29, v8
	v_and_b32_e32 v6, 7, v6
	v_cmp_gt_u32_e32 vcc, 8, v4
	v_cndmask_b32_e32 v4, v5, v7, vcc
	v_cndmask_b32_e32 v1, v1, v6, vcc
	v_lshlrev_b32_e32 v5, 24, v28
	v_lshlrev_b32_e32 v1, 20, v1
	v_and_b32_e32 v5, 0x80000000, v5
	v_lshl_add_u32 v4, v4, 23, v0
	v_or3_b32 v1, v5, v4, v1
.LBB4_249:                              ;   in Loop: Header=BB4_124 Depth=2
	s_or_b64 exec, exec, s[62:63]
.LBB4_250:                              ;   in Loop: Header=BB4_124 Depth=2
	s_or_b64 exec, exec, s[60:61]
.LBB4_251:                              ;   in Loop: Header=BB4_124 Depth=2
	s_or_b64 exec, exec, s[24:25]
	v_cmp_lt_u32_e32 vcc, s49, v18
	s_and_saveexec_b64 s[24:25], vcc
	s_cbranch_execz .LBB4_257
; %bb.252:                              ;   in Loop: Header=BB4_124 Depth=2
	v_cmp_ne_u32_e32 vcc, s75, v2
	v_bfrev_b32_e32 v3, 1
	s_and_saveexec_b64 s[60:61], vcc
	s_cbranch_execz .LBB4_256
; %bb.253:                              ;   in Loop: Header=BB4_124 Depth=2
	v_bfe_u32 v4, v18, 24, 7
	v_cmp_ne_u32_e32 vcc, s76, v4
	v_mov_b32_e32 v3, 0x7f800001
	s_and_saveexec_b64 s[62:63], vcc
	s_cbranch_execz .LBB4_255
; %bb.254:                              ;   in Loop: Header=BB4_124 Depth=2
	v_and_b32_e32 v3, 7, v2
	v_ffbh_u32_e32 v6, v3
	v_min_u32_e32 v8, 32, v6
	v_subrev_u32_e32 v6, 28, v8
	v_lshlrev_b64 v[6:7], v6, v[2:3]
	v_lshrrev_b32_e32 v5, 3, v4
	v_sub_u32_e32 v7, 29, v8
	v_and_b32_e32 v6, 7, v6
	v_cmp_gt_u32_e32 vcc, 8, v4
	v_cndmask_b32_e32 v4, v5, v7, vcc
	v_cndmask_b32_e32 v3, v3, v6, vcc
	v_lshlrev_b32_e32 v5, 24, v2
	v_lshlrev_b32_e32 v3, 20, v3
	v_and_b32_e32 v5, 0x80000000, v5
	v_lshl_add_u32 v4, v4, 23, v0
	v_or3_b32 v3, v5, v4, v3
.LBB4_255:                              ;   in Loop: Header=BB4_124 Depth=2
	s_or_b64 exec, exec, s[62:63]
.LBB4_256:                              ;   in Loop: Header=BB4_124 Depth=2
	s_or_b64 exec, exec, s[60:61]
.LBB4_257:                              ;   in Loop: Header=BB4_124 Depth=2
	s_or_b64 exec, exec, s[24:25]
	v_max_f32_e32 v3, v3, v3
	v_max_f32_e32 v1, v1, v1
	v_max_f32_e32 v3, v1, v3
	s_branch .LBB4_272
.LBB4_258:                              ;   in Loop: Header=BB4_124 Depth=2
                                        ; implicit-def: $vgpr3
	s_cbranch_execz .LBB4_272
; %bb.259:                              ;   in Loop: Header=BB4_124 Depth=2
	v_mov_b32_e32 v3, 0
	v_mov_b32_e32 v1, 0
	s_and_saveexec_b64 s[24:25], s[22:23]
	s_cbranch_execz .LBB4_265
; %bb.260:                              ;   in Loop: Header=BB4_124 Depth=2
	v_cmp_ne_u32_e32 vcc, s75, v28
	v_bfrev_b32_e32 v1, 1
	s_and_saveexec_b64 s[22:23], vcc
	s_cbranch_execz .LBB4_264
; %bb.261:                              ;   in Loop: Header=BB4_124 Depth=2
	v_bfe_u32 v4, v22, 24, 7
	v_cmp_ne_u32_e32 vcc, s76, v4
	v_mov_b32_e32 v1, 0x7f800001
	s_and_saveexec_b64 s[60:61], vcc
	s_cbranch_execz .LBB4_263
; %bb.262:                              ;   in Loop: Header=BB4_124 Depth=2
	v_and_b32_e32 v1, 7, v28
	v_ffbh_u32_e32 v6, v1
	v_min_u32_e32 v8, 32, v6
	v_subrev_u32_e32 v6, 28, v8
	v_lshlrev_b64 v[6:7], v6, v[28:29]
	v_lshrrev_b32_e32 v5, 3, v4
	v_sub_u32_e32 v7, 29, v8
	v_and_b32_e32 v6, 7, v6
	v_cmp_gt_u32_e32 vcc, 8, v4
	v_cndmask_b32_e32 v4, v5, v7, vcc
	v_cndmask_b32_e32 v1, v1, v6, vcc
	v_lshlrev_b32_e32 v5, 24, v28
	v_lshlrev_b32_e32 v1, 20, v1
	v_and_b32_e32 v5, 0x80000000, v5
	v_lshl_add_u32 v4, v4, 23, v0
	v_or3_b32 v1, v5, v4, v1
.LBB4_263:                              ;   in Loop: Header=BB4_124 Depth=2
	s_or_b64 exec, exec, s[60:61]
.LBB4_264:                              ;   in Loop: Header=BB4_124 Depth=2
	s_or_b64 exec, exec, s[22:23]
.LBB4_265:                              ;   in Loop: Header=BB4_124 Depth=2
	s_or_b64 exec, exec, s[24:25]
	v_cmp_lt_u32_e32 vcc, s49, v18
	s_and_saveexec_b64 s[22:23], vcc
	s_cbranch_execz .LBB4_271
; %bb.266:                              ;   in Loop: Header=BB4_124 Depth=2
	v_cmp_ne_u32_e32 vcc, s75, v2
	v_bfrev_b32_e32 v3, 1
	s_and_saveexec_b64 s[24:25], vcc
	s_cbranch_execz .LBB4_270
; %bb.267:                              ;   in Loop: Header=BB4_124 Depth=2
	v_bfe_u32 v4, v18, 24, 7
	v_cmp_ne_u32_e32 vcc, s76, v4
	v_mov_b32_e32 v3, 0x7f800001
	s_and_saveexec_b64 s[60:61], vcc
	s_cbranch_execz .LBB4_269
; %bb.268:                              ;   in Loop: Header=BB4_124 Depth=2
	v_and_b32_e32 v3, 7, v2
	v_ffbh_u32_e32 v6, v3
	v_min_u32_e32 v8, 32, v6
	v_subrev_u32_e32 v6, 28, v8
	v_lshlrev_b64 v[6:7], v6, v[2:3]
	v_lshrrev_b32_e32 v5, 3, v4
	v_sub_u32_e32 v7, 29, v8
	v_and_b32_e32 v6, 7, v6
	v_cmp_gt_u32_e32 vcc, 8, v4
	v_cndmask_b32_e32 v4, v5, v7, vcc
	v_cndmask_b32_e32 v3, v3, v6, vcc
	v_lshlrev_b32_e32 v2, 24, v2
	v_lshlrev_b32_e32 v3, 20, v3
	v_and_b32_e32 v2, 0x80000000, v2
	v_lshl_add_u32 v4, v4, 23, v0
	v_or3_b32 v3, v2, v4, v3
.LBB4_269:                              ;   in Loop: Header=BB4_124 Depth=2
	s_or_b64 exec, exec, s[60:61]
.LBB4_270:                              ;   in Loop: Header=BB4_124 Depth=2
	s_or_b64 exec, exec, s[24:25]
.LBB4_271:                              ;   in Loop: Header=BB4_124 Depth=2
	s_or_b64 exec, exec, s[22:23]
	v_max_f32_e32 v2, v3, v3
	v_max_f32_e32 v1, v1, v1
	v_min_f32_e32 v3, v1, v2
.LBB4_272:                              ;   in Loop: Header=BB4_124 Depth=2
	v_and_b32_sdwa v1, v3, s75 dst_sel:DWORD dst_unused:UNUSED_PAD src0_sel:BYTE_3 src1_sel:DWORD
	v_and_b32_e32 v4, 0x7f800000, v3
	v_mov_b32_e32 v5, v55
	v_accvgpr_write_b32 a26, v42
	v_and_b32_e32 v54, 0x7fffff, v3
	v_or_b32_e32 v42, 0x7e, v1
	v_cmp_ne_u64_e32 vcc, s[44:45], v[4:5]
	s_and_saveexec_b64 s[22:23], vcc
	s_xor_b64 s[24:25], exec, s[22:23]
	s_cbranch_execz .LBB4_282
; %bb.273:                              ;   in Loop: Header=BB4_124 Depth=2
	v_and_b32_e32 v4, 0x7fffffff, v3
	v_mov_b32_e32 v5, v55
	v_cmp_gt_u64_e32 vcc, s[46:47], v[4:5]
	s_and_saveexec_b64 s[60:61], vcc
	s_cbranch_execz .LBB4_281
; %bb.274:                              ;   in Loop: Header=BB4_124 Depth=2
	v_cmp_ne_u32_e32 vcc, 0, v3
	v_mov_b32_e32 v42, 0
	s_and_saveexec_b64 s[62:63], vcc
	s_cbranch_execz .LBB4_280
; %bb.275:                              ;   in Loop: Header=BB4_124 Depth=2
	v_bfe_u32 v2, v3, 23, 8
	v_sub_u32_e32 v4, 0x79, v2
	v_cmp_gt_u32_e32 vcc, s78, v2
	v_add_u32_e32 v3, 0xffffff81, v2
	v_cndmask_b32_e32 v4, 0, v4, vcc
	v_cmp_eq_u32_e32 vcc, 0, v2
	v_mov_b32_e32 v2, 0xffffff82
	v_cndmask_b32_e32 v26, v3, v2, vcc
	v_mov_b32_e32 v2, 0x78
	v_or_b32_e32 v5, 0x800000, v54
	v_cndmask_b32_e32 v4, v4, v2, vcc
	v_cndmask_b32_e32 v54, v5, v54, vcc
	v_add_u32_e32 v2, 20, v4
	v_lshlrev_b64 v[2:3], v2, -1
	v_add_u32_e32 v5, 19, v4
	v_lshrrev_b64 v[8:9], v4, v[54:55]
	v_not_b32_e32 v3, v3
	v_not_b32_e32 v2, v2
	v_lshlrev_b64 v[6:7], v5, 1
	v_lshrrev_b32_e32 v5, 23, v8
	v_and_b32_e32 v3, 0, v3
	v_and_b32_e32 v2, v54, v2
	v_add3_u32 v4, v4, v26, v5
	v_bfe_u32 v5, v8, 20, 1
	v_add_u32_e32 v5, -1, v5
	v_cmp_eq_u64_e32 vcc, v[2:3], v[6:7]
	v_cndmask_b32_e32 v2, 0, v5, vcc
	v_add_u32_e32 v2, v2, v8
	v_and_b32_e32 v2, 0xfffff, v2
	v_add_co_u32_e32 v2, vcc, v2, v8
	v_add_u32_e32 v27, 6, v4
	v_addc_co_u32_e32 v3, vcc, 0, v9, vcc
	v_cmp_ne_u32_e32 vcc, 0, v27
                                        ; implicit-def: $vgpr26
	s_and_saveexec_b64 s[22:23], vcc
	s_xor_b64 s[22:23], exec, s[22:23]
; %bb.276:                              ;   in Loop: Header=BB4_124 Depth=2
	v_add_u32_e32 v4, 7, v4
	v_cmp_lt_u64_e32 vcc, s[50:51], v[2:3]
	v_cndmask_b32_e32 v26, v27, v4, vcc
	v_cndmask_b32_e64 v4, 0, 1, vcc
	v_lshrrev_b64 v[2:3], v4, v[2:3]
; %bb.277:                              ;   in Loop: Header=BB4_124 Depth=2
	s_andn2_saveexec_b64 s[22:23], s[22:23]
; %bb.278:                              ;   in Loop: Header=BB4_124 Depth=2
	v_bfe_u32 v26, v2, 23, 1
; %bb.279:                              ;   in Loop: Header=BB4_124 Depth=2
	s_or_b64 exec, exec, s[22:23]
	v_lshrrev_b64 v[2:3], 20, v[2:3]
	v_cmp_gt_i32_e32 vcc, 16, v26
	v_cndmask_b32_e32 v3, 0, v3, vcc
	v_cndmask_b32_e32 v2, 7, v2, vcc
	v_cmp_eq_u64_e64 s[22:23], 0, v[2:3]
	v_min_i32_e32 v3, 15, v26
	v_cmp_eq_u32_e32 vcc, 0, v26
	v_lshlrev_b32_e32 v3, 3, v3
	v_and_or_b32 v2, v2, 7, v3
	s_and_b64 s[22:23], vcc, s[22:23]
	v_cndmask_b32_e64 v2, v2, 0, s[22:23]
	v_or_b32_e32 v42, v2, v1
.LBB4_280:                              ;   in Loop: Header=BB4_124 Depth=2
	s_or_b64 exec, exec, s[62:63]
.LBB4_281:                              ;   in Loop: Header=BB4_124 Depth=2
	s_or_b64 exec, exec, s[60:61]
                                        ; implicit-def: $vgpr3
.LBB4_282:                              ;   in Loop: Header=BB4_124 Depth=2
	s_andn2_saveexec_b64 s[22:23], s[24:25]
; %bb.283:                              ;   in Loop: Header=BB4_124 Depth=2
	v_or_b32_sdwa v1, v3, s76 dst_sel:DWORD dst_unused:UNUSED_PAD src0_sel:BYTE_3 src1_sel:DWORD
	v_cmp_eq_u64_e32 vcc, 0, v[54:55]
	v_cndmask_b32_e32 v42, v1, v42, vcc
; %bb.284:                              ;   in Loop: Header=BB4_124 Depth=2
	s_or_b64 exec, exec, s[22:23]
	v_mov_b32_e32 v54, v23
	v_mov_b32_e32 v2, v19
	v_mov_b32_e32 v3, v55
	v_cmp_ne_u16_sdwa s[22:23], v23, v55 src0_sel:BYTE_0 src1_sel:DWORD
	s_and_b64 vcc, exec, s[58:59]
	s_cbranch_vccz .LBB4_298
; %bb.285:                              ;   in Loop: Header=BB4_124 Depth=2
	v_mov_b32_e32 v26, 0
	v_mov_b32_e32 v1, 0
	s_and_saveexec_b64 s[24:25], s[22:23]
	s_cbranch_execz .LBB4_291
; %bb.286:                              ;   in Loop: Header=BB4_124 Depth=2
	v_cmp_ne_u16_sdwa vcc, v23, s75 src0_sel:BYTE_0 src1_sel:DWORD
	v_bfrev_b32_e32 v1, 1
	s_and_saveexec_b64 s[60:61], vcc
	s_cbranch_execz .LBB4_290
; %bb.287:                              ;   in Loop: Header=BB4_124 Depth=2
	v_and_b32_e32 v4, 0x7f, v23
	v_cmp_ne_u32_e32 vcc, s76, v4
	v_mov_b32_e32 v1, 0x7f800001
	s_and_saveexec_b64 s[62:63], vcc
	s_cbranch_execz .LBB4_289
; %bb.288:                              ;   in Loop: Header=BB4_124 Depth=2
	v_and_b32_e32 v1, 7, v23
	v_ffbh_u32_e32 v1, v1
	v_min_u32_e32 v1, 32, v1
	v_subrev_u32_e32 v6, 28, v1
	v_cmp_gt_u32_e32 vcc, 8, v4
	v_lshrrev_b32_e32 v5, 3, v4
	v_sub_u32_e32 v1, 29, v1
	v_cndmask_b32_e32 v4, 0, v6, vcc
	v_cndmask_b32_e32 v1, v5, v1, vcc
	v_lshlrev_b64 v[4:5], v4, v[54:55]
	v_lshlrev_b32_e32 v4, 20, v4
	v_lshlrev_b32_e32 v5, 24, v54
	v_and_b32_e32 v4, 0x700000, v4
	v_and_b32_e32 v5, 0x80000000, v5
	v_lshl_add_u32 v1, v1, 23, v0
	v_or3_b32 v1, v5, v1, v4
.LBB4_289:                              ;   in Loop: Header=BB4_124 Depth=2
	s_or_b64 exec, exec, s[62:63]
.LBB4_290:                              ;   in Loop: Header=BB4_124 Depth=2
	s_or_b64 exec, exec, s[60:61]
.LBB4_291:                              ;   in Loop: Header=BB4_124 Depth=2
	s_or_b64 exec, exec, s[24:25]
	v_cmp_ne_u16_sdwa vcc, v19, v55 src0_sel:BYTE_0 src1_sel:DWORD
	s_and_saveexec_b64 s[24:25], vcc
	s_cbranch_execz .LBB4_297
; %bb.292:                              ;   in Loop: Header=BB4_124 Depth=2
	v_cmp_ne_u16_sdwa vcc, v19, s75 src0_sel:BYTE_0 src1_sel:DWORD
	v_bfrev_b32_e32 v26, 1
	s_and_saveexec_b64 s[60:61], vcc
	s_cbranch_execz .LBB4_296
; %bb.293:                              ;   in Loop: Header=BB4_124 Depth=2
	v_and_b32_e32 v4, 0x7f, v19
	v_cmp_ne_u32_e32 vcc, s76, v4
	v_mov_b32_e32 v26, 0x7f800001
	s_and_saveexec_b64 s[62:63], vcc
	s_cbranch_execz .LBB4_295
; %bb.294:                              ;   in Loop: Header=BB4_124 Depth=2
	v_and_b32_e32 v5, 7, v19
	v_ffbh_u32_e32 v5, v5
	v_min_u32_e32 v5, 32, v5
	v_subrev_u32_e32 v7, 28, v5
	v_cmp_gt_u32_e32 vcc, 8, v4
	v_lshrrev_b32_e32 v6, 3, v4
	v_sub_u32_e32 v5, 29, v5
	v_cndmask_b32_e32 v4, 0, v7, vcc
	v_cndmask_b32_e32 v6, v6, v5, vcc
	v_lshlrev_b64 v[4:5], v4, v[2:3]
	v_lshlrev_b32_e32 v4, 20, v4
	v_lshlrev_b32_e32 v5, 24, v2
	v_and_b32_e32 v4, 0x700000, v4
	v_and_b32_e32 v5, 0x80000000, v5
	v_lshl_add_u32 v6, v6, 23, v0
	v_or3_b32 v26, v5, v6, v4
.LBB4_295:                              ;   in Loop: Header=BB4_124 Depth=2
	s_or_b64 exec, exec, s[62:63]
.LBB4_296:                              ;   in Loop: Header=BB4_124 Depth=2
	s_or_b64 exec, exec, s[60:61]
.LBB4_297:                              ;   in Loop: Header=BB4_124 Depth=2
	s_or_b64 exec, exec, s[24:25]
	v_max_f32_e32 v4, v26, v26
	v_max_f32_e32 v1, v1, v1
	;; [unrolled: 1-line block ×3, first 2 shown]
	s_branch .LBB4_312
.LBB4_298:                              ;   in Loop: Header=BB4_124 Depth=2
                                        ; implicit-def: $vgpr26
	s_cbranch_execz .LBB4_312
; %bb.299:                              ;   in Loop: Header=BB4_124 Depth=2
	v_mov_b32_e32 v26, 0
	v_mov_b32_e32 v1, 0
	s_and_saveexec_b64 s[24:25], s[22:23]
	s_cbranch_execz .LBB4_305
; %bb.300:                              ;   in Loop: Header=BB4_124 Depth=2
	v_cmp_ne_u16_sdwa vcc, v23, s75 src0_sel:BYTE_0 src1_sel:DWORD
	v_bfrev_b32_e32 v1, 1
	s_and_saveexec_b64 s[22:23], vcc
	s_cbranch_execz .LBB4_304
; %bb.301:                              ;   in Loop: Header=BB4_124 Depth=2
	v_and_b32_e32 v4, 0x7f, v23
	v_cmp_ne_u32_e32 vcc, s76, v4
	v_mov_b32_e32 v1, 0x7f800001
	s_and_saveexec_b64 s[60:61], vcc
	s_cbranch_execz .LBB4_303
; %bb.302:                              ;   in Loop: Header=BB4_124 Depth=2
	v_and_b32_e32 v1, 7, v23
	v_ffbh_u32_e32 v1, v1
	v_min_u32_e32 v1, 32, v1
	v_subrev_u32_e32 v6, 28, v1
	v_cmp_gt_u32_e32 vcc, 8, v4
	v_lshrrev_b32_e32 v5, 3, v4
	v_sub_u32_e32 v1, 29, v1
	v_cndmask_b32_e32 v4, 0, v6, vcc
	v_cndmask_b32_e32 v1, v5, v1, vcc
	v_lshlrev_b64 v[4:5], v4, v[54:55]
	v_lshlrev_b32_e32 v4, 20, v4
	v_lshlrev_b32_e32 v5, 24, v54
	v_and_b32_e32 v4, 0x700000, v4
	v_and_b32_e32 v5, 0x80000000, v5
	v_lshl_add_u32 v1, v1, 23, v0
	v_or3_b32 v1, v5, v1, v4
.LBB4_303:                              ;   in Loop: Header=BB4_124 Depth=2
	s_or_b64 exec, exec, s[60:61]
.LBB4_304:                              ;   in Loop: Header=BB4_124 Depth=2
	s_or_b64 exec, exec, s[22:23]
.LBB4_305:                              ;   in Loop: Header=BB4_124 Depth=2
	s_or_b64 exec, exec, s[24:25]
	v_cmp_ne_u16_sdwa s[24:25], v19, v55 src0_sel:BYTE_0 src1_sel:DWORD
	s_and_saveexec_b64 s[22:23], s[24:25]
	s_cbranch_execz .LBB4_311
; %bb.306:                              ;   in Loop: Header=BB4_124 Depth=2
	v_cmp_ne_u16_sdwa vcc, v19, s75 src0_sel:BYTE_0 src1_sel:DWORD
	v_bfrev_b32_e32 v26, 1
	s_and_saveexec_b64 s[24:25], vcc
	s_cbranch_execz .LBB4_310
; %bb.307:                              ;   in Loop: Header=BB4_124 Depth=2
	v_and_b32_e32 v4, 0x7f, v19
	v_cmp_ne_u32_e32 vcc, s76, v4
	v_mov_b32_e32 v26, 0x7f800001
	s_and_saveexec_b64 s[60:61], vcc
	s_cbranch_execz .LBB4_309
; %bb.308:                              ;   in Loop: Header=BB4_124 Depth=2
	v_and_b32_e32 v5, 7, v19
	v_ffbh_u32_e32 v5, v5
	v_min_u32_e32 v5, 32, v5
	v_subrev_u32_e32 v7, 28, v5
	v_cmp_gt_u32_e32 vcc, 8, v4
	v_lshrrev_b32_e32 v6, 3, v4
	v_sub_u32_e32 v5, 29, v5
	v_cndmask_b32_e32 v4, 0, v7, vcc
	v_cndmask_b32_e32 v6, v6, v5, vcc
	v_lshlrev_b64 v[4:5], v4, v[2:3]
	v_lshlrev_b32_e32 v3, 20, v4
	v_lshlrev_b32_e32 v4, 24, v2
	v_and_b32_e32 v3, 0x700000, v3
	v_and_b32_e32 v4, 0x80000000, v4
	v_lshl_add_u32 v5, v6, 23, v0
	v_or3_b32 v26, v4, v5, v3
.LBB4_309:                              ;   in Loop: Header=BB4_124 Depth=2
	s_or_b64 exec, exec, s[60:61]
.LBB4_310:                              ;   in Loop: Header=BB4_124 Depth=2
	s_or_b64 exec, exec, s[24:25]
.LBB4_311:                              ;   in Loop: Header=BB4_124 Depth=2
	s_or_b64 exec, exec, s[22:23]
	v_max_f32_e32 v3, v26, v26
	v_max_f32_e32 v1, v1, v1
	v_min_f32_e32 v26, v1, v3
.LBB4_312:                              ;   in Loop: Header=BB4_124 Depth=2
	v_and_b32_sdwa v1, v26, s75 dst_sel:DWORD dst_unused:UNUSED_PAD src0_sel:BYTE_3 src1_sel:DWORD
	v_and_b32_e32 v4, 0x7f800000, v26
	v_mov_b32_e32 v5, v55
	v_and_b32_e32 v30, 0x7fffff, v26
	v_mov_b32_e32 v31, v55
	v_or_b32_e32 v50, 0x7e, v1
	v_cmp_ne_u64_e32 vcc, s[44:45], v[4:5]
	s_and_saveexec_b64 s[22:23], vcc
	s_xor_b64 s[24:25], exec, s[22:23]
	s_cbranch_execz .LBB4_322
; %bb.313:                              ;   in Loop: Header=BB4_124 Depth=2
	v_and_b32_e32 v4, 0x7fffffff, v26
	v_mov_b32_e32 v5, v55
	v_cmp_gt_u64_e32 vcc, s[46:47], v[4:5]
	s_and_saveexec_b64 s[60:61], vcc
	s_cbranch_execz .LBB4_321
; %bb.314:                              ;   in Loop: Header=BB4_124 Depth=2
	v_cmp_ne_u32_e32 vcc, 0, v26
	v_mov_b32_e32 v50, 0
	s_and_saveexec_b64 s[62:63], vcc
	s_cbranch_execz .LBB4_320
; %bb.315:                              ;   in Loop: Header=BB4_124 Depth=2
	v_bfe_u32 v3, v26, 23, 8
	v_sub_u32_e32 v5, 0x79, v3
	v_cmp_gt_u32_e32 vcc, s78, v3
	v_add_u32_e32 v4, 0xffffff81, v3
	v_cndmask_b32_e32 v5, 0, v5, vcc
	v_cmp_eq_u32_e32 vcc, 0, v3
	v_mov_b32_e32 v3, 0xffffff82
	v_cndmask_b32_e32 v3, v4, v3, vcc
	v_mov_b32_e32 v4, 0x78
	v_cndmask_b32_e32 v26, v5, v4, vcc
	v_add_u32_e32 v4, 20, v26
	v_or_b32_e32 v6, 0x800000, v30
	v_lshlrev_b64 v[4:5], v4, -1
	v_cndmask_b32_e32 v30, v6, v30, vcc
	v_not_b32_e32 v4, v4
	v_and_b32_e32 v6, v30, v4
	v_add_u32_e32 v4, 19, v26
	v_lshrrev_b64 v[28:29], v26, v[30:31]
	v_not_b32_e32 v5, v5
	v_lshlrev_b64 v[8:9], v4, 1
	v_lshrrev_b32_e32 v4, 23, v28
	v_and_b32_e32 v7, 0, v5
	v_add3_u32 v4, v26, v3, v4
	v_bfe_u32 v3, v28, 20, 1
	v_add_u32_e32 v3, -1, v3
	v_cmp_eq_u64_e32 vcc, v[6:7], v[8:9]
	v_cndmask_b32_e32 v3, 0, v3, vcc
	v_add_u32_e32 v3, v3, v28
	v_and_b32_e32 v3, 0xfffff, v3
	v_add_co_u32_e32 v30, vcc, v3, v28
	v_add_u32_e32 v26, 6, v4
	v_addc_co_u32_e32 v31, vcc, 0, v29, vcc
	v_cmp_ne_u32_e32 vcc, 0, v26
                                        ; implicit-def: $vgpr3
	s_and_saveexec_b64 s[22:23], vcc
	s_xor_b64 s[22:23], exec, s[22:23]
; %bb.316:                              ;   in Loop: Header=BB4_124 Depth=2
	v_cmp_lt_u64_e32 vcc, s[50:51], v[30:31]
	v_add_u32_e32 v3, 7, v4
	v_cndmask_b32_e64 v4, 0, 1, vcc
	v_cndmask_b32_e32 v3, v26, v3, vcc
	v_lshrrev_b64 v[30:31], v4, v[30:31]
; %bb.317:                              ;   in Loop: Header=BB4_124 Depth=2
	s_andn2_saveexec_b64 s[22:23], s[22:23]
; %bb.318:                              ;   in Loop: Header=BB4_124 Depth=2
	v_bfe_u32 v3, v30, 23, 1
; %bb.319:                              ;   in Loop: Header=BB4_124 Depth=2
	s_or_b64 exec, exec, s[22:23]
	v_lshrrev_b64 v[4:5], 20, v[30:31]
	v_cmp_gt_i32_e32 vcc, 16, v3
	v_cndmask_b32_e32 v5, 0, v5, vcc
	v_cndmask_b32_e32 v4, 7, v4, vcc
	v_cmp_eq_u32_e32 vcc, 0, v3
	v_min_i32_e32 v3, 15, v3
	v_cmp_eq_u64_e64 s[22:23], 0, v[4:5]
	v_lshlrev_b32_e32 v3, 3, v3
	v_and_or_b32 v3, v4, 7, v3
	s_and_b64 s[22:23], vcc, s[22:23]
	v_cndmask_b32_e64 v3, v3, 0, s[22:23]
	v_or_b32_e32 v50, v3, v1
.LBB4_320:                              ;   in Loop: Header=BB4_124 Depth=2
	s_or_b64 exec, exec, s[62:63]
.LBB4_321:                              ;   in Loop: Header=BB4_124 Depth=2
	s_or_b64 exec, exec, s[60:61]
                                        ; implicit-def: $vgpr26
                                        ; implicit-def: $vgpr30_vgpr31
.LBB4_322:                              ;   in Loop: Header=BB4_124 Depth=2
	s_andn2_saveexec_b64 s[22:23], s[24:25]
; %bb.323:                              ;   in Loop: Header=BB4_124 Depth=2
	v_or_b32_sdwa v1, v26, s76 dst_sel:DWORD dst_unused:UNUSED_PAD src0_sel:BYTE_3 src1_sel:DWORD
	v_cmp_eq_u64_e32 vcc, 0, v[30:31]
	v_cndmask_b32_e32 v50, v1, v50, vcc
; %bb.324:                              ;   in Loop: Header=BB4_124 Depth=2
	s_or_b64 exec, exec, s[22:23]
	v_lshrrev_b16_e32 v30, 8, v54
	v_lshrrev_b16_e32 v28, 8, v2
	v_cmp_ne_u16_e64 s[22:23], 0, v30
	s_and_b64 vcc, exec, s[58:59]
	s_cbranch_vccz .LBB4_338
; %bb.325:                              ;   in Loop: Header=BB4_124 Depth=2
	v_mov_b32_e32 v3, 0
	v_mov_b32_e32 v1, 0
	s_and_saveexec_b64 s[24:25], s[22:23]
	s_cbranch_execz .LBB4_331
; %bb.326:                              ;   in Loop: Header=BB4_124 Depth=2
	v_cmp_ne_u16_e32 vcc, s75, v30
	v_bfrev_b32_e32 v1, 1
	s_and_saveexec_b64 s[60:61], vcc
	s_cbranch_execz .LBB4_330
; %bb.327:                              ;   in Loop: Header=BB4_124 Depth=2
	v_and_b32_e32 v4, 0x7f, v30
	v_cmp_ne_u32_e32 vcc, s76, v4
	v_mov_b32_e32 v1, 0x7f800001
	s_and_saveexec_b64 s[62:63], vcc
	s_cbranch_execz .LBB4_329
; %bb.328:                              ;   in Loop: Header=BB4_124 Depth=2
	v_and_b32_e32 v1, 7, v30
	v_ffbh_u32_e32 v6, v1
	v_min_u32_e32 v8, 32, v6
	v_subrev_u32_e32 v6, 28, v8
	v_lshlrev_b64 v[6:7], v6, v[30:31]
	v_lshrrev_b32_e32 v5, 3, v4
	v_sub_u32_e32 v7, 29, v8
	v_and_b32_e32 v6, 7, v6
	v_cmp_gt_u32_e32 vcc, 8, v4
	v_cndmask_b32_e32 v4, v5, v7, vcc
	v_cndmask_b32_e32 v1, v1, v6, vcc
	v_lshlrev_b32_e32 v5, 16, v54
	v_lshlrev_b32_e32 v1, 20, v1
	v_and_b32_e32 v5, 0x80000000, v5
	v_lshl_add_u32 v4, v4, 23, v0
	v_or3_b32 v1, v5, v4, v1
.LBB4_329:                              ;   in Loop: Header=BB4_124 Depth=2
	s_or_b64 exec, exec, s[62:63]
.LBB4_330:                              ;   in Loop: Header=BB4_124 Depth=2
	s_or_b64 exec, exec, s[60:61]
.LBB4_331:                              ;   in Loop: Header=BB4_124 Depth=2
	s_or_b64 exec, exec, s[24:25]
	v_cmp_ne_u16_e32 vcc, 0, v28
	s_and_saveexec_b64 s[24:25], vcc
	s_cbranch_execz .LBB4_337
; %bb.332:                              ;   in Loop: Header=BB4_124 Depth=2
	v_cmp_ne_u16_e32 vcc, s75, v28
	v_bfrev_b32_e32 v3, 1
	s_and_saveexec_b64 s[60:61], vcc
	s_cbranch_execz .LBB4_336
; %bb.333:                              ;   in Loop: Header=BB4_124 Depth=2
	v_and_b32_e32 v4, 0x7f, v28
	v_cmp_ne_u32_e32 vcc, s76, v4
	v_mov_b32_e32 v3, 0x7f800001
	s_and_saveexec_b64 s[62:63], vcc
	s_cbranch_execz .LBB4_335
; %bb.334:                              ;   in Loop: Header=BB4_124 Depth=2
	v_and_b32_e32 v3, 7, v28
	v_ffbh_u32_e32 v6, v3
	v_min_u32_e32 v8, 32, v6
	v_subrev_u32_e32 v6, 28, v8
	v_lshlrev_b64 v[6:7], v6, v[28:29]
	v_lshrrev_b32_e32 v5, 3, v4
	v_sub_u32_e32 v7, 29, v8
	v_and_b32_e32 v6, 7, v6
	v_cmp_gt_u32_e32 vcc, 8, v4
	v_cndmask_b32_e32 v4, v5, v7, vcc
	v_cndmask_b32_e32 v3, v3, v6, vcc
	v_lshlrev_b32_e32 v5, 16, v2
	v_lshlrev_b32_e32 v3, 20, v3
	v_and_b32_e32 v5, 0x80000000, v5
	v_lshl_add_u32 v4, v4, 23, v0
	v_or3_b32 v3, v5, v4, v3
.LBB4_335:                              ;   in Loop: Header=BB4_124 Depth=2
	s_or_b64 exec, exec, s[62:63]
.LBB4_336:                              ;   in Loop: Header=BB4_124 Depth=2
	s_or_b64 exec, exec, s[60:61]
.LBB4_337:                              ;   in Loop: Header=BB4_124 Depth=2
	s_or_b64 exec, exec, s[24:25]
	v_max_f32_e32 v3, v3, v3
	v_max_f32_e32 v1, v1, v1
	;; [unrolled: 1-line block ×3, first 2 shown]
	s_branch .LBB4_352
.LBB4_338:                              ;   in Loop: Header=BB4_124 Depth=2
                                        ; implicit-def: $vgpr3
	s_cbranch_execz .LBB4_352
; %bb.339:                              ;   in Loop: Header=BB4_124 Depth=2
	v_mov_b32_e32 v3, 0
	v_mov_b32_e32 v1, 0
	s_and_saveexec_b64 s[24:25], s[22:23]
	s_cbranch_execz .LBB4_345
; %bb.340:                              ;   in Loop: Header=BB4_124 Depth=2
	v_cmp_ne_u16_e32 vcc, s75, v30
	v_bfrev_b32_e32 v1, 1
	s_and_saveexec_b64 s[22:23], vcc
	s_cbranch_execz .LBB4_344
; %bb.341:                              ;   in Loop: Header=BB4_124 Depth=2
	v_and_b32_e32 v4, 0x7f, v30
	v_cmp_ne_u32_e32 vcc, s76, v4
	v_mov_b32_e32 v1, 0x7f800001
	s_and_saveexec_b64 s[60:61], vcc
	s_cbranch_execz .LBB4_343
; %bb.342:                              ;   in Loop: Header=BB4_124 Depth=2
	v_and_b32_e32 v1, 7, v30
	v_ffbh_u32_e32 v6, v1
	v_min_u32_e32 v8, 32, v6
	v_subrev_u32_e32 v6, 28, v8
	v_lshlrev_b64 v[6:7], v6, v[30:31]
	v_lshrrev_b32_e32 v5, 3, v4
	v_sub_u32_e32 v7, 29, v8
	v_and_b32_e32 v6, 7, v6
	v_cmp_gt_u32_e32 vcc, 8, v4
	v_cndmask_b32_e32 v4, v5, v7, vcc
	v_cndmask_b32_e32 v1, v1, v6, vcc
	v_lshlrev_b32_e32 v5, 16, v54
	v_lshlrev_b32_e32 v1, 20, v1
	v_and_b32_e32 v5, 0x80000000, v5
	v_lshl_add_u32 v4, v4, 23, v0
	v_or3_b32 v1, v5, v4, v1
.LBB4_343:                              ;   in Loop: Header=BB4_124 Depth=2
	s_or_b64 exec, exec, s[60:61]
.LBB4_344:                              ;   in Loop: Header=BB4_124 Depth=2
	s_or_b64 exec, exec, s[22:23]
.LBB4_345:                              ;   in Loop: Header=BB4_124 Depth=2
	s_or_b64 exec, exec, s[24:25]
	v_cmp_ne_u16_e32 vcc, 0, v28
	s_and_saveexec_b64 s[22:23], vcc
	s_cbranch_execz .LBB4_351
; %bb.346:                              ;   in Loop: Header=BB4_124 Depth=2
	v_cmp_ne_u16_e32 vcc, s75, v28
	v_bfrev_b32_e32 v3, 1
	s_and_saveexec_b64 s[24:25], vcc
	s_cbranch_execz .LBB4_350
; %bb.347:                              ;   in Loop: Header=BB4_124 Depth=2
	v_and_b32_e32 v4, 0x7f, v28
	v_cmp_ne_u32_e32 vcc, s76, v4
	v_mov_b32_e32 v3, 0x7f800001
	s_and_saveexec_b64 s[60:61], vcc
	s_cbranch_execz .LBB4_349
; %bb.348:                              ;   in Loop: Header=BB4_124 Depth=2
	v_and_b32_e32 v3, 7, v28
	v_ffbh_u32_e32 v6, v3
	v_min_u32_e32 v8, 32, v6
	v_subrev_u32_e32 v6, 28, v8
	v_lshlrev_b64 v[6:7], v6, v[28:29]
	v_lshrrev_b32_e32 v5, 3, v4
	v_sub_u32_e32 v7, 29, v8
	v_and_b32_e32 v6, 7, v6
	v_cmp_gt_u32_e32 vcc, 8, v4
	v_cndmask_b32_e32 v4, v5, v7, vcc
	v_cndmask_b32_e32 v3, v3, v6, vcc
	v_lshlrev_b32_e32 v2, 16, v2
	v_lshlrev_b32_e32 v3, 20, v3
	v_and_b32_e32 v2, 0x80000000, v2
	v_lshl_add_u32 v4, v4, 23, v0
	v_or3_b32 v3, v2, v4, v3
.LBB4_349:                              ;   in Loop: Header=BB4_124 Depth=2
	s_or_b64 exec, exec, s[60:61]
.LBB4_350:                              ;   in Loop: Header=BB4_124 Depth=2
	s_or_b64 exec, exec, s[24:25]
.LBB4_351:                              ;   in Loop: Header=BB4_124 Depth=2
	s_or_b64 exec, exec, s[22:23]
	v_max_f32_e32 v2, v3, v3
	v_max_f32_e32 v1, v1, v1
	v_min_f32_e32 v3, v1, v2
.LBB4_352:                              ;   in Loop: Header=BB4_124 Depth=2
	v_and_b32_sdwa v1, v3, s75 dst_sel:DWORD dst_unused:UNUSED_PAD src0_sel:BYTE_3 src1_sel:DWORD
	v_and_b32_e32 v4, 0x7f800000, v3
	v_mov_b32_e32 v5, v55
	v_and_b32_e32 v54, 0x7fffff, v3
	v_or_b32_e32 v30, 0x7e, v1
	v_cmp_ne_u64_e32 vcc, s[44:45], v[4:5]
	s_and_saveexec_b64 s[22:23], vcc
	s_xor_b64 s[24:25], exec, s[22:23]
	s_cbranch_execz .LBB4_362
; %bb.353:                              ;   in Loop: Header=BB4_124 Depth=2
	v_and_b32_e32 v4, 0x7fffffff, v3
	v_mov_b32_e32 v5, v55
	v_cmp_gt_u64_e32 vcc, s[46:47], v[4:5]
	s_and_saveexec_b64 s[60:61], vcc
	s_cbranch_execz .LBB4_361
; %bb.354:                              ;   in Loop: Header=BB4_124 Depth=2
	v_cmp_ne_u32_e32 vcc, 0, v3
	v_mov_b32_e32 v30, 0
	s_and_saveexec_b64 s[62:63], vcc
	s_cbranch_execz .LBB4_360
; %bb.355:                              ;   in Loop: Header=BB4_124 Depth=2
	v_bfe_u32 v2, v3, 23, 8
	v_sub_u32_e32 v4, 0x79, v2
	v_cmp_gt_u32_e32 vcc, s78, v2
	v_add_u32_e32 v3, 0xffffff81, v2
	v_cndmask_b32_e32 v4, 0, v4, vcc
	v_cmp_eq_u32_e32 vcc, 0, v2
	v_mov_b32_e32 v2, 0xffffff82
	v_cndmask_b32_e32 v26, v3, v2, vcc
	v_mov_b32_e32 v2, 0x78
	v_or_b32_e32 v5, 0x800000, v54
	v_cndmask_b32_e32 v4, v4, v2, vcc
	v_cndmask_b32_e32 v54, v5, v54, vcc
	v_add_u32_e32 v2, 20, v4
	v_lshlrev_b64 v[2:3], v2, -1
	v_add_u32_e32 v5, 19, v4
	v_lshrrev_b64 v[8:9], v4, v[54:55]
	v_not_b32_e32 v3, v3
	v_not_b32_e32 v2, v2
	v_lshlrev_b64 v[6:7], v5, 1
	v_lshrrev_b32_e32 v5, 23, v8
	v_and_b32_e32 v3, 0, v3
	v_and_b32_e32 v2, v54, v2
	v_add3_u32 v4, v4, v26, v5
	v_bfe_u32 v5, v8, 20, 1
	v_add_u32_e32 v5, -1, v5
	v_cmp_eq_u64_e32 vcc, v[2:3], v[6:7]
	v_cndmask_b32_e32 v2, 0, v5, vcc
	v_add_u32_e32 v2, v2, v8
	v_and_b32_e32 v2, 0xfffff, v2
	v_add_co_u32_e32 v2, vcc, v2, v8
	v_add_u32_e32 v27, 6, v4
	v_addc_co_u32_e32 v3, vcc, 0, v9, vcc
	v_cmp_ne_u32_e32 vcc, 0, v27
                                        ; implicit-def: $vgpr26
	s_and_saveexec_b64 s[22:23], vcc
	s_xor_b64 s[22:23], exec, s[22:23]
; %bb.356:                              ;   in Loop: Header=BB4_124 Depth=2
	v_add_u32_e32 v4, 7, v4
	v_cmp_lt_u64_e32 vcc, s[50:51], v[2:3]
	v_cndmask_b32_e32 v26, v27, v4, vcc
	v_cndmask_b32_e64 v4, 0, 1, vcc
	v_lshrrev_b64 v[2:3], v4, v[2:3]
; %bb.357:                              ;   in Loop: Header=BB4_124 Depth=2
	s_andn2_saveexec_b64 s[22:23], s[22:23]
; %bb.358:                              ;   in Loop: Header=BB4_124 Depth=2
	v_bfe_u32 v26, v2, 23, 1
; %bb.359:                              ;   in Loop: Header=BB4_124 Depth=2
	s_or_b64 exec, exec, s[22:23]
	v_lshrrev_b64 v[2:3], 20, v[2:3]
	v_cmp_gt_i32_e32 vcc, 16, v26
	v_cndmask_b32_e32 v3, 0, v3, vcc
	v_cndmask_b32_e32 v2, 7, v2, vcc
	v_cmp_eq_u64_e64 s[22:23], 0, v[2:3]
	v_min_i32_e32 v3, 15, v26
	v_cmp_eq_u32_e32 vcc, 0, v26
	v_lshlrev_b32_e32 v3, 3, v3
	v_and_or_b32 v2, v2, 7, v3
	s_and_b64 s[22:23], vcc, s[22:23]
	v_cndmask_b32_e64 v2, v2, 0, s[22:23]
	v_or_b32_e32 v30, v2, v1
.LBB4_360:                              ;   in Loop: Header=BB4_124 Depth=2
	s_or_b64 exec, exec, s[62:63]
.LBB4_361:                              ;   in Loop: Header=BB4_124 Depth=2
	s_or_b64 exec, exec, s[60:61]
                                        ; implicit-def: $vgpr3
.LBB4_362:                              ;   in Loop: Header=BB4_124 Depth=2
	s_andn2_saveexec_b64 s[22:23], s[24:25]
; %bb.363:                              ;   in Loop: Header=BB4_124 Depth=2
	v_or_b32_sdwa v1, v3, s76 dst_sel:DWORD dst_unused:UNUSED_PAD src0_sel:BYTE_3 src1_sel:DWORD
	v_cmp_eq_u64_e32 vcc, 0, v[54:55]
	v_cndmask_b32_e32 v30, v1, v30, vcc
; %bb.364:                              ;   in Loop: Header=BB4_124 Depth=2
	s_or_b64 exec, exec, s[22:23]
	v_lshrrev_b32_e32 v28, 16, v23
	v_lshrrev_b32_e32 v2, 16, v19
	v_cmp_ne_u16_sdwa s[22:23], v28, v55 src0_sel:BYTE_0 src1_sel:DWORD
	s_and_b64 vcc, exec, s[58:59]
	s_cbranch_vccz .LBB4_378
; %bb.365:                              ;   in Loop: Header=BB4_124 Depth=2
	v_mov_b32_e32 v3, 0
	v_mov_b32_e32 v1, 0
	s_and_saveexec_b64 s[24:25], s[22:23]
	s_cbranch_execz .LBB4_371
; %bb.366:                              ;   in Loop: Header=BB4_124 Depth=2
	v_cmp_ne_u16_sdwa vcc, v28, s75 src0_sel:BYTE_0 src1_sel:DWORD
	v_bfrev_b32_e32 v1, 1
	s_and_saveexec_b64 s[60:61], vcc
	s_cbranch_execz .LBB4_370
; %bb.367:                              ;   in Loop: Header=BB4_124 Depth=2
	v_bfe_u32 v4, v23, 16, 7
	v_cmp_ne_u32_e32 vcc, s76, v4
	v_mov_b32_e32 v1, 0x7f800001
	s_and_saveexec_b64 s[62:63], vcc
	s_cbranch_execz .LBB4_369
; %bb.368:                              ;   in Loop: Header=BB4_124 Depth=2
	v_and_b32_e32 v1, 7, v28
	v_ffbh_u32_e32 v6, v1
	v_min_u32_e32 v8, 32, v6
	v_subrev_u32_e32 v6, 28, v8
	v_lshlrev_b64 v[6:7], v6, v[28:29]
	v_lshrrev_b32_e32 v5, 3, v4
	v_sub_u32_e32 v7, 29, v8
	v_and_b32_e32 v6, 7, v6
	v_cmp_gt_u32_e32 vcc, 8, v4
	v_cndmask_b32_e32 v4, v5, v7, vcc
	v_cndmask_b32_e32 v1, v1, v6, vcc
	v_lshlrev_b32_e32 v5, 24, v28
	v_lshlrev_b32_e32 v1, 20, v1
	v_and_b32_e32 v5, 0x80000000, v5
	v_lshl_add_u32 v4, v4, 23, v0
	v_or3_b32 v1, v5, v4, v1
.LBB4_369:                              ;   in Loop: Header=BB4_124 Depth=2
	s_or_b64 exec, exec, s[62:63]
.LBB4_370:                              ;   in Loop: Header=BB4_124 Depth=2
	s_or_b64 exec, exec, s[60:61]
.LBB4_371:                              ;   in Loop: Header=BB4_124 Depth=2
	s_or_b64 exec, exec, s[24:25]
	v_cmp_ne_u16_sdwa vcc, v2, v55 src0_sel:BYTE_0 src1_sel:DWORD
	s_and_saveexec_b64 s[24:25], vcc
	s_cbranch_execz .LBB4_377
; %bb.372:                              ;   in Loop: Header=BB4_124 Depth=2
	v_cmp_ne_u16_sdwa vcc, v2, s75 src0_sel:BYTE_0 src1_sel:DWORD
	v_bfrev_b32_e32 v3, 1
	s_and_saveexec_b64 s[60:61], vcc
	s_cbranch_execz .LBB4_376
; %bb.373:                              ;   in Loop: Header=BB4_124 Depth=2
	v_bfe_u32 v4, v19, 16, 7
	v_cmp_ne_u32_e32 vcc, s76, v4
	v_mov_b32_e32 v3, 0x7f800001
	s_and_saveexec_b64 s[62:63], vcc
	s_cbranch_execz .LBB4_375
; %bb.374:                              ;   in Loop: Header=BB4_124 Depth=2
	v_and_b32_e32 v3, 7, v2
	v_ffbh_u32_e32 v6, v3
	v_min_u32_e32 v8, 32, v6
	v_subrev_u32_e32 v6, 28, v8
	v_lshlrev_b64 v[6:7], v6, v[2:3]
	v_lshrrev_b32_e32 v5, 3, v4
	v_sub_u32_e32 v7, 29, v8
	v_and_b32_e32 v6, 7, v6
	v_cmp_gt_u32_e32 vcc, 8, v4
	v_cndmask_b32_e32 v4, v5, v7, vcc
	v_cndmask_b32_e32 v3, v3, v6, vcc
	v_lshlrev_b32_e32 v5, 24, v2
	v_lshlrev_b32_e32 v3, 20, v3
	v_and_b32_e32 v5, 0x80000000, v5
	v_lshl_add_u32 v4, v4, 23, v0
	v_or3_b32 v3, v5, v4, v3
.LBB4_375:                              ;   in Loop: Header=BB4_124 Depth=2
	s_or_b64 exec, exec, s[62:63]
.LBB4_376:                              ;   in Loop: Header=BB4_124 Depth=2
	s_or_b64 exec, exec, s[60:61]
.LBB4_377:                              ;   in Loop: Header=BB4_124 Depth=2
	s_or_b64 exec, exec, s[24:25]
	v_max_f32_e32 v3, v3, v3
	v_max_f32_e32 v1, v1, v1
	;; [unrolled: 1-line block ×3, first 2 shown]
	s_branch .LBB4_392
.LBB4_378:                              ;   in Loop: Header=BB4_124 Depth=2
                                        ; implicit-def: $vgpr3
	s_cbranch_execz .LBB4_392
; %bb.379:                              ;   in Loop: Header=BB4_124 Depth=2
	v_mov_b32_e32 v3, 0
	v_mov_b32_e32 v1, 0
	s_and_saveexec_b64 s[24:25], s[22:23]
	s_cbranch_execz .LBB4_385
; %bb.380:                              ;   in Loop: Header=BB4_124 Depth=2
	v_cmp_ne_u16_sdwa vcc, v28, s75 src0_sel:BYTE_0 src1_sel:DWORD
	v_bfrev_b32_e32 v1, 1
	s_and_saveexec_b64 s[22:23], vcc
	s_cbranch_execz .LBB4_384
; %bb.381:                              ;   in Loop: Header=BB4_124 Depth=2
	v_bfe_u32 v4, v23, 16, 7
	v_cmp_ne_u32_e32 vcc, s76, v4
	v_mov_b32_e32 v1, 0x7f800001
	s_and_saveexec_b64 s[60:61], vcc
	s_cbranch_execz .LBB4_383
; %bb.382:                              ;   in Loop: Header=BB4_124 Depth=2
	v_and_b32_e32 v1, 7, v28
	v_ffbh_u32_e32 v6, v1
	v_min_u32_e32 v8, 32, v6
	v_subrev_u32_e32 v6, 28, v8
	v_lshlrev_b64 v[6:7], v6, v[28:29]
	v_lshrrev_b32_e32 v5, 3, v4
	v_sub_u32_e32 v7, 29, v8
	v_and_b32_e32 v6, 7, v6
	v_cmp_gt_u32_e32 vcc, 8, v4
	v_cndmask_b32_e32 v4, v5, v7, vcc
	v_cndmask_b32_e32 v1, v1, v6, vcc
	v_lshlrev_b32_e32 v5, 24, v28
	v_lshlrev_b32_e32 v1, 20, v1
	v_and_b32_e32 v5, 0x80000000, v5
	v_lshl_add_u32 v4, v4, 23, v0
	v_or3_b32 v1, v5, v4, v1
.LBB4_383:                              ;   in Loop: Header=BB4_124 Depth=2
	s_or_b64 exec, exec, s[60:61]
.LBB4_384:                              ;   in Loop: Header=BB4_124 Depth=2
	s_or_b64 exec, exec, s[22:23]
.LBB4_385:                              ;   in Loop: Header=BB4_124 Depth=2
	s_or_b64 exec, exec, s[24:25]
	v_cmp_ne_u16_sdwa s[24:25], v2, v55 src0_sel:BYTE_0 src1_sel:DWORD
	s_and_saveexec_b64 s[22:23], s[24:25]
	s_cbranch_execz .LBB4_391
; %bb.386:                              ;   in Loop: Header=BB4_124 Depth=2
	v_cmp_ne_u16_sdwa vcc, v2, s75 src0_sel:BYTE_0 src1_sel:DWORD
	v_bfrev_b32_e32 v3, 1
	s_and_saveexec_b64 s[24:25], vcc
	s_cbranch_execz .LBB4_390
; %bb.387:                              ;   in Loop: Header=BB4_124 Depth=2
	v_bfe_u32 v4, v19, 16, 7
	v_cmp_ne_u32_e32 vcc, s76, v4
	v_mov_b32_e32 v3, 0x7f800001
	s_and_saveexec_b64 s[60:61], vcc
	s_cbranch_execz .LBB4_389
; %bb.388:                              ;   in Loop: Header=BB4_124 Depth=2
	v_and_b32_e32 v3, 7, v2
	v_ffbh_u32_e32 v6, v3
	v_min_u32_e32 v8, 32, v6
	v_subrev_u32_e32 v6, 28, v8
	v_lshlrev_b64 v[6:7], v6, v[2:3]
	v_lshrrev_b32_e32 v5, 3, v4
	v_sub_u32_e32 v7, 29, v8
	v_and_b32_e32 v6, 7, v6
	v_cmp_gt_u32_e32 vcc, 8, v4
	v_cndmask_b32_e32 v4, v5, v7, vcc
	v_cndmask_b32_e32 v3, v3, v6, vcc
	v_lshlrev_b32_e32 v2, 24, v2
	v_lshlrev_b32_e32 v3, 20, v3
	v_and_b32_e32 v2, 0x80000000, v2
	v_lshl_add_u32 v4, v4, 23, v0
	v_or3_b32 v3, v2, v4, v3
.LBB4_389:                              ;   in Loop: Header=BB4_124 Depth=2
	s_or_b64 exec, exec, s[60:61]
.LBB4_390:                              ;   in Loop: Header=BB4_124 Depth=2
	s_or_b64 exec, exec, s[24:25]
.LBB4_391:                              ;   in Loop: Header=BB4_124 Depth=2
	s_or_b64 exec, exec, s[22:23]
	v_max_f32_e32 v2, v3, v3
	v_max_f32_e32 v1, v1, v1
	v_min_f32_e32 v3, v1, v2
.LBB4_392:                              ;   in Loop: Header=BB4_124 Depth=2
	v_and_b32_sdwa v1, v3, s75 dst_sel:DWORD dst_unused:UNUSED_PAD src0_sel:BYTE_3 src1_sel:DWORD
	v_and_b32_e32 v4, 0x7f800000, v3
	v_mov_b32_e32 v5, v55
	v_and_b32_e32 v54, 0x7fffff, v3
	v_or_b32_e32 v31, 0x7e, v1
	v_cmp_ne_u64_e32 vcc, s[44:45], v[4:5]
	s_and_saveexec_b64 s[22:23], vcc
	s_xor_b64 s[24:25], exec, s[22:23]
	s_cbranch_execz .LBB4_402
; %bb.393:                              ;   in Loop: Header=BB4_124 Depth=2
	v_and_b32_e32 v4, 0x7fffffff, v3
	v_mov_b32_e32 v5, v55
	v_cmp_gt_u64_e32 vcc, s[46:47], v[4:5]
	s_and_saveexec_b64 s[60:61], vcc
	s_cbranch_execz .LBB4_401
; %bb.394:                              ;   in Loop: Header=BB4_124 Depth=2
	v_cmp_ne_u32_e32 vcc, 0, v3
	v_mov_b32_e32 v31, 0
	s_and_saveexec_b64 s[62:63], vcc
	s_cbranch_execz .LBB4_400
; %bb.395:                              ;   in Loop: Header=BB4_124 Depth=2
	v_bfe_u32 v2, v3, 23, 8
	v_sub_u32_e32 v4, 0x79, v2
	v_cmp_gt_u32_e32 vcc, s78, v2
	v_add_u32_e32 v3, 0xffffff81, v2
	v_cndmask_b32_e32 v4, 0, v4, vcc
	v_cmp_eq_u32_e32 vcc, 0, v2
	v_mov_b32_e32 v2, 0xffffff82
	v_cndmask_b32_e32 v26, v3, v2, vcc
	v_mov_b32_e32 v2, 0x78
	v_or_b32_e32 v5, 0x800000, v54
	v_cndmask_b32_e32 v4, v4, v2, vcc
	v_cndmask_b32_e32 v54, v5, v54, vcc
	v_add_u32_e32 v2, 20, v4
	v_lshlrev_b64 v[2:3], v2, -1
	v_add_u32_e32 v5, 19, v4
	v_lshrrev_b64 v[8:9], v4, v[54:55]
	v_not_b32_e32 v3, v3
	v_not_b32_e32 v2, v2
	v_lshlrev_b64 v[6:7], v5, 1
	v_lshrrev_b32_e32 v5, 23, v8
	v_and_b32_e32 v3, 0, v3
	v_and_b32_e32 v2, v54, v2
	v_add3_u32 v4, v4, v26, v5
	v_bfe_u32 v5, v8, 20, 1
	v_add_u32_e32 v5, -1, v5
	v_cmp_eq_u64_e32 vcc, v[2:3], v[6:7]
	v_cndmask_b32_e32 v2, 0, v5, vcc
	v_add_u32_e32 v2, v2, v8
	v_and_b32_e32 v2, 0xfffff, v2
	v_add_co_u32_e32 v2, vcc, v2, v8
	v_add_u32_e32 v27, 6, v4
	v_addc_co_u32_e32 v3, vcc, 0, v9, vcc
	v_cmp_ne_u32_e32 vcc, 0, v27
                                        ; implicit-def: $vgpr26
	s_and_saveexec_b64 s[22:23], vcc
	s_xor_b64 s[22:23], exec, s[22:23]
; %bb.396:                              ;   in Loop: Header=BB4_124 Depth=2
	v_add_u32_e32 v4, 7, v4
	v_cmp_lt_u64_e32 vcc, s[50:51], v[2:3]
	v_cndmask_b32_e32 v26, v27, v4, vcc
	v_cndmask_b32_e64 v4, 0, 1, vcc
	v_lshrrev_b64 v[2:3], v4, v[2:3]
; %bb.397:                              ;   in Loop: Header=BB4_124 Depth=2
	s_andn2_saveexec_b64 s[22:23], s[22:23]
; %bb.398:                              ;   in Loop: Header=BB4_124 Depth=2
	v_bfe_u32 v26, v2, 23, 1
; %bb.399:                              ;   in Loop: Header=BB4_124 Depth=2
	s_or_b64 exec, exec, s[22:23]
	v_lshrrev_b64 v[2:3], 20, v[2:3]
	v_cmp_gt_i32_e32 vcc, 16, v26
	v_cndmask_b32_e32 v3, 0, v3, vcc
	v_cndmask_b32_e32 v2, 7, v2, vcc
	v_cmp_eq_u64_e64 s[22:23], 0, v[2:3]
	v_min_i32_e32 v3, 15, v26
	v_lshlrev_b32_e32 v3, 3, v3
	v_cmp_eq_u32_e32 vcc, 0, v26
	v_and_b32_e32 v3, 0xf8, v3
	v_and_or_b32 v2, v2, 7, v3
	s_and_b64 s[22:23], vcc, s[22:23]
	v_cndmask_b32_e64 v2, v2, 0, s[22:23]
	v_or_b32_e32 v31, v2, v1
.LBB4_400:                              ;   in Loop: Header=BB4_124 Depth=2
	s_or_b64 exec, exec, s[62:63]
.LBB4_401:                              ;   in Loop: Header=BB4_124 Depth=2
	s_or_b64 exec, exec, s[60:61]
                                        ; implicit-def: $vgpr3
.LBB4_402:                              ;   in Loop: Header=BB4_124 Depth=2
	s_andn2_saveexec_b64 s[22:23], s[24:25]
; %bb.403:                              ;   in Loop: Header=BB4_124 Depth=2
	v_or_b32_sdwa v1, v3, s76 dst_sel:DWORD dst_unused:UNUSED_PAD src0_sel:BYTE_3 src1_sel:DWORD
	v_cmp_eq_u64_e32 vcc, 0, v[54:55]
	v_cndmask_b32_e32 v31, v1, v31, vcc
; %bb.404:                              ;   in Loop: Header=BB4_124 Depth=2
	s_or_b64 exec, exec, s[22:23]
	v_lshrrev_b32_e32 v28, 24, v23
	v_lshrrev_b32_e32 v2, 24, v19
	v_cmp_lt_u64_e64 s[22:23], s[48:49], v[22:23]
	s_and_b64 vcc, exec, s[58:59]
	s_cbranch_vccz .LBB4_418
; %bb.405:                              ;   in Loop: Header=BB4_124 Depth=2
	v_mov_b32_e32 v3, 0
	v_mov_b32_e32 v1, 0
	s_and_saveexec_b64 s[24:25], s[22:23]
	s_cbranch_execz .LBB4_411
; %bb.406:                              ;   in Loop: Header=BB4_124 Depth=2
	v_cmp_ne_u32_e32 vcc, s75, v28
	v_bfrev_b32_e32 v1, 1
	s_and_saveexec_b64 s[60:61], vcc
	s_cbranch_execz .LBB4_410
; %bb.407:                              ;   in Loop: Header=BB4_124 Depth=2
	v_bfe_u32 v4, v23, 24, 7
	v_cmp_ne_u32_e32 vcc, s76, v4
	v_mov_b32_e32 v1, 0x7f800001
	s_and_saveexec_b64 s[62:63], vcc
	s_cbranch_execz .LBB4_409
; %bb.408:                              ;   in Loop: Header=BB4_124 Depth=2
	v_and_b32_e32 v1, 7, v28
	v_ffbh_u32_e32 v6, v1
	v_min_u32_e32 v8, 32, v6
	v_subrev_u32_e32 v6, 28, v8
	v_lshlrev_b64 v[6:7], v6, v[28:29]
	v_lshrrev_b32_e32 v5, 3, v4
	v_sub_u32_e32 v7, 29, v8
	v_and_b32_e32 v6, 7, v6
	v_cmp_gt_u32_e32 vcc, 8, v4
	v_cndmask_b32_e32 v4, v5, v7, vcc
	v_cndmask_b32_e32 v1, v1, v6, vcc
	v_lshlrev_b32_e32 v5, 24, v28
	v_lshlrev_b32_e32 v1, 20, v1
	v_and_b32_e32 v5, 0x80000000, v5
	v_lshl_add_u32 v4, v4, 23, v0
	v_or3_b32 v1, v5, v4, v1
.LBB4_409:                              ;   in Loop: Header=BB4_124 Depth=2
	s_or_b64 exec, exec, s[62:63]
.LBB4_410:                              ;   in Loop: Header=BB4_124 Depth=2
	s_or_b64 exec, exec, s[60:61]
.LBB4_411:                              ;   in Loop: Header=BB4_124 Depth=2
	s_or_b64 exec, exec, s[24:25]
	v_cmp_lt_u64_e32 vcc, s[48:49], v[18:19]
	s_and_saveexec_b64 s[24:25], vcc
	s_cbranch_execz .LBB4_417
; %bb.412:                              ;   in Loop: Header=BB4_124 Depth=2
	v_cmp_ne_u32_e32 vcc, s75, v2
	v_bfrev_b32_e32 v3, 1
	s_and_saveexec_b64 s[60:61], vcc
	s_cbranch_execz .LBB4_416
; %bb.413:                              ;   in Loop: Header=BB4_124 Depth=2
	v_bfe_u32 v4, v19, 24, 7
	v_cmp_ne_u32_e32 vcc, s76, v4
	v_mov_b32_e32 v3, 0x7f800001
	s_and_saveexec_b64 s[62:63], vcc
	s_cbranch_execz .LBB4_415
; %bb.414:                              ;   in Loop: Header=BB4_124 Depth=2
	v_and_b32_e32 v3, 7, v2
	v_ffbh_u32_e32 v6, v3
	v_min_u32_e32 v8, 32, v6
	v_subrev_u32_e32 v6, 28, v8
	v_lshlrev_b64 v[6:7], v6, v[2:3]
	v_lshrrev_b32_e32 v5, 3, v4
	v_sub_u32_e32 v7, 29, v8
	v_and_b32_e32 v6, 7, v6
	v_cmp_gt_u32_e32 vcc, 8, v4
	v_cndmask_b32_e32 v4, v5, v7, vcc
	v_cndmask_b32_e32 v3, v3, v6, vcc
	v_lshlrev_b32_e32 v5, 24, v2
	v_lshlrev_b32_e32 v3, 20, v3
	v_and_b32_e32 v5, 0x80000000, v5
	v_lshl_add_u32 v4, v4, 23, v0
	v_or3_b32 v3, v5, v4, v3
.LBB4_415:                              ;   in Loop: Header=BB4_124 Depth=2
	s_or_b64 exec, exec, s[62:63]
.LBB4_416:                              ;   in Loop: Header=BB4_124 Depth=2
	s_or_b64 exec, exec, s[60:61]
.LBB4_417:                              ;   in Loop: Header=BB4_124 Depth=2
	s_or_b64 exec, exec, s[24:25]
	v_max_f32_e32 v3, v3, v3
	v_max_f32_e32 v1, v1, v1
	v_max_f32_e32 v3, v1, v3
	s_branch .LBB4_432
.LBB4_418:                              ;   in Loop: Header=BB4_124 Depth=2
                                        ; implicit-def: $vgpr3
	s_cbranch_execz .LBB4_432
; %bb.419:                              ;   in Loop: Header=BB4_124 Depth=2
	v_mov_b32_e32 v3, 0
	v_mov_b32_e32 v1, 0
	s_and_saveexec_b64 s[24:25], s[22:23]
	s_cbranch_execz .LBB4_425
; %bb.420:                              ;   in Loop: Header=BB4_124 Depth=2
	v_cmp_ne_u32_e32 vcc, s75, v28
	v_bfrev_b32_e32 v1, 1
	s_and_saveexec_b64 s[22:23], vcc
	s_cbranch_execz .LBB4_424
; %bb.421:                              ;   in Loop: Header=BB4_124 Depth=2
	v_bfe_u32 v4, v23, 24, 7
	v_cmp_ne_u32_e32 vcc, s76, v4
	v_mov_b32_e32 v1, 0x7f800001
	s_and_saveexec_b64 s[60:61], vcc
	s_cbranch_execz .LBB4_423
; %bb.422:                              ;   in Loop: Header=BB4_124 Depth=2
	v_and_b32_e32 v1, 7, v28
	v_ffbh_u32_e32 v6, v1
	v_min_u32_e32 v8, 32, v6
	v_subrev_u32_e32 v6, 28, v8
	v_lshlrev_b64 v[6:7], v6, v[28:29]
	v_lshrrev_b32_e32 v5, 3, v4
	v_sub_u32_e32 v7, 29, v8
	v_and_b32_e32 v6, 7, v6
	v_cmp_gt_u32_e32 vcc, 8, v4
	v_cndmask_b32_e32 v4, v5, v7, vcc
	v_cndmask_b32_e32 v1, v1, v6, vcc
	v_lshlrev_b32_e32 v5, 24, v28
	v_lshlrev_b32_e32 v1, 20, v1
	v_and_b32_e32 v5, 0x80000000, v5
	v_lshl_add_u32 v4, v4, 23, v0
	v_or3_b32 v1, v5, v4, v1
.LBB4_423:                              ;   in Loop: Header=BB4_124 Depth=2
	s_or_b64 exec, exec, s[60:61]
.LBB4_424:                              ;   in Loop: Header=BB4_124 Depth=2
	s_or_b64 exec, exec, s[22:23]
.LBB4_425:                              ;   in Loop: Header=BB4_124 Depth=2
	s_or_b64 exec, exec, s[24:25]
	v_cmp_lt_u64_e32 vcc, s[48:49], v[18:19]
	s_and_saveexec_b64 s[22:23], vcc
	s_cbranch_execz .LBB4_431
; %bb.426:                              ;   in Loop: Header=BB4_124 Depth=2
	v_cmp_ne_u32_e32 vcc, s75, v2
	v_bfrev_b32_e32 v3, 1
	s_and_saveexec_b64 s[24:25], vcc
	s_cbranch_execz .LBB4_430
; %bb.427:                              ;   in Loop: Header=BB4_124 Depth=2
	v_bfe_u32 v4, v19, 24, 7
	v_cmp_ne_u32_e32 vcc, s76, v4
	v_mov_b32_e32 v3, 0x7f800001
	s_and_saveexec_b64 s[60:61], vcc
	s_cbranch_execz .LBB4_429
; %bb.428:                              ;   in Loop: Header=BB4_124 Depth=2
	v_and_b32_e32 v3, 7, v2
	v_ffbh_u32_e32 v6, v3
	v_min_u32_e32 v8, 32, v6
	v_subrev_u32_e32 v6, 28, v8
	v_lshlrev_b64 v[6:7], v6, v[2:3]
	v_lshrrev_b32_e32 v5, 3, v4
	v_sub_u32_e32 v7, 29, v8
	v_and_b32_e32 v6, 7, v6
	v_cmp_gt_u32_e32 vcc, 8, v4
	v_cndmask_b32_e32 v4, v5, v7, vcc
	v_cndmask_b32_e32 v3, v3, v6, vcc
	v_lshlrev_b32_e32 v2, 24, v2
	v_lshlrev_b32_e32 v3, 20, v3
	v_and_b32_e32 v2, 0x80000000, v2
	v_lshl_add_u32 v4, v4, 23, v0
	v_or3_b32 v3, v2, v4, v3
.LBB4_429:                              ;   in Loop: Header=BB4_124 Depth=2
	s_or_b64 exec, exec, s[60:61]
.LBB4_430:                              ;   in Loop: Header=BB4_124 Depth=2
	s_or_b64 exec, exec, s[24:25]
.LBB4_431:                              ;   in Loop: Header=BB4_124 Depth=2
	s_or_b64 exec, exec, s[22:23]
	v_max_f32_e32 v2, v3, v3
	v_max_f32_e32 v1, v1, v1
	v_min_f32_e32 v3, v1, v2
.LBB4_432:                              ;   in Loop: Header=BB4_124 Depth=2
	v_and_b32_sdwa v1, v3, s75 dst_sel:DWORD dst_unused:UNUSED_PAD src0_sel:BYTE_3 src1_sel:DWORD
	v_and_b32_e32 v4, 0x7f800000, v3
	v_mov_b32_e32 v5, v55
	v_and_b32_e32 v54, 0x7fffff, v3
	v_or_b32_e32 v23, 0x7e, v1
	v_cmp_ne_u64_e32 vcc, s[44:45], v[4:5]
	s_and_saveexec_b64 s[22:23], vcc
	s_xor_b64 s[24:25], exec, s[22:23]
	s_cbranch_execnz .LBB4_448
; %bb.433:                              ;   in Loop: Header=BB4_124 Depth=2
	s_andn2_saveexec_b64 s[22:23], s[24:25]
	s_cbranch_execnz .LBB4_457
.LBB4_434:                              ;   in Loop: Header=BB4_124 Depth=2
	s_or_b64 exec, exec, s[22:23]
	v_cmp_ne_u16_sdwa s[22:23], v24, v55 src0_sel:BYTE_0 src1_sel:DWORD
	s_and_b64 vcc, exec, s[58:59]
	s_cbranch_vccz .LBB4_458
.LBB4_435:                              ;   in Loop: Header=BB4_124 Depth=2
	v_mov_b32_e32 v2, 0
	v_mov_b32_e32 v1, 0
	s_and_saveexec_b64 s[24:25], s[22:23]
	s_cbranch_execz .LBB4_441
; %bb.436:                              ;   in Loop: Header=BB4_124 Depth=2
	v_cmp_ne_u16_sdwa vcc, v24, s75 src0_sel:BYTE_0 src1_sel:DWORD
	v_bfrev_b32_e32 v1, 1
	s_and_saveexec_b64 s[60:61], vcc
	s_cbranch_execz .LBB4_440
; %bb.437:                              ;   in Loop: Header=BB4_124 Depth=2
	v_and_b32_e32 v3, 0x7f, v24
	v_cmp_ne_u32_e32 vcc, s76, v3
	v_mov_b32_e32 v1, 0x7f800001
	s_and_saveexec_b64 s[62:63], vcc
	s_cbranch_execz .LBB4_439
; %bb.438:                              ;   in Loop: Header=BB4_124 Depth=2
	v_and_b32_e32 v1, 7, v24
	v_ffbh_u32_e32 v1, v1
	v_min_u32_e32 v1, 32, v1
	v_subrev_u32_e32 v5, 28, v1
	v_cmp_gt_u32_e32 vcc, 8, v3
	v_lshrrev_b32_e32 v4, 3, v3
	v_sub_u32_e32 v1, 29, v1
	v_cndmask_b32_e32 v3, 0, v5, vcc
	v_cndmask_b32_e32 v1, v4, v1, vcc
	v_lshlrev_b64 v[4:5], v3, v[24:25]
	v_lshlrev_b32_e32 v3, 20, v4
	v_lshlrev_b32_e32 v4, 24, v24
	v_and_b32_e32 v3, 0x700000, v3
	v_and_b32_e32 v4, 0x80000000, v4
	v_lshl_add_u32 v1, v1, 23, v0
	v_or3_b32 v1, v4, v1, v3
.LBB4_439:                              ;   in Loop: Header=BB4_124 Depth=2
	s_or_b64 exec, exec, s[62:63]
.LBB4_440:                              ;   in Loop: Header=BB4_124 Depth=2
	s_or_b64 exec, exec, s[60:61]
.LBB4_441:                              ;   in Loop: Header=BB4_124 Depth=2
	s_or_b64 exec, exec, s[24:25]
	v_cmp_ne_u16_sdwa vcc, v20, v55 src0_sel:BYTE_0 src1_sel:DWORD
	s_and_saveexec_b64 s[24:25], vcc
	s_cbranch_execz .LBB4_447
; %bb.442:                              ;   in Loop: Header=BB4_124 Depth=2
	v_cmp_ne_u16_sdwa vcc, v20, s75 src0_sel:BYTE_0 src1_sel:DWORD
	v_bfrev_b32_e32 v2, 1
	s_and_saveexec_b64 s[60:61], vcc
	s_cbranch_execz .LBB4_446
; %bb.443:                              ;   in Loop: Header=BB4_124 Depth=2
	v_and_b32_e32 v3, 0x7f, v20
	v_cmp_ne_u32_e32 vcc, s76, v3
	v_mov_b32_e32 v2, 0x7f800001
	s_and_saveexec_b64 s[62:63], vcc
	s_cbranch_execz .LBB4_445
; %bb.444:                              ;   in Loop: Header=BB4_124 Depth=2
	v_and_b32_e32 v2, 7, v20
	v_ffbh_u32_e32 v2, v2
	v_min_u32_e32 v2, 32, v2
	v_lshrrev_b32_e32 v4, 3, v3
	v_subrev_u32_e32 v5, 28, v2
	v_sub_u32_e32 v2, 29, v2
	v_cmp_gt_u32_e32 vcc, 8, v3
	v_cndmask_b32_e32 v4, v4, v2, vcc
	v_cndmask_b32_e32 v2, 0, v5, vcc
	v_lshlrev_b64 v[2:3], v2, v[20:21]
	v_lshlrev_b32_e32 v2, 20, v2
	v_lshlrev_b32_e32 v3, 24, v20
	v_and_b32_e32 v2, 0x700000, v2
	v_and_b32_e32 v3, 0x80000000, v3
	v_lshl_add_u32 v4, v4, 23, v0
	v_or3_b32 v2, v3, v4, v2
.LBB4_445:                              ;   in Loop: Header=BB4_124 Depth=2
	s_or_b64 exec, exec, s[62:63]
.LBB4_446:                              ;   in Loop: Header=BB4_124 Depth=2
	s_or_b64 exec, exec, s[60:61]
.LBB4_447:                              ;   in Loop: Header=BB4_124 Depth=2
	s_or_b64 exec, exec, s[24:25]
	v_max_f32_e32 v2, v2, v2
	v_max_f32_e32 v1, v1, v1
	;; [unrolled: 1-line block ×3, first 2 shown]
	s_branch .LBB4_472
.LBB4_448:                              ;   in Loop: Header=BB4_124 Depth=2
	v_and_b32_e32 v4, 0x7fffffff, v3
	v_mov_b32_e32 v5, v55
	v_cmp_gt_u64_e32 vcc, s[46:47], v[4:5]
	s_and_saveexec_b64 s[60:61], vcc
	s_cbranch_execz .LBB4_456
; %bb.449:                              ;   in Loop: Header=BB4_124 Depth=2
	v_cmp_ne_u32_e32 vcc, 0, v3
	v_mov_b32_e32 v23, 0
	s_and_saveexec_b64 s[62:63], vcc
	s_cbranch_execz .LBB4_455
; %bb.450:                              ;   in Loop: Header=BB4_124 Depth=2
	v_bfe_u32 v2, v3, 23, 8
	v_sub_u32_e32 v4, 0x79, v2
	v_cmp_gt_u32_e32 vcc, s78, v2
	v_add_u32_e32 v3, 0xffffff81, v2
	v_cndmask_b32_e32 v4, 0, v4, vcc
	v_cmp_eq_u32_e32 vcc, 0, v2
	v_mov_b32_e32 v2, 0xffffff82
	v_cndmask_b32_e32 v18, v3, v2, vcc
	v_mov_b32_e32 v2, 0x78
	v_or_b32_e32 v5, 0x800000, v54
	v_cndmask_b32_e32 v4, v4, v2, vcc
	v_cndmask_b32_e32 v54, v5, v54, vcc
	v_add_u32_e32 v2, 20, v4
	v_lshlrev_b64 v[2:3], v2, -1
	v_add_u32_e32 v5, 19, v4
	v_lshrrev_b64 v[8:9], v4, v[54:55]
	v_not_b32_e32 v3, v3
	v_not_b32_e32 v2, v2
	v_lshlrev_b64 v[6:7], v5, 1
	v_lshrrev_b32_e32 v5, 23, v8
	v_and_b32_e32 v3, 0, v3
	v_and_b32_e32 v2, v54, v2
	v_add3_u32 v4, v4, v18, v5
	v_bfe_u32 v5, v8, 20, 1
	v_add_u32_e32 v5, -1, v5
	v_cmp_eq_u64_e32 vcc, v[2:3], v[6:7]
	v_cndmask_b32_e32 v2, 0, v5, vcc
	v_add_u32_e32 v2, v2, v8
	v_and_b32_e32 v2, 0xfffff, v2
	v_add_co_u32_e32 v2, vcc, v2, v8
	v_add_u32_e32 v19, 6, v4
	v_addc_co_u32_e32 v3, vcc, 0, v9, vcc
	v_cmp_ne_u32_e32 vcc, 0, v19
                                        ; implicit-def: $vgpr18
	s_and_saveexec_b64 s[22:23], vcc
	s_xor_b64 s[22:23], exec, s[22:23]
; %bb.451:                              ;   in Loop: Header=BB4_124 Depth=2
	v_add_u32_e32 v4, 7, v4
	v_cmp_lt_u64_e32 vcc, s[50:51], v[2:3]
	v_cndmask_b32_e32 v18, v19, v4, vcc
	v_cndmask_b32_e64 v4, 0, 1, vcc
	v_lshrrev_b64 v[2:3], v4, v[2:3]
; %bb.452:                              ;   in Loop: Header=BB4_124 Depth=2
	s_andn2_saveexec_b64 s[22:23], s[22:23]
; %bb.453:                              ;   in Loop: Header=BB4_124 Depth=2
	v_bfe_u32 v18, v2, 23, 1
; %bb.454:                              ;   in Loop: Header=BB4_124 Depth=2
	s_or_b64 exec, exec, s[22:23]
	v_lshrrev_b64 v[2:3], 20, v[2:3]
	v_cmp_gt_i32_e32 vcc, 16, v18
	v_cndmask_b32_e32 v3, 0, v3, vcc
	v_cndmask_b32_e32 v2, 7, v2, vcc
	v_cmp_eq_u64_e64 s[22:23], 0, v[2:3]
	v_min_i32_e32 v3, 15, v18
	v_lshlrev_b32_e32 v3, 3, v3
	v_cmp_eq_u32_e32 vcc, 0, v18
	v_and_b32_e32 v3, 0xf8, v3
	v_and_or_b32 v2, v2, 7, v3
	s_and_b64 s[22:23], vcc, s[22:23]
	v_cndmask_b32_e64 v2, v2, 0, s[22:23]
	v_or_b32_e32 v23, v2, v1
.LBB4_455:                              ;   in Loop: Header=BB4_124 Depth=2
	s_or_b64 exec, exec, s[62:63]
.LBB4_456:                              ;   in Loop: Header=BB4_124 Depth=2
	s_or_b64 exec, exec, s[60:61]
                                        ; implicit-def: $vgpr3
	s_andn2_saveexec_b64 s[22:23], s[24:25]
	s_cbranch_execz .LBB4_434
.LBB4_457:                              ;   in Loop: Header=BB4_124 Depth=2
	v_or_b32_sdwa v1, v3, s76 dst_sel:DWORD dst_unused:UNUSED_PAD src0_sel:BYTE_3 src1_sel:DWORD
	v_cmp_eq_u64_e32 vcc, 0, v[54:55]
	v_cndmask_b32_e32 v23, v1, v23, vcc
	s_or_b64 exec, exec, s[22:23]
	v_cmp_ne_u16_sdwa s[22:23], v24, v55 src0_sel:BYTE_0 src1_sel:DWORD
	s_and_b64 vcc, exec, s[58:59]
	s_cbranch_vccnz .LBB4_435
.LBB4_458:                              ;   in Loop: Header=BB4_124 Depth=2
                                        ; implicit-def: $vgpr2
	s_cbranch_execz .LBB4_472
; %bb.459:                              ;   in Loop: Header=BB4_124 Depth=2
	v_mov_b32_e32 v2, 0
	v_mov_b32_e32 v1, 0
	s_and_saveexec_b64 s[24:25], s[22:23]
	s_cbranch_execz .LBB4_465
; %bb.460:                              ;   in Loop: Header=BB4_124 Depth=2
	v_cmp_ne_u16_sdwa vcc, v24, s75 src0_sel:BYTE_0 src1_sel:DWORD
	v_bfrev_b32_e32 v1, 1
	s_and_saveexec_b64 s[22:23], vcc
	s_cbranch_execz .LBB4_464
; %bb.461:                              ;   in Loop: Header=BB4_124 Depth=2
	v_and_b32_e32 v3, 0x7f, v24
	v_cmp_ne_u32_e32 vcc, s76, v3
	v_mov_b32_e32 v1, 0x7f800001
	s_and_saveexec_b64 s[60:61], vcc
	s_cbranch_execz .LBB4_463
; %bb.462:                              ;   in Loop: Header=BB4_124 Depth=2
	v_and_b32_e32 v1, 7, v24
	v_ffbh_u32_e32 v1, v1
	v_min_u32_e32 v1, 32, v1
	v_subrev_u32_e32 v5, 28, v1
	v_cmp_gt_u32_e32 vcc, 8, v3
	v_lshrrev_b32_e32 v4, 3, v3
	v_sub_u32_e32 v1, 29, v1
	v_cndmask_b32_e32 v3, 0, v5, vcc
	v_cndmask_b32_e32 v1, v4, v1, vcc
	v_lshlrev_b64 v[4:5], v3, v[24:25]
	v_lshlrev_b32_e32 v3, 20, v4
	v_lshlrev_b32_e32 v4, 24, v24
	v_and_b32_e32 v3, 0x700000, v3
	v_and_b32_e32 v4, 0x80000000, v4
	v_lshl_add_u32 v1, v1, 23, v0
	v_or3_b32 v1, v4, v1, v3
.LBB4_463:                              ;   in Loop: Header=BB4_124 Depth=2
	s_or_b64 exec, exec, s[60:61]
.LBB4_464:                              ;   in Loop: Header=BB4_124 Depth=2
	s_or_b64 exec, exec, s[22:23]
.LBB4_465:                              ;   in Loop: Header=BB4_124 Depth=2
	s_or_b64 exec, exec, s[24:25]
	v_cmp_ne_u16_sdwa s[24:25], v20, v55 src0_sel:BYTE_0 src1_sel:DWORD
	s_and_saveexec_b64 s[22:23], s[24:25]
	s_cbranch_execz .LBB4_471
; %bb.466:                              ;   in Loop: Header=BB4_124 Depth=2
	v_cmp_ne_u16_sdwa vcc, v20, s75 src0_sel:BYTE_0 src1_sel:DWORD
	v_bfrev_b32_e32 v2, 1
	s_and_saveexec_b64 s[24:25], vcc
	s_cbranch_execz .LBB4_470
; %bb.467:                              ;   in Loop: Header=BB4_124 Depth=2
	v_and_b32_e32 v3, 0x7f, v20
	v_cmp_ne_u32_e32 vcc, s76, v3
	v_mov_b32_e32 v2, 0x7f800001
	s_and_saveexec_b64 s[60:61], vcc
	s_cbranch_execz .LBB4_469
; %bb.468:                              ;   in Loop: Header=BB4_124 Depth=2
	v_and_b32_e32 v2, 7, v20
	v_ffbh_u32_e32 v2, v2
	v_min_u32_e32 v2, 32, v2
	v_lshrrev_b32_e32 v4, 3, v3
	v_subrev_u32_e32 v5, 28, v2
	v_sub_u32_e32 v2, 29, v2
	v_cmp_gt_u32_e32 vcc, 8, v3
	v_cndmask_b32_e32 v4, v4, v2, vcc
	v_cndmask_b32_e32 v2, 0, v5, vcc
	v_lshlrev_b64 v[2:3], v2, v[20:21]
	v_lshlrev_b32_e32 v2, 20, v2
	v_lshlrev_b32_e32 v3, 24, v20
	v_and_b32_e32 v2, 0x700000, v2
	v_and_b32_e32 v3, 0x80000000, v3
	v_lshl_add_u32 v4, v4, 23, v0
	v_or3_b32 v2, v3, v4, v2
.LBB4_469:                              ;   in Loop: Header=BB4_124 Depth=2
	s_or_b64 exec, exec, s[60:61]
.LBB4_470:                              ;   in Loop: Header=BB4_124 Depth=2
	s_or_b64 exec, exec, s[24:25]
.LBB4_471:                              ;   in Loop: Header=BB4_124 Depth=2
	s_or_b64 exec, exec, s[22:23]
	v_max_f32_e32 v2, v2, v2
	v_max_f32_e32 v1, v1, v1
	v_min_f32_e32 v2, v1, v2
.LBB4_472:                              ;   in Loop: Header=BB4_124 Depth=2
	v_and_b32_sdwa v1, v2, s75 dst_sel:DWORD dst_unused:UNUSED_PAD src0_sel:BYTE_3 src1_sel:DWORD
	v_and_b32_e32 v4, 0x7f800000, v2
	v_mov_b32_e32 v5, v55
	v_and_b32_e32 v54, 0x7fffff, v2
	v_or_b32_e32 v28, 0x7e, v1
	v_cmp_ne_u64_e32 vcc, s[44:45], v[4:5]
	s_and_saveexec_b64 s[22:23], vcc
	s_xor_b64 s[24:25], exec, s[22:23]
	s_cbranch_execz .LBB4_482
; %bb.473:                              ;   in Loop: Header=BB4_124 Depth=2
	v_and_b32_e32 v4, 0x7fffffff, v2
	v_mov_b32_e32 v5, v55
	v_cmp_gt_u64_e32 vcc, s[46:47], v[4:5]
	s_and_saveexec_b64 s[60:61], vcc
	s_cbranch_execz .LBB4_481
; %bb.474:                              ;   in Loop: Header=BB4_124 Depth=2
	v_cmp_ne_u32_e32 vcc, 0, v2
	v_mov_b32_e32 v28, 0
	s_and_saveexec_b64 s[62:63], vcc
	s_cbranch_execz .LBB4_480
; %bb.475:                              ;   in Loop: Header=BB4_124 Depth=2
	v_bfe_u32 v2, v2, 23, 8
	v_sub_u32_e32 v4, 0x79, v2
	v_cmp_gt_u32_e32 vcc, s78, v2
	v_add_u32_e32 v3, 0xffffff81, v2
	v_cndmask_b32_e32 v4, 0, v4, vcc
	v_cmp_eq_u32_e32 vcc, 0, v2
	v_mov_b32_e32 v2, 0xffffff82
	v_cndmask_b32_e32 v18, v3, v2, vcc
	v_mov_b32_e32 v2, 0x78
	v_or_b32_e32 v5, 0x800000, v54
	v_cndmask_b32_e32 v4, v4, v2, vcc
	v_cndmask_b32_e32 v54, v5, v54, vcc
	v_add_u32_e32 v2, 20, v4
	v_lshlrev_b64 v[2:3], v2, -1
	v_add_u32_e32 v5, 19, v4
	v_lshrrev_b64 v[8:9], v4, v[54:55]
	v_not_b32_e32 v3, v3
	v_not_b32_e32 v2, v2
	v_lshlrev_b64 v[6:7], v5, 1
	v_lshrrev_b32_e32 v5, 23, v8
	v_and_b32_e32 v3, 0, v3
	v_and_b32_e32 v2, v54, v2
	v_add3_u32 v4, v4, v18, v5
	v_bfe_u32 v5, v8, 20, 1
	v_add_u32_e32 v5, -1, v5
	v_cmp_eq_u64_e32 vcc, v[2:3], v[6:7]
	v_cndmask_b32_e32 v2, 0, v5, vcc
	v_add_u32_e32 v2, v2, v8
	v_and_b32_e32 v2, 0xfffff, v2
	v_add_co_u32_e32 v2, vcc, v2, v8
	v_add_u32_e32 v19, 6, v4
	v_addc_co_u32_e32 v3, vcc, 0, v9, vcc
	v_cmp_ne_u32_e32 vcc, 0, v19
                                        ; implicit-def: $vgpr18
	s_and_saveexec_b64 s[22:23], vcc
	s_xor_b64 s[22:23], exec, s[22:23]
; %bb.476:                              ;   in Loop: Header=BB4_124 Depth=2
	v_add_u32_e32 v4, 7, v4
	v_cmp_lt_u64_e32 vcc, s[50:51], v[2:3]
	v_cndmask_b32_e32 v18, v19, v4, vcc
	v_cndmask_b32_e64 v4, 0, 1, vcc
	v_lshrrev_b64 v[2:3], v4, v[2:3]
; %bb.477:                              ;   in Loop: Header=BB4_124 Depth=2
	s_andn2_saveexec_b64 s[22:23], s[22:23]
; %bb.478:                              ;   in Loop: Header=BB4_124 Depth=2
	v_bfe_u32 v18, v2, 23, 1
; %bb.479:                              ;   in Loop: Header=BB4_124 Depth=2
	s_or_b64 exec, exec, s[22:23]
	v_lshrrev_b64 v[2:3], 20, v[2:3]
	v_cmp_gt_i32_e32 vcc, 16, v18
	v_cndmask_b32_e32 v3, 0, v3, vcc
	v_cndmask_b32_e32 v2, 7, v2, vcc
	v_cmp_eq_u64_e64 s[22:23], 0, v[2:3]
	v_min_i32_e32 v3, 15, v18
	v_cmp_eq_u32_e32 vcc, 0, v18
	v_lshlrev_b32_e32 v3, 3, v3
	v_and_or_b32 v2, v2, 7, v3
	s_and_b64 s[22:23], vcc, s[22:23]
	v_cndmask_b32_e64 v2, v2, 0, s[22:23]
	v_or_b32_e32 v28, v2, v1
.LBB4_480:                              ;   in Loop: Header=BB4_124 Depth=2
	s_or_b64 exec, exec, s[62:63]
.LBB4_481:                              ;   in Loop: Header=BB4_124 Depth=2
	s_or_b64 exec, exec, s[60:61]
                                        ; implicit-def: $vgpr2
.LBB4_482:                              ;   in Loop: Header=BB4_124 Depth=2
	s_andn2_saveexec_b64 s[22:23], s[24:25]
; %bb.483:                              ;   in Loop: Header=BB4_124 Depth=2
	v_or_b32_sdwa v1, v2, s76 dst_sel:DWORD dst_unused:UNUSED_PAD src0_sel:BYTE_3 src1_sel:DWORD
	v_cmp_eq_u64_e32 vcc, 0, v[54:55]
	v_cndmask_b32_e32 v28, v1, v28, vcc
; %bb.484:                              ;   in Loop: Header=BB4_124 Depth=2
	s_or_b64 exec, exec, s[22:23]
	v_lshrrev_b16_e32 v18, 8, v24
	v_lshrrev_b16_e32 v2, 8, v20
	v_cmp_ne_u16_e64 s[22:23], 0, v18
	s_and_b64 vcc, exec, s[58:59]
	s_cbranch_vccz .LBB4_498
; %bb.485:                              ;   in Loop: Header=BB4_124 Depth=2
	v_mov_b32_e32 v3, 0
	v_mov_b32_e32 v1, 0
	s_and_saveexec_b64 s[24:25], s[22:23]
	s_cbranch_execz .LBB4_491
; %bb.486:                              ;   in Loop: Header=BB4_124 Depth=2
	v_cmp_ne_u16_e32 vcc, s75, v18
	v_bfrev_b32_e32 v1, 1
	s_and_saveexec_b64 s[60:61], vcc
	s_cbranch_execz .LBB4_490
; %bb.487:                              ;   in Loop: Header=BB4_124 Depth=2
	v_and_b32_e32 v4, 0x7f, v18
	v_cmp_ne_u32_e32 vcc, s76, v4
	v_mov_b32_e32 v1, 0x7f800001
	s_and_saveexec_b64 s[62:63], vcc
	s_cbranch_execz .LBB4_489
; %bb.488:                              ;   in Loop: Header=BB4_124 Depth=2
	v_and_b32_e32 v1, 7, v18
	v_ffbh_u32_e32 v6, v1
	v_min_u32_e32 v8, 32, v6
	v_subrev_u32_e32 v6, 28, v8
	v_lshlrev_b64 v[6:7], v6, v[18:19]
	v_lshrrev_b32_e32 v5, 3, v4
	v_sub_u32_e32 v7, 29, v8
	v_and_b32_e32 v6, 7, v6
	v_cmp_gt_u32_e32 vcc, 8, v4
	v_cndmask_b32_e32 v4, v5, v7, vcc
	v_cndmask_b32_e32 v1, v1, v6, vcc
	v_lshlrev_b32_e32 v5, 16, v24
	v_lshlrev_b32_e32 v1, 20, v1
	v_and_b32_e32 v5, 0x80000000, v5
	v_lshl_add_u32 v4, v4, 23, v0
	v_or3_b32 v1, v5, v4, v1
.LBB4_489:                              ;   in Loop: Header=BB4_124 Depth=2
	s_or_b64 exec, exec, s[62:63]
.LBB4_490:                              ;   in Loop: Header=BB4_124 Depth=2
	s_or_b64 exec, exec, s[60:61]
.LBB4_491:                              ;   in Loop: Header=BB4_124 Depth=2
	s_or_b64 exec, exec, s[24:25]
	v_cmp_ne_u16_e32 vcc, 0, v2
	s_and_saveexec_b64 s[24:25], vcc
	s_cbranch_execz .LBB4_497
; %bb.492:                              ;   in Loop: Header=BB4_124 Depth=2
	v_cmp_ne_u16_e32 vcc, s75, v2
	v_bfrev_b32_e32 v3, 1
	s_and_saveexec_b64 s[60:61], vcc
	s_cbranch_execz .LBB4_496
; %bb.493:                              ;   in Loop: Header=BB4_124 Depth=2
	v_and_b32_e32 v4, 0x7f, v2
	v_cmp_ne_u32_e32 vcc, s76, v4
	v_mov_b32_e32 v3, 0x7f800001
	s_and_saveexec_b64 s[62:63], vcc
	s_cbranch_execz .LBB4_495
; %bb.494:                              ;   in Loop: Header=BB4_124 Depth=2
	v_and_b32_e32 v3, 7, v2
	v_ffbh_u32_e32 v6, v3
	v_min_u32_e32 v8, 32, v6
	v_subrev_u32_e32 v6, 28, v8
	v_lshlrev_b64 v[6:7], v6, v[2:3]
	v_lshrrev_b32_e32 v5, 3, v4
	v_sub_u32_e32 v7, 29, v8
	v_and_b32_e32 v6, 7, v6
	v_cmp_gt_u32_e32 vcc, 8, v4
	v_cndmask_b32_e32 v4, v5, v7, vcc
	v_cndmask_b32_e32 v3, v3, v6, vcc
	v_lshlrev_b32_e32 v5, 16, v20
	v_lshlrev_b32_e32 v3, 20, v3
	v_and_b32_e32 v5, 0x80000000, v5
	v_lshl_add_u32 v4, v4, 23, v0
	v_or3_b32 v3, v5, v4, v3
.LBB4_495:                              ;   in Loop: Header=BB4_124 Depth=2
	s_or_b64 exec, exec, s[62:63]
.LBB4_496:                              ;   in Loop: Header=BB4_124 Depth=2
	s_or_b64 exec, exec, s[60:61]
.LBB4_497:                              ;   in Loop: Header=BB4_124 Depth=2
	s_or_b64 exec, exec, s[24:25]
	v_max_f32_e32 v3, v3, v3
	v_max_f32_e32 v1, v1, v1
	;; [unrolled: 1-line block ×3, first 2 shown]
	s_branch .LBB4_512
.LBB4_498:                              ;   in Loop: Header=BB4_124 Depth=2
                                        ; implicit-def: $vgpr3
	s_cbranch_execz .LBB4_512
; %bb.499:                              ;   in Loop: Header=BB4_124 Depth=2
	v_mov_b32_e32 v3, 0
	v_mov_b32_e32 v1, 0
	s_and_saveexec_b64 s[24:25], s[22:23]
	s_cbranch_execz .LBB4_505
; %bb.500:                              ;   in Loop: Header=BB4_124 Depth=2
	v_cmp_ne_u16_e32 vcc, s75, v18
	v_bfrev_b32_e32 v1, 1
	s_and_saveexec_b64 s[22:23], vcc
	s_cbranch_execz .LBB4_504
; %bb.501:                              ;   in Loop: Header=BB4_124 Depth=2
	v_and_b32_e32 v4, 0x7f, v18
	v_cmp_ne_u32_e32 vcc, s76, v4
	v_mov_b32_e32 v1, 0x7f800001
	s_and_saveexec_b64 s[60:61], vcc
	s_cbranch_execz .LBB4_503
; %bb.502:                              ;   in Loop: Header=BB4_124 Depth=2
	v_and_b32_e32 v1, 7, v18
	v_ffbh_u32_e32 v6, v1
	v_min_u32_e32 v8, 32, v6
	v_subrev_u32_e32 v6, 28, v8
	v_lshlrev_b64 v[6:7], v6, v[18:19]
	v_lshrrev_b32_e32 v5, 3, v4
	v_sub_u32_e32 v7, 29, v8
	v_and_b32_e32 v6, 7, v6
	v_cmp_gt_u32_e32 vcc, 8, v4
	v_cndmask_b32_e32 v4, v5, v7, vcc
	v_cndmask_b32_e32 v1, v1, v6, vcc
	v_lshlrev_b32_e32 v5, 16, v24
	v_lshlrev_b32_e32 v1, 20, v1
	v_and_b32_e32 v5, 0x80000000, v5
	v_lshl_add_u32 v4, v4, 23, v0
	v_or3_b32 v1, v5, v4, v1
.LBB4_503:                              ;   in Loop: Header=BB4_124 Depth=2
	s_or_b64 exec, exec, s[60:61]
.LBB4_504:                              ;   in Loop: Header=BB4_124 Depth=2
	s_or_b64 exec, exec, s[22:23]
.LBB4_505:                              ;   in Loop: Header=BB4_124 Depth=2
	s_or_b64 exec, exec, s[24:25]
	v_cmp_ne_u16_e32 vcc, 0, v2
	s_and_saveexec_b64 s[22:23], vcc
	s_cbranch_execz .LBB4_511
; %bb.506:                              ;   in Loop: Header=BB4_124 Depth=2
	v_cmp_ne_u16_e32 vcc, s75, v2
	v_bfrev_b32_e32 v3, 1
	s_and_saveexec_b64 s[24:25], vcc
	s_cbranch_execz .LBB4_510
; %bb.507:                              ;   in Loop: Header=BB4_124 Depth=2
	v_and_b32_e32 v4, 0x7f, v2
	v_cmp_ne_u32_e32 vcc, s76, v4
	v_mov_b32_e32 v3, 0x7f800001
	s_and_saveexec_b64 s[60:61], vcc
	s_cbranch_execz .LBB4_509
; %bb.508:                              ;   in Loop: Header=BB4_124 Depth=2
	v_and_b32_e32 v5, 7, v2
	v_ffbh_u32_e32 v3, v5
	v_min_u32_e32 v7, 32, v3
	v_subrev_u32_e32 v3, 28, v7
	v_lshlrev_b64 v[2:3], v3, v[2:3]
	v_lshrrev_b32_e32 v6, 3, v4
	v_sub_u32_e32 v3, 29, v7
	v_and_b32_e32 v2, 7, v2
	v_cmp_gt_u32_e32 vcc, 8, v4
	v_cndmask_b32_e32 v3, v6, v3, vcc
	v_cndmask_b32_e32 v2, v5, v2, vcc
	v_lshlrev_b32_e32 v4, 16, v20
	v_lshlrev_b32_e32 v2, 20, v2
	v_and_b32_e32 v4, 0x80000000, v4
	v_lshl_add_u32 v3, v3, 23, v0
	v_or3_b32 v3, v4, v3, v2
.LBB4_509:                              ;   in Loop: Header=BB4_124 Depth=2
	s_or_b64 exec, exec, s[60:61]
.LBB4_510:                              ;   in Loop: Header=BB4_124 Depth=2
	s_or_b64 exec, exec, s[24:25]
.LBB4_511:                              ;   in Loop: Header=BB4_124 Depth=2
	s_or_b64 exec, exec, s[22:23]
	v_max_f32_e32 v2, v3, v3
	v_max_f32_e32 v1, v1, v1
	v_min_f32_e32 v3, v1, v2
.LBB4_512:                              ;   in Loop: Header=BB4_124 Depth=2
	v_and_b32_sdwa v1, v3, s75 dst_sel:DWORD dst_unused:UNUSED_PAD src0_sel:BYTE_3 src1_sel:DWORD
	v_and_b32_e32 v4, 0x7f800000, v3
	v_mov_b32_e32 v5, v55
	v_and_b32_e32 v54, 0x7fffff, v3
	v_or_b32_e32 v51, 0x7e, v1
	v_cmp_ne_u64_e32 vcc, s[44:45], v[4:5]
	s_and_saveexec_b64 s[22:23], vcc
	s_xor_b64 s[24:25], exec, s[22:23]
	s_cbranch_execz .LBB4_522
; %bb.513:                              ;   in Loop: Header=BB4_124 Depth=2
	v_and_b32_e32 v4, 0x7fffffff, v3
	v_mov_b32_e32 v5, v55
	v_cmp_gt_u64_e32 vcc, s[46:47], v[4:5]
	s_and_saveexec_b64 s[60:61], vcc
	s_cbranch_execz .LBB4_521
; %bb.514:                              ;   in Loop: Header=BB4_124 Depth=2
	v_cmp_ne_u32_e32 vcc, 0, v3
	v_mov_b32_e32 v51, 0
	s_and_saveexec_b64 s[62:63], vcc
	s_cbranch_execz .LBB4_520
; %bb.515:                              ;   in Loop: Header=BB4_124 Depth=2
	v_bfe_u32 v2, v3, 23, 8
	v_sub_u32_e32 v4, 0x79, v2
	v_cmp_gt_u32_e32 vcc, s78, v2
	v_add_u32_e32 v3, 0xffffff81, v2
	v_cndmask_b32_e32 v4, 0, v4, vcc
	v_cmp_eq_u32_e32 vcc, 0, v2
	v_mov_b32_e32 v2, 0xffffff82
	v_cndmask_b32_e32 v18, v3, v2, vcc
	v_mov_b32_e32 v2, 0x78
	v_or_b32_e32 v5, 0x800000, v54
	v_cndmask_b32_e32 v4, v4, v2, vcc
	v_cndmask_b32_e32 v54, v5, v54, vcc
	v_add_u32_e32 v2, 20, v4
	v_lshlrev_b64 v[2:3], v2, -1
	v_add_u32_e32 v5, 19, v4
	v_lshrrev_b64 v[8:9], v4, v[54:55]
	v_not_b32_e32 v3, v3
	v_not_b32_e32 v2, v2
	v_lshlrev_b64 v[6:7], v5, 1
	v_lshrrev_b32_e32 v5, 23, v8
	v_and_b32_e32 v3, 0, v3
	v_and_b32_e32 v2, v54, v2
	v_add3_u32 v4, v4, v18, v5
	v_bfe_u32 v5, v8, 20, 1
	v_add_u32_e32 v5, -1, v5
	v_cmp_eq_u64_e32 vcc, v[2:3], v[6:7]
	v_cndmask_b32_e32 v2, 0, v5, vcc
	v_add_u32_e32 v2, v2, v8
	v_and_b32_e32 v2, 0xfffff, v2
	v_add_co_u32_e32 v2, vcc, v2, v8
	v_add_u32_e32 v19, 6, v4
	v_addc_co_u32_e32 v3, vcc, 0, v9, vcc
	v_cmp_ne_u32_e32 vcc, 0, v19
                                        ; implicit-def: $vgpr18
	s_and_saveexec_b64 s[22:23], vcc
	s_xor_b64 s[22:23], exec, s[22:23]
; %bb.516:                              ;   in Loop: Header=BB4_124 Depth=2
	v_add_u32_e32 v4, 7, v4
	v_cmp_lt_u64_e32 vcc, s[50:51], v[2:3]
	v_cndmask_b32_e32 v18, v19, v4, vcc
	v_cndmask_b32_e64 v4, 0, 1, vcc
	v_lshrrev_b64 v[2:3], v4, v[2:3]
; %bb.517:                              ;   in Loop: Header=BB4_124 Depth=2
	s_andn2_saveexec_b64 s[22:23], s[22:23]
; %bb.518:                              ;   in Loop: Header=BB4_124 Depth=2
	v_bfe_u32 v18, v2, 23, 1
; %bb.519:                              ;   in Loop: Header=BB4_124 Depth=2
	s_or_b64 exec, exec, s[22:23]
	v_lshrrev_b64 v[2:3], 20, v[2:3]
	v_cmp_gt_i32_e32 vcc, 16, v18
	v_cndmask_b32_e32 v3, 0, v3, vcc
	v_cndmask_b32_e32 v2, 7, v2, vcc
	v_cmp_eq_u64_e64 s[22:23], 0, v[2:3]
	v_min_i32_e32 v3, 15, v18
	v_cmp_eq_u32_e32 vcc, 0, v18
	v_lshlrev_b32_e32 v3, 3, v3
	v_and_or_b32 v2, v2, 7, v3
	s_and_b64 s[22:23], vcc, s[22:23]
	v_cndmask_b32_e64 v2, v2, 0, s[22:23]
	v_or_b32_e32 v51, v2, v1
.LBB4_520:                              ;   in Loop: Header=BB4_124 Depth=2
	s_or_b64 exec, exec, s[62:63]
.LBB4_521:                              ;   in Loop: Header=BB4_124 Depth=2
	s_or_b64 exec, exec, s[60:61]
                                        ; implicit-def: $vgpr3
.LBB4_522:                              ;   in Loop: Header=BB4_124 Depth=2
	s_andn2_saveexec_b64 s[22:23], s[24:25]
; %bb.523:                              ;   in Loop: Header=BB4_124 Depth=2
	v_or_b32_sdwa v1, v3, s76 dst_sel:DWORD dst_unused:UNUSED_PAD src0_sel:BYTE_3 src1_sel:DWORD
	v_cmp_eq_u64_e32 vcc, 0, v[54:55]
	v_cndmask_b32_e32 v51, v1, v51, vcc
; %bb.524:                              ;   in Loop: Header=BB4_124 Depth=2
	s_or_b64 exec, exec, s[22:23]
	v_lshrrev_b32_e32 v18, 16, v24
	v_lshrrev_b32_e32 v2, 16, v20
	v_cmp_ne_u16_sdwa s[22:23], v18, v55 src0_sel:BYTE_0 src1_sel:DWORD
	s_and_b64 vcc, exec, s[58:59]
	s_cbranch_vccz .LBB4_538
; %bb.525:                              ;   in Loop: Header=BB4_124 Depth=2
	v_mov_b32_e32 v3, 0
	v_mov_b32_e32 v1, 0
	s_and_saveexec_b64 s[24:25], s[22:23]
	s_cbranch_execz .LBB4_531
; %bb.526:                              ;   in Loop: Header=BB4_124 Depth=2
	v_cmp_ne_u16_sdwa vcc, v18, s75 src0_sel:BYTE_0 src1_sel:DWORD
	v_bfrev_b32_e32 v1, 1
	s_and_saveexec_b64 s[60:61], vcc
	s_cbranch_execz .LBB4_530
; %bb.527:                              ;   in Loop: Header=BB4_124 Depth=2
	v_bfe_u32 v4, v24, 16, 7
	v_cmp_ne_u32_e32 vcc, s76, v4
	v_mov_b32_e32 v1, 0x7f800001
	s_and_saveexec_b64 s[62:63], vcc
	s_cbranch_execz .LBB4_529
; %bb.528:                              ;   in Loop: Header=BB4_124 Depth=2
	v_and_b32_e32 v1, 7, v18
	v_ffbh_u32_e32 v6, v1
	v_min_u32_e32 v8, 32, v6
	v_subrev_u32_e32 v6, 28, v8
	v_lshlrev_b64 v[6:7], v6, v[18:19]
	v_lshrrev_b32_e32 v5, 3, v4
	v_sub_u32_e32 v7, 29, v8
	v_and_b32_e32 v6, 7, v6
	v_cmp_gt_u32_e32 vcc, 8, v4
	v_cndmask_b32_e32 v4, v5, v7, vcc
	v_cndmask_b32_e32 v1, v1, v6, vcc
	v_lshlrev_b32_e32 v5, 24, v18
	v_lshlrev_b32_e32 v1, 20, v1
	v_and_b32_e32 v5, 0x80000000, v5
	v_lshl_add_u32 v4, v4, 23, v0
	v_or3_b32 v1, v5, v4, v1
.LBB4_529:                              ;   in Loop: Header=BB4_124 Depth=2
	s_or_b64 exec, exec, s[62:63]
.LBB4_530:                              ;   in Loop: Header=BB4_124 Depth=2
	s_or_b64 exec, exec, s[60:61]
.LBB4_531:                              ;   in Loop: Header=BB4_124 Depth=2
	s_or_b64 exec, exec, s[24:25]
	v_cmp_ne_u16_sdwa vcc, v2, v55 src0_sel:BYTE_0 src1_sel:DWORD
	s_and_saveexec_b64 s[24:25], vcc
	s_cbranch_execz .LBB4_537
; %bb.532:                              ;   in Loop: Header=BB4_124 Depth=2
	v_cmp_ne_u16_sdwa vcc, v2, s75 src0_sel:BYTE_0 src1_sel:DWORD
	v_bfrev_b32_e32 v3, 1
	s_and_saveexec_b64 s[60:61], vcc
	s_cbranch_execz .LBB4_536
; %bb.533:                              ;   in Loop: Header=BB4_124 Depth=2
	v_bfe_u32 v4, v20, 16, 7
	v_cmp_ne_u32_e32 vcc, s76, v4
	v_mov_b32_e32 v3, 0x7f800001
	s_and_saveexec_b64 s[62:63], vcc
	s_cbranch_execz .LBB4_535
; %bb.534:                              ;   in Loop: Header=BB4_124 Depth=2
	v_and_b32_e32 v3, 7, v2
	v_ffbh_u32_e32 v6, v3
	v_min_u32_e32 v8, 32, v6
	v_subrev_u32_e32 v6, 28, v8
	v_lshlrev_b64 v[6:7], v6, v[2:3]
	v_lshrrev_b32_e32 v5, 3, v4
	v_sub_u32_e32 v7, 29, v8
	v_and_b32_e32 v6, 7, v6
	v_cmp_gt_u32_e32 vcc, 8, v4
	v_cndmask_b32_e32 v4, v5, v7, vcc
	v_cndmask_b32_e32 v3, v3, v6, vcc
	v_lshlrev_b32_e32 v5, 24, v2
	v_lshlrev_b32_e32 v3, 20, v3
	v_and_b32_e32 v5, 0x80000000, v5
	v_lshl_add_u32 v4, v4, 23, v0
	v_or3_b32 v3, v5, v4, v3
.LBB4_535:                              ;   in Loop: Header=BB4_124 Depth=2
	s_or_b64 exec, exec, s[62:63]
.LBB4_536:                              ;   in Loop: Header=BB4_124 Depth=2
	s_or_b64 exec, exec, s[60:61]
.LBB4_537:                              ;   in Loop: Header=BB4_124 Depth=2
	s_or_b64 exec, exec, s[24:25]
	v_max_f32_e32 v3, v3, v3
	v_max_f32_e32 v1, v1, v1
	;; [unrolled: 1-line block ×3, first 2 shown]
	s_branch .LBB4_552
.LBB4_538:                              ;   in Loop: Header=BB4_124 Depth=2
                                        ; implicit-def: $vgpr3
	s_cbranch_execz .LBB4_552
; %bb.539:                              ;   in Loop: Header=BB4_124 Depth=2
	v_mov_b32_e32 v3, 0
	v_mov_b32_e32 v1, 0
	s_and_saveexec_b64 s[24:25], s[22:23]
	s_cbranch_execz .LBB4_545
; %bb.540:                              ;   in Loop: Header=BB4_124 Depth=2
	v_cmp_ne_u16_sdwa vcc, v18, s75 src0_sel:BYTE_0 src1_sel:DWORD
	v_bfrev_b32_e32 v1, 1
	s_and_saveexec_b64 s[22:23], vcc
	s_cbranch_execz .LBB4_544
; %bb.541:                              ;   in Loop: Header=BB4_124 Depth=2
	v_bfe_u32 v4, v24, 16, 7
	v_cmp_ne_u32_e32 vcc, s76, v4
	v_mov_b32_e32 v1, 0x7f800001
	s_and_saveexec_b64 s[60:61], vcc
	s_cbranch_execz .LBB4_543
; %bb.542:                              ;   in Loop: Header=BB4_124 Depth=2
	v_and_b32_e32 v1, 7, v18
	v_ffbh_u32_e32 v6, v1
	v_min_u32_e32 v8, 32, v6
	v_subrev_u32_e32 v6, 28, v8
	v_lshlrev_b64 v[6:7], v6, v[18:19]
	v_lshrrev_b32_e32 v5, 3, v4
	v_sub_u32_e32 v7, 29, v8
	v_and_b32_e32 v6, 7, v6
	v_cmp_gt_u32_e32 vcc, 8, v4
	v_cndmask_b32_e32 v4, v5, v7, vcc
	v_cndmask_b32_e32 v1, v1, v6, vcc
	v_lshlrev_b32_e32 v5, 24, v18
	v_lshlrev_b32_e32 v1, 20, v1
	v_and_b32_e32 v5, 0x80000000, v5
	v_lshl_add_u32 v4, v4, 23, v0
	v_or3_b32 v1, v5, v4, v1
.LBB4_543:                              ;   in Loop: Header=BB4_124 Depth=2
	s_or_b64 exec, exec, s[60:61]
.LBB4_544:                              ;   in Loop: Header=BB4_124 Depth=2
	s_or_b64 exec, exec, s[22:23]
.LBB4_545:                              ;   in Loop: Header=BB4_124 Depth=2
	s_or_b64 exec, exec, s[24:25]
	v_cmp_ne_u16_sdwa s[24:25], v2, v55 src0_sel:BYTE_0 src1_sel:DWORD
	s_and_saveexec_b64 s[22:23], s[24:25]
	s_cbranch_execz .LBB4_551
; %bb.546:                              ;   in Loop: Header=BB4_124 Depth=2
	v_cmp_ne_u16_sdwa vcc, v2, s75 src0_sel:BYTE_0 src1_sel:DWORD
	v_bfrev_b32_e32 v3, 1
	s_and_saveexec_b64 s[24:25], vcc
	s_cbranch_execz .LBB4_550
; %bb.547:                              ;   in Loop: Header=BB4_124 Depth=2
	v_bfe_u32 v4, v20, 16, 7
	v_cmp_ne_u32_e32 vcc, s76, v4
	v_mov_b32_e32 v3, 0x7f800001
	s_and_saveexec_b64 s[60:61], vcc
	s_cbranch_execz .LBB4_549
; %bb.548:                              ;   in Loop: Header=BB4_124 Depth=2
	v_and_b32_e32 v3, 7, v2
	v_ffbh_u32_e32 v6, v3
	v_min_u32_e32 v8, 32, v6
	v_subrev_u32_e32 v6, 28, v8
	v_lshlrev_b64 v[6:7], v6, v[2:3]
	v_lshrrev_b32_e32 v5, 3, v4
	v_sub_u32_e32 v7, 29, v8
	v_and_b32_e32 v6, 7, v6
	v_cmp_gt_u32_e32 vcc, 8, v4
	v_cndmask_b32_e32 v4, v5, v7, vcc
	v_cndmask_b32_e32 v3, v3, v6, vcc
	v_lshlrev_b32_e32 v2, 24, v2
	v_lshlrev_b32_e32 v3, 20, v3
	v_and_b32_e32 v2, 0x80000000, v2
	v_lshl_add_u32 v4, v4, 23, v0
	v_or3_b32 v3, v2, v4, v3
.LBB4_549:                              ;   in Loop: Header=BB4_124 Depth=2
	s_or_b64 exec, exec, s[60:61]
.LBB4_550:                              ;   in Loop: Header=BB4_124 Depth=2
	s_or_b64 exec, exec, s[24:25]
.LBB4_551:                              ;   in Loop: Header=BB4_124 Depth=2
	s_or_b64 exec, exec, s[22:23]
	v_max_f32_e32 v2, v3, v3
	v_max_f32_e32 v1, v1, v1
	v_min_f32_e32 v3, v1, v2
.LBB4_552:                              ;   in Loop: Header=BB4_124 Depth=2
	v_and_b32_sdwa v1, v3, s75 dst_sel:DWORD dst_unused:UNUSED_PAD src0_sel:BYTE_3 src1_sel:DWORD
	v_and_b32_e32 v4, 0x7f800000, v3
	v_mov_b32_e32 v5, v55
	v_and_b32_e32 v54, 0x7fffff, v3
	v_or_b32_e32 v52, 0x7e, v1
	v_cmp_ne_u64_e32 vcc, s[44:45], v[4:5]
	s_and_saveexec_b64 s[22:23], vcc
	s_xor_b64 s[24:25], exec, s[22:23]
	s_cbranch_execz .LBB4_562
; %bb.553:                              ;   in Loop: Header=BB4_124 Depth=2
	v_and_b32_e32 v4, 0x7fffffff, v3
	v_mov_b32_e32 v5, v55
	v_cmp_gt_u64_e32 vcc, s[46:47], v[4:5]
	s_and_saveexec_b64 s[60:61], vcc
	s_cbranch_execz .LBB4_561
; %bb.554:                              ;   in Loop: Header=BB4_124 Depth=2
	v_cmp_ne_u32_e32 vcc, 0, v3
	v_mov_b32_e32 v52, 0
	s_and_saveexec_b64 s[62:63], vcc
	s_cbranch_execz .LBB4_560
; %bb.555:                              ;   in Loop: Header=BB4_124 Depth=2
	v_bfe_u32 v2, v3, 23, 8
	v_sub_u32_e32 v4, 0x79, v2
	v_cmp_gt_u32_e32 vcc, s78, v2
	v_add_u32_e32 v3, 0xffffff81, v2
	v_cndmask_b32_e32 v4, 0, v4, vcc
	v_cmp_eq_u32_e32 vcc, 0, v2
	v_mov_b32_e32 v2, 0xffffff82
	v_cndmask_b32_e32 v18, v3, v2, vcc
	v_mov_b32_e32 v2, 0x78
	v_or_b32_e32 v5, 0x800000, v54
	v_cndmask_b32_e32 v4, v4, v2, vcc
	v_cndmask_b32_e32 v54, v5, v54, vcc
	v_add_u32_e32 v2, 20, v4
	v_lshlrev_b64 v[2:3], v2, -1
	v_add_u32_e32 v5, 19, v4
	v_lshrrev_b64 v[8:9], v4, v[54:55]
	v_not_b32_e32 v3, v3
	v_not_b32_e32 v2, v2
	v_lshlrev_b64 v[6:7], v5, 1
	v_lshrrev_b32_e32 v5, 23, v8
	v_and_b32_e32 v3, 0, v3
	v_and_b32_e32 v2, v54, v2
	v_add3_u32 v4, v4, v18, v5
	v_bfe_u32 v5, v8, 20, 1
	v_add_u32_e32 v5, -1, v5
	v_cmp_eq_u64_e32 vcc, v[2:3], v[6:7]
	v_cndmask_b32_e32 v2, 0, v5, vcc
	v_add_u32_e32 v2, v2, v8
	v_and_b32_e32 v2, 0xfffff, v2
	v_add_co_u32_e32 v2, vcc, v2, v8
	v_add_u32_e32 v19, 6, v4
	v_addc_co_u32_e32 v3, vcc, 0, v9, vcc
	v_cmp_ne_u32_e32 vcc, 0, v19
                                        ; implicit-def: $vgpr18
	s_and_saveexec_b64 s[22:23], vcc
	s_xor_b64 s[22:23], exec, s[22:23]
; %bb.556:                              ;   in Loop: Header=BB4_124 Depth=2
	v_add_u32_e32 v4, 7, v4
	v_cmp_lt_u64_e32 vcc, s[50:51], v[2:3]
	v_cndmask_b32_e32 v18, v19, v4, vcc
	v_cndmask_b32_e64 v4, 0, 1, vcc
	v_lshrrev_b64 v[2:3], v4, v[2:3]
; %bb.557:                              ;   in Loop: Header=BB4_124 Depth=2
	s_andn2_saveexec_b64 s[22:23], s[22:23]
; %bb.558:                              ;   in Loop: Header=BB4_124 Depth=2
	v_bfe_u32 v18, v2, 23, 1
; %bb.559:                              ;   in Loop: Header=BB4_124 Depth=2
	s_or_b64 exec, exec, s[22:23]
	v_lshrrev_b64 v[2:3], 20, v[2:3]
	v_cmp_gt_i32_e32 vcc, 16, v18
	v_cndmask_b32_e32 v3, 0, v3, vcc
	v_cndmask_b32_e32 v2, 7, v2, vcc
	v_cmp_eq_u64_e64 s[22:23], 0, v[2:3]
	v_min_i32_e32 v3, 15, v18
	v_cmp_eq_u32_e32 vcc, 0, v18
	v_lshlrev_b32_e32 v3, 3, v3
	v_and_or_b32 v2, v2, 7, v3
	s_and_b64 s[22:23], vcc, s[22:23]
	v_cndmask_b32_e64 v2, v2, 0, s[22:23]
	v_or_b32_e32 v52, v2, v1
.LBB4_560:                              ;   in Loop: Header=BB4_124 Depth=2
	s_or_b64 exec, exec, s[62:63]
.LBB4_561:                              ;   in Loop: Header=BB4_124 Depth=2
	s_or_b64 exec, exec, s[60:61]
                                        ; implicit-def: $vgpr3
.LBB4_562:                              ;   in Loop: Header=BB4_124 Depth=2
	s_andn2_saveexec_b64 s[22:23], s[24:25]
; %bb.563:                              ;   in Loop: Header=BB4_124 Depth=2
	v_or_b32_sdwa v1, v3, s76 dst_sel:DWORD dst_unused:UNUSED_PAD src0_sel:BYTE_3 src1_sel:DWORD
	v_cmp_eq_u64_e32 vcc, 0, v[54:55]
	v_cndmask_b32_e32 v52, v1, v52, vcc
; %bb.564:                              ;   in Loop: Header=BB4_124 Depth=2
	s_or_b64 exec, exec, s[22:23]
	v_lshrrev_b32_e32 v18, 24, v24
	v_lshrrev_b32_e32 v2, 24, v20
	v_cmp_lt_u32_e64 s[22:23], s49, v24
	s_and_b64 vcc, exec, s[58:59]
	s_cbranch_vccz .LBB4_578
; %bb.565:                              ;   in Loop: Header=BB4_124 Depth=2
	v_mov_b32_e32 v3, 0
	v_mov_b32_e32 v1, 0
	s_and_saveexec_b64 s[24:25], s[22:23]
	s_cbranch_execz .LBB4_571
; %bb.566:                              ;   in Loop: Header=BB4_124 Depth=2
	v_cmp_ne_u32_e32 vcc, s75, v18
	v_bfrev_b32_e32 v1, 1
	s_and_saveexec_b64 s[60:61], vcc
	s_cbranch_execz .LBB4_570
; %bb.567:                              ;   in Loop: Header=BB4_124 Depth=2
	v_bfe_u32 v4, v24, 24, 7
	v_cmp_ne_u32_e32 vcc, s76, v4
	v_mov_b32_e32 v1, 0x7f800001
	s_and_saveexec_b64 s[62:63], vcc
	s_cbranch_execz .LBB4_569
; %bb.568:                              ;   in Loop: Header=BB4_124 Depth=2
	v_and_b32_e32 v1, 7, v18
	v_ffbh_u32_e32 v6, v1
	v_min_u32_e32 v8, 32, v6
	v_subrev_u32_e32 v6, 28, v8
	v_lshlrev_b64 v[6:7], v6, v[18:19]
	v_lshrrev_b32_e32 v5, 3, v4
	v_sub_u32_e32 v7, 29, v8
	v_and_b32_e32 v6, 7, v6
	v_cmp_gt_u32_e32 vcc, 8, v4
	v_cndmask_b32_e32 v4, v5, v7, vcc
	v_cndmask_b32_e32 v1, v1, v6, vcc
	v_lshlrev_b32_e32 v5, 24, v18
	v_lshlrev_b32_e32 v1, 20, v1
	v_and_b32_e32 v5, 0x80000000, v5
	v_lshl_add_u32 v4, v4, 23, v0
	v_or3_b32 v1, v5, v4, v1
.LBB4_569:                              ;   in Loop: Header=BB4_124 Depth=2
	s_or_b64 exec, exec, s[62:63]
.LBB4_570:                              ;   in Loop: Header=BB4_124 Depth=2
	s_or_b64 exec, exec, s[60:61]
.LBB4_571:                              ;   in Loop: Header=BB4_124 Depth=2
	s_or_b64 exec, exec, s[24:25]
	v_cmp_lt_u32_e32 vcc, s49, v20
	s_and_saveexec_b64 s[24:25], vcc
	s_cbranch_execz .LBB4_577
; %bb.572:                              ;   in Loop: Header=BB4_124 Depth=2
	v_cmp_ne_u32_e32 vcc, s75, v2
	v_bfrev_b32_e32 v3, 1
	s_and_saveexec_b64 s[60:61], vcc
	s_cbranch_execz .LBB4_576
; %bb.573:                              ;   in Loop: Header=BB4_124 Depth=2
	v_bfe_u32 v4, v20, 24, 7
	v_cmp_ne_u32_e32 vcc, s76, v4
	v_mov_b32_e32 v3, 0x7f800001
	s_and_saveexec_b64 s[62:63], vcc
	s_cbranch_execz .LBB4_575
; %bb.574:                              ;   in Loop: Header=BB4_124 Depth=2
	v_and_b32_e32 v3, 7, v2
	v_ffbh_u32_e32 v6, v3
	v_min_u32_e32 v8, 32, v6
	v_subrev_u32_e32 v6, 28, v8
	v_lshlrev_b64 v[6:7], v6, v[2:3]
	v_lshrrev_b32_e32 v5, 3, v4
	v_sub_u32_e32 v7, 29, v8
	v_and_b32_e32 v6, 7, v6
	v_cmp_gt_u32_e32 vcc, 8, v4
	v_cndmask_b32_e32 v4, v5, v7, vcc
	v_cndmask_b32_e32 v3, v3, v6, vcc
	v_lshlrev_b32_e32 v5, 24, v2
	v_lshlrev_b32_e32 v3, 20, v3
	v_and_b32_e32 v5, 0x80000000, v5
	v_lshl_add_u32 v4, v4, 23, v0
	v_or3_b32 v3, v5, v4, v3
.LBB4_575:                              ;   in Loop: Header=BB4_124 Depth=2
	s_or_b64 exec, exec, s[62:63]
.LBB4_576:                              ;   in Loop: Header=BB4_124 Depth=2
	s_or_b64 exec, exec, s[60:61]
.LBB4_577:                              ;   in Loop: Header=BB4_124 Depth=2
	s_or_b64 exec, exec, s[24:25]
	v_max_f32_e32 v3, v3, v3
	v_max_f32_e32 v1, v1, v1
	;; [unrolled: 1-line block ×3, first 2 shown]
	s_branch .LBB4_592
.LBB4_578:                              ;   in Loop: Header=BB4_124 Depth=2
                                        ; implicit-def: $vgpr3
	s_cbranch_execz .LBB4_592
; %bb.579:                              ;   in Loop: Header=BB4_124 Depth=2
	v_mov_b32_e32 v3, 0
	v_mov_b32_e32 v1, 0
	s_and_saveexec_b64 s[24:25], s[22:23]
	s_cbranch_execz .LBB4_585
; %bb.580:                              ;   in Loop: Header=BB4_124 Depth=2
	v_cmp_ne_u32_e32 vcc, s75, v18
	v_bfrev_b32_e32 v1, 1
	s_and_saveexec_b64 s[22:23], vcc
	s_cbranch_execz .LBB4_584
; %bb.581:                              ;   in Loop: Header=BB4_124 Depth=2
	v_bfe_u32 v4, v24, 24, 7
	v_cmp_ne_u32_e32 vcc, s76, v4
	v_mov_b32_e32 v1, 0x7f800001
	s_and_saveexec_b64 s[60:61], vcc
	s_cbranch_execz .LBB4_583
; %bb.582:                              ;   in Loop: Header=BB4_124 Depth=2
	v_and_b32_e32 v1, 7, v18
	v_ffbh_u32_e32 v6, v1
	v_min_u32_e32 v8, 32, v6
	v_subrev_u32_e32 v6, 28, v8
	v_lshlrev_b64 v[6:7], v6, v[18:19]
	v_lshrrev_b32_e32 v5, 3, v4
	v_sub_u32_e32 v7, 29, v8
	v_and_b32_e32 v6, 7, v6
	v_cmp_gt_u32_e32 vcc, 8, v4
	v_cndmask_b32_e32 v4, v5, v7, vcc
	v_cndmask_b32_e32 v1, v1, v6, vcc
	v_lshlrev_b32_e32 v5, 24, v18
	v_lshlrev_b32_e32 v1, 20, v1
	v_and_b32_e32 v5, 0x80000000, v5
	v_lshl_add_u32 v4, v4, 23, v0
	v_or3_b32 v1, v5, v4, v1
.LBB4_583:                              ;   in Loop: Header=BB4_124 Depth=2
	s_or_b64 exec, exec, s[60:61]
.LBB4_584:                              ;   in Loop: Header=BB4_124 Depth=2
	s_or_b64 exec, exec, s[22:23]
.LBB4_585:                              ;   in Loop: Header=BB4_124 Depth=2
	s_or_b64 exec, exec, s[24:25]
	v_cmp_lt_u32_e32 vcc, s49, v20
	s_and_saveexec_b64 s[22:23], vcc
	s_cbranch_execz .LBB4_591
; %bb.586:                              ;   in Loop: Header=BB4_124 Depth=2
	v_cmp_ne_u32_e32 vcc, s75, v2
	v_bfrev_b32_e32 v3, 1
	s_and_saveexec_b64 s[24:25], vcc
	s_cbranch_execz .LBB4_590
; %bb.587:                              ;   in Loop: Header=BB4_124 Depth=2
	v_bfe_u32 v4, v20, 24, 7
	v_cmp_ne_u32_e32 vcc, s76, v4
	v_mov_b32_e32 v3, 0x7f800001
	s_and_saveexec_b64 s[60:61], vcc
	s_cbranch_execz .LBB4_589
; %bb.588:                              ;   in Loop: Header=BB4_124 Depth=2
	v_and_b32_e32 v3, 7, v2
	v_ffbh_u32_e32 v6, v3
	v_min_u32_e32 v8, 32, v6
	v_subrev_u32_e32 v6, 28, v8
	v_lshlrev_b64 v[6:7], v6, v[2:3]
	v_lshrrev_b32_e32 v5, 3, v4
	v_sub_u32_e32 v7, 29, v8
	v_and_b32_e32 v6, 7, v6
	v_cmp_gt_u32_e32 vcc, 8, v4
	v_cndmask_b32_e32 v4, v5, v7, vcc
	v_cndmask_b32_e32 v3, v3, v6, vcc
	v_lshlrev_b32_e32 v2, 24, v2
	v_lshlrev_b32_e32 v3, 20, v3
	v_and_b32_e32 v2, 0x80000000, v2
	v_lshl_add_u32 v4, v4, 23, v0
	v_or3_b32 v3, v2, v4, v3
.LBB4_589:                              ;   in Loop: Header=BB4_124 Depth=2
	s_or_b64 exec, exec, s[60:61]
.LBB4_590:                              ;   in Loop: Header=BB4_124 Depth=2
	s_or_b64 exec, exec, s[24:25]
.LBB4_591:                              ;   in Loop: Header=BB4_124 Depth=2
	s_or_b64 exec, exec, s[22:23]
	v_max_f32_e32 v2, v3, v3
	v_max_f32_e32 v1, v1, v1
	v_min_f32_e32 v3, v1, v2
.LBB4_592:                              ;   in Loop: Header=BB4_124 Depth=2
	v_and_b32_sdwa v1, v3, s75 dst_sel:DWORD dst_unused:UNUSED_PAD src0_sel:BYTE_3 src1_sel:DWORD
	v_and_b32_e32 v4, 0x7f800000, v3
	v_mov_b32_e32 v5, v55
	v_and_b32_e32 v54, 0x7fffff, v3
	v_or_b32_e32 v46, 0x7e, v1
	v_cmp_ne_u64_e32 vcc, s[44:45], v[4:5]
	s_and_saveexec_b64 s[22:23], vcc
	s_xor_b64 s[24:25], exec, s[22:23]
	s_cbranch_execz .LBB4_602
; %bb.593:                              ;   in Loop: Header=BB4_124 Depth=2
	v_and_b32_e32 v4, 0x7fffffff, v3
	v_mov_b32_e32 v5, v55
	v_cmp_gt_u64_e32 vcc, s[46:47], v[4:5]
	s_and_saveexec_b64 s[60:61], vcc
	s_cbranch_execz .LBB4_601
; %bb.594:                              ;   in Loop: Header=BB4_124 Depth=2
	v_cmp_ne_u32_e32 vcc, 0, v3
	v_mov_b32_e32 v46, 0
	s_and_saveexec_b64 s[62:63], vcc
	s_cbranch_execz .LBB4_600
; %bb.595:                              ;   in Loop: Header=BB4_124 Depth=2
	v_bfe_u32 v2, v3, 23, 8
	v_sub_u32_e32 v4, 0x79, v2
	v_cmp_gt_u32_e32 vcc, s78, v2
	v_add_u32_e32 v3, 0xffffff81, v2
	v_cndmask_b32_e32 v4, 0, v4, vcc
	v_cmp_eq_u32_e32 vcc, 0, v2
	v_mov_b32_e32 v2, 0xffffff82
	v_cndmask_b32_e32 v18, v3, v2, vcc
	v_mov_b32_e32 v2, 0x78
	v_or_b32_e32 v5, 0x800000, v54
	v_cndmask_b32_e32 v4, v4, v2, vcc
	v_cndmask_b32_e32 v54, v5, v54, vcc
	v_add_u32_e32 v2, 20, v4
	v_lshlrev_b64 v[2:3], v2, -1
	v_add_u32_e32 v5, 19, v4
	v_lshrrev_b64 v[8:9], v4, v[54:55]
	v_not_b32_e32 v3, v3
	v_not_b32_e32 v2, v2
	v_lshlrev_b64 v[6:7], v5, 1
	v_lshrrev_b32_e32 v5, 23, v8
	v_and_b32_e32 v3, 0, v3
	v_and_b32_e32 v2, v54, v2
	v_add3_u32 v4, v4, v18, v5
	v_bfe_u32 v5, v8, 20, 1
	v_add_u32_e32 v5, -1, v5
	v_cmp_eq_u64_e32 vcc, v[2:3], v[6:7]
	v_cndmask_b32_e32 v2, 0, v5, vcc
	v_add_u32_e32 v2, v2, v8
	v_and_b32_e32 v2, 0xfffff, v2
	v_add_co_u32_e32 v2, vcc, v2, v8
	v_add_u32_e32 v19, 6, v4
	v_addc_co_u32_e32 v3, vcc, 0, v9, vcc
	v_cmp_ne_u32_e32 vcc, 0, v19
                                        ; implicit-def: $vgpr18
	s_and_saveexec_b64 s[22:23], vcc
	s_xor_b64 s[22:23], exec, s[22:23]
; %bb.596:                              ;   in Loop: Header=BB4_124 Depth=2
	v_add_u32_e32 v4, 7, v4
	v_cmp_lt_u64_e32 vcc, s[50:51], v[2:3]
	v_cndmask_b32_e32 v18, v19, v4, vcc
	v_cndmask_b32_e64 v4, 0, 1, vcc
	v_lshrrev_b64 v[2:3], v4, v[2:3]
; %bb.597:                              ;   in Loop: Header=BB4_124 Depth=2
	s_andn2_saveexec_b64 s[22:23], s[22:23]
; %bb.598:                              ;   in Loop: Header=BB4_124 Depth=2
	v_bfe_u32 v18, v2, 23, 1
; %bb.599:                              ;   in Loop: Header=BB4_124 Depth=2
	s_or_b64 exec, exec, s[22:23]
	v_lshrrev_b64 v[2:3], 20, v[2:3]
	v_cmp_gt_i32_e32 vcc, 16, v18
	v_cndmask_b32_e32 v3, 0, v3, vcc
	v_cndmask_b32_e32 v2, 7, v2, vcc
	v_cmp_eq_u64_e64 s[22:23], 0, v[2:3]
	v_min_i32_e32 v3, 15, v18
	v_cmp_eq_u32_e32 vcc, 0, v18
	v_lshlrev_b32_e32 v3, 3, v3
	v_and_or_b32 v2, v2, 7, v3
	s_and_b64 s[22:23], vcc, s[22:23]
	v_cndmask_b32_e64 v2, v2, 0, s[22:23]
	v_or_b32_e32 v46, v2, v1
.LBB4_600:                              ;   in Loop: Header=BB4_124 Depth=2
	s_or_b64 exec, exec, s[62:63]
.LBB4_601:                              ;   in Loop: Header=BB4_124 Depth=2
	s_or_b64 exec, exec, s[60:61]
                                        ; implicit-def: $vgpr3
.LBB4_602:                              ;   in Loop: Header=BB4_124 Depth=2
	s_andn2_saveexec_b64 s[22:23], s[24:25]
; %bb.603:                              ;   in Loop: Header=BB4_124 Depth=2
	v_or_b32_sdwa v1, v3, s76 dst_sel:DWORD dst_unused:UNUSED_PAD src0_sel:BYTE_3 src1_sel:DWORD
	v_cmp_eq_u64_e32 vcc, 0, v[54:55]
	v_cndmask_b32_e32 v46, v1, v46, vcc
; %bb.604:                              ;   in Loop: Header=BB4_124 Depth=2
	s_or_b64 exec, exec, s[22:23]
	v_mov_b32_e32 v54, v25
	v_mov_b32_e32 v18, v21
	;; [unrolled: 1-line block ×3, first 2 shown]
	v_cmp_ne_u16_sdwa s[22:23], v25, v55 src0_sel:BYTE_0 src1_sel:DWORD
	s_and_b64 vcc, exec, s[58:59]
	s_cbranch_vccz .LBB4_618
; %bb.605:                              ;   in Loop: Header=BB4_124 Depth=2
	v_mov_b32_e32 v2, 0
	v_mov_b32_e32 v1, 0
	s_and_saveexec_b64 s[24:25], s[22:23]
	s_cbranch_execz .LBB4_611
; %bb.606:                              ;   in Loop: Header=BB4_124 Depth=2
	v_cmp_ne_u16_sdwa vcc, v25, s75 src0_sel:BYTE_0 src1_sel:DWORD
	v_bfrev_b32_e32 v1, 1
	s_and_saveexec_b64 s[60:61], vcc
	s_cbranch_execz .LBB4_610
; %bb.607:                              ;   in Loop: Header=BB4_124 Depth=2
	v_and_b32_e32 v3, 0x7f, v25
	v_cmp_ne_u32_e32 vcc, s76, v3
	v_mov_b32_e32 v1, 0x7f800001
	s_and_saveexec_b64 s[62:63], vcc
	s_cbranch_execz .LBB4_609
; %bb.608:                              ;   in Loop: Header=BB4_124 Depth=2
	v_and_b32_e32 v1, 7, v25
	v_ffbh_u32_e32 v1, v1
	v_min_u32_e32 v1, 32, v1
	v_subrev_u32_e32 v5, 28, v1
	v_cmp_gt_u32_e32 vcc, 8, v3
	v_lshrrev_b32_e32 v4, 3, v3
	v_sub_u32_e32 v1, 29, v1
	v_cndmask_b32_e32 v3, 0, v5, vcc
	v_cndmask_b32_e32 v1, v4, v1, vcc
	v_lshlrev_b64 v[4:5], v3, v[54:55]
	v_lshlrev_b32_e32 v3, 20, v4
	v_lshlrev_b32_e32 v4, 24, v54
	v_and_b32_e32 v3, 0x700000, v3
	v_and_b32_e32 v4, 0x80000000, v4
	v_lshl_add_u32 v1, v1, 23, v0
	v_or3_b32 v1, v4, v1, v3
.LBB4_609:                              ;   in Loop: Header=BB4_124 Depth=2
	s_or_b64 exec, exec, s[62:63]
.LBB4_610:                              ;   in Loop: Header=BB4_124 Depth=2
	s_or_b64 exec, exec, s[60:61]
.LBB4_611:                              ;   in Loop: Header=BB4_124 Depth=2
	s_or_b64 exec, exec, s[24:25]
	v_cmp_ne_u16_sdwa vcc, v21, v55 src0_sel:BYTE_0 src1_sel:DWORD
	s_and_saveexec_b64 s[24:25], vcc
	s_cbranch_execz .LBB4_617
; %bb.612:                              ;   in Loop: Header=BB4_124 Depth=2
	v_cmp_ne_u16_sdwa vcc, v21, s75 src0_sel:BYTE_0 src1_sel:DWORD
	v_bfrev_b32_e32 v2, 1
	s_and_saveexec_b64 s[60:61], vcc
	s_cbranch_execz .LBB4_616
; %bb.613:                              ;   in Loop: Header=BB4_124 Depth=2
	v_and_b32_e32 v3, 0x7f, v21
	v_cmp_ne_u32_e32 vcc, s76, v3
	v_mov_b32_e32 v2, 0x7f800001
	s_and_saveexec_b64 s[62:63], vcc
	s_cbranch_execz .LBB4_615
; %bb.614:                              ;   in Loop: Header=BB4_124 Depth=2
	v_and_b32_e32 v2, 7, v21
	v_ffbh_u32_e32 v2, v2
	v_min_u32_e32 v2, 32, v2
	v_lshrrev_b32_e32 v4, 3, v3
	v_subrev_u32_e32 v5, 28, v2
	v_sub_u32_e32 v2, 29, v2
	v_cmp_gt_u32_e32 vcc, 8, v3
	v_cndmask_b32_e32 v4, v4, v2, vcc
	v_cndmask_b32_e32 v2, 0, v5, vcc
	v_lshlrev_b64 v[2:3], v2, v[18:19]
	v_lshlrev_b32_e32 v2, 20, v2
	v_lshlrev_b32_e32 v3, 24, v18
	v_and_b32_e32 v2, 0x700000, v2
	v_and_b32_e32 v3, 0x80000000, v3
	v_lshl_add_u32 v4, v4, 23, v0
	v_or3_b32 v2, v3, v4, v2
.LBB4_615:                              ;   in Loop: Header=BB4_124 Depth=2
	s_or_b64 exec, exec, s[62:63]
.LBB4_616:                              ;   in Loop: Header=BB4_124 Depth=2
	s_or_b64 exec, exec, s[60:61]
.LBB4_617:                              ;   in Loop: Header=BB4_124 Depth=2
	s_or_b64 exec, exec, s[24:25]
	v_max_f32_e32 v2, v2, v2
	v_max_f32_e32 v1, v1, v1
	v_max_f32_e32 v22, v1, v2
	s_branch .LBB4_632
.LBB4_618:                              ;   in Loop: Header=BB4_124 Depth=2
                                        ; implicit-def: $vgpr22
	s_cbranch_execz .LBB4_632
; %bb.619:                              ;   in Loop: Header=BB4_124 Depth=2
	v_mov_b32_e32 v2, 0
	v_mov_b32_e32 v1, 0
	s_and_saveexec_b64 s[24:25], s[22:23]
	s_cbranch_execz .LBB4_625
; %bb.620:                              ;   in Loop: Header=BB4_124 Depth=2
	v_cmp_ne_u16_sdwa vcc, v25, s75 src0_sel:BYTE_0 src1_sel:DWORD
	v_bfrev_b32_e32 v1, 1
	s_and_saveexec_b64 s[22:23], vcc
	s_cbranch_execz .LBB4_624
; %bb.621:                              ;   in Loop: Header=BB4_124 Depth=2
	v_and_b32_e32 v3, 0x7f, v25
	v_cmp_ne_u32_e32 vcc, s76, v3
	v_mov_b32_e32 v1, 0x7f800001
	s_and_saveexec_b64 s[60:61], vcc
	s_cbranch_execz .LBB4_623
; %bb.622:                              ;   in Loop: Header=BB4_124 Depth=2
	v_and_b32_e32 v1, 7, v25
	v_ffbh_u32_e32 v1, v1
	v_min_u32_e32 v1, 32, v1
	v_subrev_u32_e32 v5, 28, v1
	v_cmp_gt_u32_e32 vcc, 8, v3
	v_lshrrev_b32_e32 v4, 3, v3
	v_sub_u32_e32 v1, 29, v1
	v_cndmask_b32_e32 v3, 0, v5, vcc
	v_cndmask_b32_e32 v1, v4, v1, vcc
	v_lshlrev_b64 v[4:5], v3, v[54:55]
	v_lshlrev_b32_e32 v3, 20, v4
	v_lshlrev_b32_e32 v4, 24, v54
	v_and_b32_e32 v3, 0x700000, v3
	v_and_b32_e32 v4, 0x80000000, v4
	v_lshl_add_u32 v1, v1, 23, v0
	v_or3_b32 v1, v4, v1, v3
.LBB4_623:                              ;   in Loop: Header=BB4_124 Depth=2
	s_or_b64 exec, exec, s[60:61]
.LBB4_624:                              ;   in Loop: Header=BB4_124 Depth=2
	s_or_b64 exec, exec, s[22:23]
.LBB4_625:                              ;   in Loop: Header=BB4_124 Depth=2
	s_or_b64 exec, exec, s[24:25]
	v_cmp_ne_u16_sdwa s[24:25], v21, v55 src0_sel:BYTE_0 src1_sel:DWORD
	s_and_saveexec_b64 s[22:23], s[24:25]
	s_cbranch_execz .LBB4_631
; %bb.626:                              ;   in Loop: Header=BB4_124 Depth=2
	v_cmp_ne_u16_sdwa vcc, v21, s75 src0_sel:BYTE_0 src1_sel:DWORD
	v_bfrev_b32_e32 v2, 1
	s_and_saveexec_b64 s[24:25], vcc
	s_cbranch_execz .LBB4_630
; %bb.627:                              ;   in Loop: Header=BB4_124 Depth=2
	v_and_b32_e32 v3, 0x7f, v21
	v_cmp_ne_u32_e32 vcc, s76, v3
	v_mov_b32_e32 v2, 0x7f800001
	s_and_saveexec_b64 s[60:61], vcc
	s_cbranch_execz .LBB4_629
; %bb.628:                              ;   in Loop: Header=BB4_124 Depth=2
	v_and_b32_e32 v2, 7, v21
	v_ffbh_u32_e32 v2, v2
	v_min_u32_e32 v2, 32, v2
	v_lshrrev_b32_e32 v4, 3, v3
	v_subrev_u32_e32 v5, 28, v2
	v_sub_u32_e32 v2, 29, v2
	v_cmp_gt_u32_e32 vcc, 8, v3
	v_cndmask_b32_e32 v4, v4, v2, vcc
	v_cndmask_b32_e32 v2, 0, v5, vcc
	v_lshlrev_b64 v[2:3], v2, v[18:19]
	v_lshlrev_b32_e32 v2, 20, v2
	v_lshlrev_b32_e32 v3, 24, v18
	v_and_b32_e32 v2, 0x700000, v2
	v_and_b32_e32 v3, 0x80000000, v3
	v_lshl_add_u32 v4, v4, 23, v0
	v_or3_b32 v2, v3, v4, v2
.LBB4_629:                              ;   in Loop: Header=BB4_124 Depth=2
	s_or_b64 exec, exec, s[60:61]
.LBB4_630:                              ;   in Loop: Header=BB4_124 Depth=2
	s_or_b64 exec, exec, s[24:25]
.LBB4_631:                              ;   in Loop: Header=BB4_124 Depth=2
	s_or_b64 exec, exec, s[22:23]
	v_max_f32_e32 v2, v2, v2
	v_max_f32_e32 v1, v1, v1
	v_min_f32_e32 v22, v1, v2
.LBB4_632:                              ;   in Loop: Header=BB4_124 Depth=2
	v_and_b32_sdwa v1, v22, s75 dst_sel:DWORD dst_unused:UNUSED_PAD src0_sel:BYTE_3 src1_sel:DWORD
	v_and_b32_e32 v4, 0x7f800000, v22
	v_mov_b32_e32 v5, v55
	v_and_b32_e32 v2, 0x7fffff, v22
	v_mov_b32_e32 v3, v55
	v_or_b32_e32 v56, 0x7e, v1
	v_cmp_ne_u64_e32 vcc, s[44:45], v[4:5]
	s_and_saveexec_b64 s[22:23], vcc
	s_xor_b64 s[24:25], exec, s[22:23]
	s_cbranch_execz .LBB4_642
; %bb.633:                              ;   in Loop: Header=BB4_124 Depth=2
	v_and_b32_e32 v4, 0x7fffffff, v22
	v_mov_b32_e32 v5, v55
	v_cmp_gt_u64_e32 vcc, s[46:47], v[4:5]
	s_and_saveexec_b64 s[60:61], vcc
	s_cbranch_execz .LBB4_641
; %bb.634:                              ;   in Loop: Header=BB4_124 Depth=2
	v_cmp_ne_u32_e32 vcc, 0, v22
	v_mov_b32_e32 v56, 0
	s_and_saveexec_b64 s[62:63], vcc
	s_cbranch_execz .LBB4_640
; %bb.635:                              ;   in Loop: Header=BB4_124 Depth=2
	v_bfe_u32 v4, v22, 23, 8
	v_sub_u32_e32 v6, 0x79, v4
	v_cmp_gt_u32_e32 vcc, s78, v4
	v_add_u32_e32 v5, 0xffffff81, v4
	v_cndmask_b32_e32 v6, 0, v6, vcc
	v_cmp_eq_u32_e32 vcc, 0, v4
	v_mov_b32_e32 v4, 0xffffff82
	v_cndmask_b32_e32 v19, v5, v4, vcc
	v_mov_b32_e32 v4, 0x78
	v_cndmask_b32_e32 v22, v6, v4, vcc
	v_add_u32_e32 v4, 20, v22
	v_or_b32_e32 v7, 0x800000, v2
	v_lshlrev_b64 v[4:5], v4, -1
	v_cndmask_b32_e32 v2, v7, v2, vcc
	v_not_b32_e32 v4, v4
	v_not_b32_e32 v5, v5
	v_and_b32_e32 v6, v2, v4
	v_add_u32_e32 v4, 19, v22
	v_lshrrev_b64 v[2:3], v22, v[2:3]
	v_and_b32_e32 v7, 0, v5
	v_lshlrev_b64 v[8:9], v4, 1
	v_bfe_u32 v5, v2, 20, 1
	v_add_u32_e32 v5, -1, v5
	v_cmp_eq_u64_e32 vcc, v[6:7], v[8:9]
	v_cndmask_b32_e32 v5, 0, v5, vcc
	v_add_u32_e32 v5, v5, v2
	v_lshrrev_b32_e32 v4, 23, v2
	v_and_b32_e32 v5, 0xfffff, v5
	v_add3_u32 v4, v22, v19, v4
	v_add_co_u32_e32 v2, vcc, v5, v2
	v_add_u32_e32 v22, 6, v4
	v_addc_co_u32_e32 v3, vcc, 0, v3, vcc
	v_cmp_ne_u32_e32 vcc, 0, v22
                                        ; implicit-def: $vgpr19
	s_and_saveexec_b64 s[22:23], vcc
	s_xor_b64 s[22:23], exec, s[22:23]
; %bb.636:                              ;   in Loop: Header=BB4_124 Depth=2
	v_add_u32_e32 v4, 7, v4
	v_cmp_lt_u64_e32 vcc, s[50:51], v[2:3]
	v_cndmask_b32_e32 v19, v22, v4, vcc
	v_cndmask_b32_e64 v4, 0, 1, vcc
	v_lshrrev_b64 v[2:3], v4, v[2:3]
; %bb.637:                              ;   in Loop: Header=BB4_124 Depth=2
	s_andn2_saveexec_b64 s[22:23], s[22:23]
; %bb.638:                              ;   in Loop: Header=BB4_124 Depth=2
	v_bfe_u32 v19, v2, 23, 1
; %bb.639:                              ;   in Loop: Header=BB4_124 Depth=2
	s_or_b64 exec, exec, s[22:23]
	v_lshrrev_b64 v[2:3], 20, v[2:3]
	v_cmp_gt_i32_e32 vcc, 16, v19
	v_cndmask_b32_e32 v3, 0, v3, vcc
	v_cndmask_b32_e32 v2, 7, v2, vcc
	v_cmp_eq_u64_e64 s[22:23], 0, v[2:3]
	v_min_i32_e32 v3, 15, v19
	v_cmp_eq_u32_e32 vcc, 0, v19
	v_lshlrev_b32_e32 v3, 3, v3
	v_and_or_b32 v2, v2, 7, v3
	s_and_b64 s[22:23], vcc, s[22:23]
	v_cndmask_b32_e64 v2, v2, 0, s[22:23]
	v_or_b32_e32 v56, v2, v1
.LBB4_640:                              ;   in Loop: Header=BB4_124 Depth=2
	s_or_b64 exec, exec, s[62:63]
.LBB4_641:                              ;   in Loop: Header=BB4_124 Depth=2
	s_or_b64 exec, exec, s[60:61]
                                        ; implicit-def: $vgpr22
                                        ; implicit-def: $vgpr2_vgpr3
.LBB4_642:                              ;   in Loop: Header=BB4_124 Depth=2
	s_andn2_saveexec_b64 s[22:23], s[24:25]
; %bb.643:                              ;   in Loop: Header=BB4_124 Depth=2
	v_or_b32_sdwa v1, v22, s76 dst_sel:DWORD dst_unused:UNUSED_PAD src0_sel:BYTE_3 src1_sel:DWORD
	v_cmp_eq_u64_e32 vcc, 0, v[2:3]
	v_cndmask_b32_e32 v56, v1, v56, vcc
; %bb.644:                              ;   in Loop: Header=BB4_124 Depth=2
	s_or_b64 exec, exec, s[22:23]
	v_lshrrev_b16_e32 v22, 8, v54
	v_lshrrev_b16_e32 v2, 8, v18
	v_cmp_ne_u16_e64 s[22:23], 0, v22
	s_and_b64 vcc, exec, s[58:59]
	s_cbranch_vccz .LBB4_658
; %bb.645:                              ;   in Loop: Header=BB4_124 Depth=2
	v_mov_b32_e32 v3, 0
	v_mov_b32_e32 v1, 0
	s_and_saveexec_b64 s[24:25], s[22:23]
	s_cbranch_execz .LBB4_651
; %bb.646:                              ;   in Loop: Header=BB4_124 Depth=2
	v_cmp_ne_u16_e32 vcc, s75, v22
	v_bfrev_b32_e32 v1, 1
	s_and_saveexec_b64 s[60:61], vcc
	s_cbranch_execz .LBB4_650
; %bb.647:                              ;   in Loop: Header=BB4_124 Depth=2
	v_and_b32_e32 v4, 0x7f, v22
	v_cmp_ne_u32_e32 vcc, s76, v4
	v_mov_b32_e32 v1, 0x7f800001
	s_and_saveexec_b64 s[62:63], vcc
	s_cbranch_execz .LBB4_649
; %bb.648:                              ;   in Loop: Header=BB4_124 Depth=2
	v_and_b32_e32 v1, 7, v22
	v_ffbh_u32_e32 v6, v1
	v_min_u32_e32 v8, 32, v6
	v_subrev_u32_e32 v6, 28, v8
	v_lshlrev_b64 v[6:7], v6, v[22:23]
	v_lshrrev_b32_e32 v5, 3, v4
	v_sub_u32_e32 v7, 29, v8
	v_and_b32_e32 v6, 7, v6
	v_cmp_gt_u32_e32 vcc, 8, v4
	v_cndmask_b32_e32 v4, v5, v7, vcc
	v_cndmask_b32_e32 v1, v1, v6, vcc
	v_lshlrev_b32_e32 v5, 16, v54
	v_lshlrev_b32_e32 v1, 20, v1
	v_and_b32_e32 v5, 0x80000000, v5
	v_lshl_add_u32 v4, v4, 23, v0
	v_or3_b32 v1, v5, v4, v1
.LBB4_649:                              ;   in Loop: Header=BB4_124 Depth=2
	s_or_b64 exec, exec, s[62:63]
.LBB4_650:                              ;   in Loop: Header=BB4_124 Depth=2
	s_or_b64 exec, exec, s[60:61]
.LBB4_651:                              ;   in Loop: Header=BB4_124 Depth=2
	s_or_b64 exec, exec, s[24:25]
	v_cmp_ne_u16_e32 vcc, 0, v2
	s_and_saveexec_b64 s[24:25], vcc
	s_cbranch_execz .LBB4_657
; %bb.652:                              ;   in Loop: Header=BB4_124 Depth=2
	v_cmp_ne_u16_e32 vcc, s75, v2
	v_bfrev_b32_e32 v3, 1
	s_and_saveexec_b64 s[60:61], vcc
	s_cbranch_execz .LBB4_656
; %bb.653:                              ;   in Loop: Header=BB4_124 Depth=2
	v_and_b32_e32 v4, 0x7f, v2
	v_cmp_ne_u32_e32 vcc, s76, v4
	v_mov_b32_e32 v3, 0x7f800001
	s_and_saveexec_b64 s[62:63], vcc
	s_cbranch_execz .LBB4_655
; %bb.654:                              ;   in Loop: Header=BB4_124 Depth=2
	v_and_b32_e32 v3, 7, v2
	v_ffbh_u32_e32 v6, v3
	v_min_u32_e32 v8, 32, v6
	v_subrev_u32_e32 v6, 28, v8
	v_lshlrev_b64 v[6:7], v6, v[2:3]
	v_lshrrev_b32_e32 v5, 3, v4
	v_sub_u32_e32 v7, 29, v8
	v_and_b32_e32 v6, 7, v6
	v_cmp_gt_u32_e32 vcc, 8, v4
	v_cndmask_b32_e32 v4, v5, v7, vcc
	v_cndmask_b32_e32 v3, v3, v6, vcc
	v_lshlrev_b32_e32 v5, 16, v18
	v_lshlrev_b32_e32 v3, 20, v3
	v_and_b32_e32 v5, 0x80000000, v5
	v_lshl_add_u32 v4, v4, 23, v0
	v_or3_b32 v3, v5, v4, v3
.LBB4_655:                              ;   in Loop: Header=BB4_124 Depth=2
	s_or_b64 exec, exec, s[62:63]
.LBB4_656:                              ;   in Loop: Header=BB4_124 Depth=2
	s_or_b64 exec, exec, s[60:61]
.LBB4_657:                              ;   in Loop: Header=BB4_124 Depth=2
	s_or_b64 exec, exec, s[24:25]
	v_max_f32_e32 v3, v3, v3
	v_max_f32_e32 v1, v1, v1
	v_max_f32_e32 v3, v1, v3
	s_branch .LBB4_672
.LBB4_658:                              ;   in Loop: Header=BB4_124 Depth=2
                                        ; implicit-def: $vgpr3
	s_cbranch_execz .LBB4_672
; %bb.659:                              ;   in Loop: Header=BB4_124 Depth=2
	v_mov_b32_e32 v3, 0
	v_mov_b32_e32 v1, 0
	s_and_saveexec_b64 s[24:25], s[22:23]
	s_cbranch_execz .LBB4_665
; %bb.660:                              ;   in Loop: Header=BB4_124 Depth=2
	v_cmp_ne_u16_e32 vcc, s75, v22
	v_bfrev_b32_e32 v1, 1
	s_and_saveexec_b64 s[22:23], vcc
	s_cbranch_execz .LBB4_664
; %bb.661:                              ;   in Loop: Header=BB4_124 Depth=2
	v_and_b32_e32 v4, 0x7f, v22
	v_cmp_ne_u32_e32 vcc, s76, v4
	v_mov_b32_e32 v1, 0x7f800001
	s_and_saveexec_b64 s[60:61], vcc
	s_cbranch_execz .LBB4_663
; %bb.662:                              ;   in Loop: Header=BB4_124 Depth=2
	v_and_b32_e32 v1, 7, v22
	v_ffbh_u32_e32 v6, v1
	v_min_u32_e32 v8, 32, v6
	v_subrev_u32_e32 v6, 28, v8
	v_lshlrev_b64 v[6:7], v6, v[22:23]
	v_lshrrev_b32_e32 v5, 3, v4
	v_sub_u32_e32 v7, 29, v8
	v_and_b32_e32 v6, 7, v6
	v_cmp_gt_u32_e32 vcc, 8, v4
	v_cndmask_b32_e32 v4, v5, v7, vcc
	v_cndmask_b32_e32 v1, v1, v6, vcc
	v_lshlrev_b32_e32 v5, 16, v54
	v_lshlrev_b32_e32 v1, 20, v1
	v_and_b32_e32 v5, 0x80000000, v5
	v_lshl_add_u32 v4, v4, 23, v0
	v_or3_b32 v1, v5, v4, v1
.LBB4_663:                              ;   in Loop: Header=BB4_124 Depth=2
	s_or_b64 exec, exec, s[60:61]
.LBB4_664:                              ;   in Loop: Header=BB4_124 Depth=2
	s_or_b64 exec, exec, s[22:23]
.LBB4_665:                              ;   in Loop: Header=BB4_124 Depth=2
	s_or_b64 exec, exec, s[24:25]
	v_cmp_ne_u16_e32 vcc, 0, v2
	s_and_saveexec_b64 s[22:23], vcc
	s_cbranch_execz .LBB4_671
; %bb.666:                              ;   in Loop: Header=BB4_124 Depth=2
	v_cmp_ne_u16_e32 vcc, s75, v2
	v_bfrev_b32_e32 v3, 1
	s_and_saveexec_b64 s[24:25], vcc
	s_cbranch_execz .LBB4_670
; %bb.667:                              ;   in Loop: Header=BB4_124 Depth=2
	v_and_b32_e32 v4, 0x7f, v2
	v_cmp_ne_u32_e32 vcc, s76, v4
	v_mov_b32_e32 v3, 0x7f800001
	s_and_saveexec_b64 s[60:61], vcc
	s_cbranch_execz .LBB4_669
; %bb.668:                              ;   in Loop: Header=BB4_124 Depth=2
	v_and_b32_e32 v5, 7, v2
	v_ffbh_u32_e32 v3, v5
	v_min_u32_e32 v7, 32, v3
	v_subrev_u32_e32 v3, 28, v7
	v_lshlrev_b64 v[2:3], v3, v[2:3]
	v_lshrrev_b32_e32 v6, 3, v4
	v_sub_u32_e32 v3, 29, v7
	v_and_b32_e32 v2, 7, v2
	v_cmp_gt_u32_e32 vcc, 8, v4
	v_cndmask_b32_e32 v3, v6, v3, vcc
	v_cndmask_b32_e32 v2, v5, v2, vcc
	v_lshlrev_b32_e32 v4, 16, v18
	v_lshlrev_b32_e32 v2, 20, v2
	v_and_b32_e32 v4, 0x80000000, v4
	v_lshl_add_u32 v3, v3, 23, v0
	v_or3_b32 v3, v4, v3, v2
.LBB4_669:                              ;   in Loop: Header=BB4_124 Depth=2
	s_or_b64 exec, exec, s[60:61]
.LBB4_670:                              ;   in Loop: Header=BB4_124 Depth=2
	s_or_b64 exec, exec, s[24:25]
.LBB4_671:                              ;   in Loop: Header=BB4_124 Depth=2
	s_or_b64 exec, exec, s[22:23]
	v_max_f32_e32 v2, v3, v3
	v_max_f32_e32 v1, v1, v1
	v_min_f32_e32 v3, v1, v2
.LBB4_672:                              ;   in Loop: Header=BB4_124 Depth=2
	v_and_b32_sdwa v1, v3, s75 dst_sel:DWORD dst_unused:UNUSED_PAD src0_sel:BYTE_3 src1_sel:DWORD
	v_and_b32_e32 v4, 0x7f800000, v3
	v_mov_b32_e32 v5, v55
	v_and_b32_e32 v54, 0x7fffff, v3
	v_or_b32_e32 v22, 0x7e, v1
	v_cmp_ne_u64_e32 vcc, s[44:45], v[4:5]
	s_and_saveexec_b64 s[22:23], vcc
	s_xor_b64 s[24:25], exec, s[22:23]
	s_cbranch_execz .LBB4_682
; %bb.673:                              ;   in Loop: Header=BB4_124 Depth=2
	v_and_b32_e32 v4, 0x7fffffff, v3
	v_mov_b32_e32 v5, v55
	v_cmp_gt_u64_e32 vcc, s[46:47], v[4:5]
	s_and_saveexec_b64 s[60:61], vcc
	s_cbranch_execz .LBB4_681
; %bb.674:                              ;   in Loop: Header=BB4_124 Depth=2
	v_cmp_ne_u32_e32 vcc, 0, v3
	v_mov_b32_e32 v22, 0
	s_and_saveexec_b64 s[62:63], vcc
	s_cbranch_execz .LBB4_680
; %bb.675:                              ;   in Loop: Header=BB4_124 Depth=2
	v_bfe_u32 v2, v3, 23, 8
	v_sub_u32_e32 v4, 0x79, v2
	v_cmp_gt_u32_e32 vcc, s78, v2
	v_add_u32_e32 v3, 0xffffff81, v2
	v_cndmask_b32_e32 v4, 0, v4, vcc
	v_cmp_eq_u32_e32 vcc, 0, v2
	v_mov_b32_e32 v2, 0xffffff82
	v_cndmask_b32_e32 v18, v3, v2, vcc
	v_mov_b32_e32 v2, 0x78
	v_or_b32_e32 v5, 0x800000, v54
	v_cndmask_b32_e32 v4, v4, v2, vcc
	v_cndmask_b32_e32 v54, v5, v54, vcc
	v_add_u32_e32 v2, 20, v4
	v_lshlrev_b64 v[2:3], v2, -1
	v_add_u32_e32 v5, 19, v4
	v_lshrrev_b64 v[8:9], v4, v[54:55]
	v_not_b32_e32 v3, v3
	v_not_b32_e32 v2, v2
	v_lshlrev_b64 v[6:7], v5, 1
	v_lshrrev_b32_e32 v5, 23, v8
	v_and_b32_e32 v3, 0, v3
	v_and_b32_e32 v2, v54, v2
	v_add3_u32 v4, v4, v18, v5
	v_bfe_u32 v5, v8, 20, 1
	v_add_u32_e32 v5, -1, v5
	v_cmp_eq_u64_e32 vcc, v[2:3], v[6:7]
	v_cndmask_b32_e32 v2, 0, v5, vcc
	v_add_u32_e32 v2, v2, v8
	v_and_b32_e32 v2, 0xfffff, v2
	v_add_co_u32_e32 v2, vcc, v2, v8
	v_add_u32_e32 v19, 6, v4
	v_addc_co_u32_e32 v3, vcc, 0, v9, vcc
	v_cmp_ne_u32_e32 vcc, 0, v19
                                        ; implicit-def: $vgpr18
	s_and_saveexec_b64 s[22:23], vcc
	s_xor_b64 s[22:23], exec, s[22:23]
; %bb.676:                              ;   in Loop: Header=BB4_124 Depth=2
	v_add_u32_e32 v4, 7, v4
	v_cmp_lt_u64_e32 vcc, s[50:51], v[2:3]
	v_cndmask_b32_e32 v18, v19, v4, vcc
	v_cndmask_b32_e64 v4, 0, 1, vcc
	v_lshrrev_b64 v[2:3], v4, v[2:3]
; %bb.677:                              ;   in Loop: Header=BB4_124 Depth=2
	s_andn2_saveexec_b64 s[22:23], s[22:23]
; %bb.678:                              ;   in Loop: Header=BB4_124 Depth=2
	v_bfe_u32 v18, v2, 23, 1
; %bb.679:                              ;   in Loop: Header=BB4_124 Depth=2
	s_or_b64 exec, exec, s[22:23]
	v_lshrrev_b64 v[2:3], 20, v[2:3]
	v_cmp_gt_i32_e32 vcc, 16, v18
	v_cndmask_b32_e32 v3, 0, v3, vcc
	v_cndmask_b32_e32 v2, 7, v2, vcc
	v_cmp_eq_u64_e64 s[22:23], 0, v[2:3]
	v_min_i32_e32 v3, 15, v18
	v_cmp_eq_u32_e32 vcc, 0, v18
	v_lshlrev_b32_e32 v3, 3, v3
	v_and_or_b32 v2, v2, 7, v3
	s_and_b64 s[22:23], vcc, s[22:23]
	v_cndmask_b32_e64 v2, v2, 0, s[22:23]
	v_or_b32_e32 v22, v2, v1
.LBB4_680:                              ;   in Loop: Header=BB4_124 Depth=2
	s_or_b64 exec, exec, s[62:63]
.LBB4_681:                              ;   in Loop: Header=BB4_124 Depth=2
	s_or_b64 exec, exec, s[60:61]
                                        ; implicit-def: $vgpr3
.LBB4_682:                              ;   in Loop: Header=BB4_124 Depth=2
	s_andn2_saveexec_b64 s[22:23], s[24:25]
; %bb.683:                              ;   in Loop: Header=BB4_124 Depth=2
	v_or_b32_sdwa v1, v3, s76 dst_sel:DWORD dst_unused:UNUSED_PAD src0_sel:BYTE_3 src1_sel:DWORD
	v_cmp_eq_u64_e32 vcc, 0, v[54:55]
	v_cndmask_b32_e32 v22, v1, v22, vcc
; %bb.684:                              ;   in Loop: Header=BB4_124 Depth=2
	s_or_b64 exec, exec, s[22:23]
	v_lshrrev_b32_e32 v18, 16, v25
	v_lshrrev_b32_e32 v2, 16, v21
	v_cmp_ne_u16_sdwa s[22:23], v18, v55 src0_sel:BYTE_0 src1_sel:DWORD
	s_and_b64 vcc, exec, s[58:59]
	s_cbranch_vccz .LBB4_698
; %bb.685:                              ;   in Loop: Header=BB4_124 Depth=2
	v_mov_b32_e32 v3, 0
	v_mov_b32_e32 v1, 0
	s_and_saveexec_b64 s[24:25], s[22:23]
	s_cbranch_execz .LBB4_691
; %bb.686:                              ;   in Loop: Header=BB4_124 Depth=2
	v_cmp_ne_u16_sdwa vcc, v18, s75 src0_sel:BYTE_0 src1_sel:DWORD
	v_bfrev_b32_e32 v1, 1
	s_and_saveexec_b64 s[60:61], vcc
	s_cbranch_execz .LBB4_690
; %bb.687:                              ;   in Loop: Header=BB4_124 Depth=2
	v_bfe_u32 v4, v25, 16, 7
	v_cmp_ne_u32_e32 vcc, s76, v4
	v_mov_b32_e32 v1, 0x7f800001
	s_and_saveexec_b64 s[62:63], vcc
	s_cbranch_execz .LBB4_689
; %bb.688:                              ;   in Loop: Header=BB4_124 Depth=2
	v_and_b32_e32 v1, 7, v18
	v_ffbh_u32_e32 v6, v1
	v_min_u32_e32 v8, 32, v6
	v_subrev_u32_e32 v6, 28, v8
	v_lshlrev_b64 v[6:7], v6, v[18:19]
	v_lshrrev_b32_e32 v5, 3, v4
	v_sub_u32_e32 v7, 29, v8
	v_and_b32_e32 v6, 7, v6
	v_cmp_gt_u32_e32 vcc, 8, v4
	v_cndmask_b32_e32 v4, v5, v7, vcc
	v_cndmask_b32_e32 v1, v1, v6, vcc
	v_lshlrev_b32_e32 v5, 24, v18
	v_lshlrev_b32_e32 v1, 20, v1
	v_and_b32_e32 v5, 0x80000000, v5
	v_lshl_add_u32 v4, v4, 23, v0
	v_or3_b32 v1, v5, v4, v1
.LBB4_689:                              ;   in Loop: Header=BB4_124 Depth=2
	s_or_b64 exec, exec, s[62:63]
.LBB4_690:                              ;   in Loop: Header=BB4_124 Depth=2
	s_or_b64 exec, exec, s[60:61]
.LBB4_691:                              ;   in Loop: Header=BB4_124 Depth=2
	s_or_b64 exec, exec, s[24:25]
	v_cmp_ne_u16_sdwa vcc, v2, v55 src0_sel:BYTE_0 src1_sel:DWORD
	s_and_saveexec_b64 s[24:25], vcc
	s_cbranch_execz .LBB4_697
; %bb.692:                              ;   in Loop: Header=BB4_124 Depth=2
	v_cmp_ne_u16_sdwa vcc, v2, s75 src0_sel:BYTE_0 src1_sel:DWORD
	v_bfrev_b32_e32 v3, 1
	s_and_saveexec_b64 s[60:61], vcc
	s_cbranch_execz .LBB4_696
; %bb.693:                              ;   in Loop: Header=BB4_124 Depth=2
	v_bfe_u32 v4, v21, 16, 7
	v_cmp_ne_u32_e32 vcc, s76, v4
	v_mov_b32_e32 v3, 0x7f800001
	s_and_saveexec_b64 s[62:63], vcc
	s_cbranch_execz .LBB4_695
; %bb.694:                              ;   in Loop: Header=BB4_124 Depth=2
	v_and_b32_e32 v3, 7, v2
	v_ffbh_u32_e32 v6, v3
	v_min_u32_e32 v8, 32, v6
	v_subrev_u32_e32 v6, 28, v8
	v_lshlrev_b64 v[6:7], v6, v[2:3]
	v_lshrrev_b32_e32 v5, 3, v4
	v_sub_u32_e32 v7, 29, v8
	v_and_b32_e32 v6, 7, v6
	v_cmp_gt_u32_e32 vcc, 8, v4
	v_cndmask_b32_e32 v4, v5, v7, vcc
	v_cndmask_b32_e32 v3, v3, v6, vcc
	v_lshlrev_b32_e32 v5, 24, v2
	v_lshlrev_b32_e32 v3, 20, v3
	v_and_b32_e32 v5, 0x80000000, v5
	v_lshl_add_u32 v4, v4, 23, v0
	v_or3_b32 v3, v5, v4, v3
.LBB4_695:                              ;   in Loop: Header=BB4_124 Depth=2
	s_or_b64 exec, exec, s[62:63]
.LBB4_696:                              ;   in Loop: Header=BB4_124 Depth=2
	s_or_b64 exec, exec, s[60:61]
.LBB4_697:                              ;   in Loop: Header=BB4_124 Depth=2
	s_or_b64 exec, exec, s[24:25]
	v_max_f32_e32 v3, v3, v3
	v_max_f32_e32 v1, v1, v1
	v_max_f32_e32 v3, v1, v3
	s_branch .LBB4_712
.LBB4_698:                              ;   in Loop: Header=BB4_124 Depth=2
                                        ; implicit-def: $vgpr3
	s_cbranch_execz .LBB4_712
; %bb.699:                              ;   in Loop: Header=BB4_124 Depth=2
	v_mov_b32_e32 v3, 0
	v_mov_b32_e32 v1, 0
	s_and_saveexec_b64 s[24:25], s[22:23]
	s_cbranch_execz .LBB4_705
; %bb.700:                              ;   in Loop: Header=BB4_124 Depth=2
	v_cmp_ne_u16_sdwa vcc, v18, s75 src0_sel:BYTE_0 src1_sel:DWORD
	v_bfrev_b32_e32 v1, 1
	s_and_saveexec_b64 s[22:23], vcc
	s_cbranch_execz .LBB4_704
; %bb.701:                              ;   in Loop: Header=BB4_124 Depth=2
	v_bfe_u32 v4, v25, 16, 7
	v_cmp_ne_u32_e32 vcc, s76, v4
	v_mov_b32_e32 v1, 0x7f800001
	s_and_saveexec_b64 s[60:61], vcc
	s_cbranch_execz .LBB4_703
; %bb.702:                              ;   in Loop: Header=BB4_124 Depth=2
	v_and_b32_e32 v1, 7, v18
	v_ffbh_u32_e32 v6, v1
	v_min_u32_e32 v8, 32, v6
	v_subrev_u32_e32 v6, 28, v8
	v_lshlrev_b64 v[6:7], v6, v[18:19]
	v_lshrrev_b32_e32 v5, 3, v4
	v_sub_u32_e32 v7, 29, v8
	v_and_b32_e32 v6, 7, v6
	v_cmp_gt_u32_e32 vcc, 8, v4
	v_cndmask_b32_e32 v4, v5, v7, vcc
	v_cndmask_b32_e32 v1, v1, v6, vcc
	v_lshlrev_b32_e32 v5, 24, v18
	v_lshlrev_b32_e32 v1, 20, v1
	v_and_b32_e32 v5, 0x80000000, v5
	v_lshl_add_u32 v4, v4, 23, v0
	v_or3_b32 v1, v5, v4, v1
.LBB4_703:                              ;   in Loop: Header=BB4_124 Depth=2
	s_or_b64 exec, exec, s[60:61]
.LBB4_704:                              ;   in Loop: Header=BB4_124 Depth=2
	s_or_b64 exec, exec, s[22:23]
.LBB4_705:                              ;   in Loop: Header=BB4_124 Depth=2
	s_or_b64 exec, exec, s[24:25]
	v_cmp_ne_u16_sdwa s[24:25], v2, v55 src0_sel:BYTE_0 src1_sel:DWORD
	s_and_saveexec_b64 s[22:23], s[24:25]
	s_cbranch_execz .LBB4_711
; %bb.706:                              ;   in Loop: Header=BB4_124 Depth=2
	v_cmp_ne_u16_sdwa vcc, v2, s75 src0_sel:BYTE_0 src1_sel:DWORD
	v_bfrev_b32_e32 v3, 1
	s_and_saveexec_b64 s[24:25], vcc
	s_cbranch_execz .LBB4_710
; %bb.707:                              ;   in Loop: Header=BB4_124 Depth=2
	v_bfe_u32 v4, v21, 16, 7
	v_cmp_ne_u32_e32 vcc, s76, v4
	v_mov_b32_e32 v3, 0x7f800001
	s_and_saveexec_b64 s[60:61], vcc
	s_cbranch_execz .LBB4_709
; %bb.708:                              ;   in Loop: Header=BB4_124 Depth=2
	v_and_b32_e32 v3, 7, v2
	v_ffbh_u32_e32 v6, v3
	v_min_u32_e32 v8, 32, v6
	v_subrev_u32_e32 v6, 28, v8
	v_lshlrev_b64 v[6:7], v6, v[2:3]
	v_lshrrev_b32_e32 v5, 3, v4
	v_sub_u32_e32 v7, 29, v8
	v_and_b32_e32 v6, 7, v6
	v_cmp_gt_u32_e32 vcc, 8, v4
	v_cndmask_b32_e32 v4, v5, v7, vcc
	v_cndmask_b32_e32 v3, v3, v6, vcc
	v_lshlrev_b32_e32 v2, 24, v2
	v_lshlrev_b32_e32 v3, 20, v3
	v_and_b32_e32 v2, 0x80000000, v2
	v_lshl_add_u32 v4, v4, 23, v0
	v_or3_b32 v3, v2, v4, v3
.LBB4_709:                              ;   in Loop: Header=BB4_124 Depth=2
	s_or_b64 exec, exec, s[60:61]
.LBB4_710:                              ;   in Loop: Header=BB4_124 Depth=2
	s_or_b64 exec, exec, s[24:25]
.LBB4_711:                              ;   in Loop: Header=BB4_124 Depth=2
	s_or_b64 exec, exec, s[22:23]
	v_max_f32_e32 v2, v3, v3
	v_max_f32_e32 v1, v1, v1
	v_min_f32_e32 v3, v1, v2
.LBB4_712:                              ;   in Loop: Header=BB4_124 Depth=2
	v_and_b32_sdwa v1, v3, s75 dst_sel:DWORD dst_unused:UNUSED_PAD src0_sel:BYTE_3 src1_sel:DWORD
	v_and_b32_e32 v4, 0x7f800000, v3
	v_mov_b32_e32 v5, v55
	v_and_b32_e32 v54, 0x7fffff, v3
	v_or_b32_e32 v53, 0x7e, v1
	v_cmp_ne_u64_e32 vcc, s[44:45], v[4:5]
	s_and_saveexec_b64 s[22:23], vcc
	s_xor_b64 s[24:25], exec, s[22:23]
	s_cbranch_execz .LBB4_722
; %bb.713:                              ;   in Loop: Header=BB4_124 Depth=2
	v_and_b32_e32 v4, 0x7fffffff, v3
	v_mov_b32_e32 v5, v55
	v_cmp_gt_u64_e32 vcc, s[46:47], v[4:5]
	s_and_saveexec_b64 s[60:61], vcc
	s_cbranch_execz .LBB4_721
; %bb.714:                              ;   in Loop: Header=BB4_124 Depth=2
	v_cmp_ne_u32_e32 vcc, 0, v3
	v_mov_b32_e32 v53, 0
	s_and_saveexec_b64 s[62:63], vcc
	s_cbranch_execz .LBB4_720
; %bb.715:                              ;   in Loop: Header=BB4_124 Depth=2
	v_bfe_u32 v2, v3, 23, 8
	v_sub_u32_e32 v4, 0x79, v2
	v_cmp_gt_u32_e32 vcc, s78, v2
	v_add_u32_e32 v3, 0xffffff81, v2
	v_cndmask_b32_e32 v4, 0, v4, vcc
	v_cmp_eq_u32_e32 vcc, 0, v2
	v_mov_b32_e32 v2, 0xffffff82
	v_cndmask_b32_e32 v18, v3, v2, vcc
	v_mov_b32_e32 v2, 0x78
	v_or_b32_e32 v5, 0x800000, v54
	v_cndmask_b32_e32 v4, v4, v2, vcc
	v_cndmask_b32_e32 v54, v5, v54, vcc
	v_add_u32_e32 v2, 20, v4
	v_lshlrev_b64 v[2:3], v2, -1
	v_add_u32_e32 v5, 19, v4
	v_lshrrev_b64 v[8:9], v4, v[54:55]
	v_not_b32_e32 v3, v3
	v_not_b32_e32 v2, v2
	v_lshlrev_b64 v[6:7], v5, 1
	v_lshrrev_b32_e32 v5, 23, v8
	v_and_b32_e32 v3, 0, v3
	v_and_b32_e32 v2, v54, v2
	v_add3_u32 v4, v4, v18, v5
	v_bfe_u32 v5, v8, 20, 1
	v_add_u32_e32 v5, -1, v5
	v_cmp_eq_u64_e32 vcc, v[2:3], v[6:7]
	v_cndmask_b32_e32 v2, 0, v5, vcc
	v_add_u32_e32 v2, v2, v8
	v_and_b32_e32 v2, 0xfffff, v2
	v_add_co_u32_e32 v2, vcc, v2, v8
	v_add_u32_e32 v19, 6, v4
	v_addc_co_u32_e32 v3, vcc, 0, v9, vcc
	v_cmp_ne_u32_e32 vcc, 0, v19
                                        ; implicit-def: $vgpr18
	s_and_saveexec_b64 s[22:23], vcc
	s_xor_b64 s[22:23], exec, s[22:23]
; %bb.716:                              ;   in Loop: Header=BB4_124 Depth=2
	v_add_u32_e32 v4, 7, v4
	v_cmp_lt_u64_e32 vcc, s[50:51], v[2:3]
	v_cndmask_b32_e32 v18, v19, v4, vcc
	v_cndmask_b32_e64 v4, 0, 1, vcc
	v_lshrrev_b64 v[2:3], v4, v[2:3]
; %bb.717:                              ;   in Loop: Header=BB4_124 Depth=2
	s_andn2_saveexec_b64 s[22:23], s[22:23]
; %bb.718:                              ;   in Loop: Header=BB4_124 Depth=2
	v_bfe_u32 v18, v2, 23, 1
; %bb.719:                              ;   in Loop: Header=BB4_124 Depth=2
	s_or_b64 exec, exec, s[22:23]
	v_lshrrev_b64 v[2:3], 20, v[2:3]
	v_cmp_gt_i32_e32 vcc, 16, v18
	v_cndmask_b32_e32 v3, 0, v3, vcc
	v_cndmask_b32_e32 v2, 7, v2, vcc
	v_cmp_eq_u64_e64 s[22:23], 0, v[2:3]
	v_min_i32_e32 v3, 15, v18
	v_lshlrev_b32_e32 v3, 3, v3
	v_cmp_eq_u32_e32 vcc, 0, v18
	v_and_b32_e32 v3, 0xf8, v3
	v_and_or_b32 v2, v2, 7, v3
	s_and_b64 s[22:23], vcc, s[22:23]
	v_cndmask_b32_e64 v2, v2, 0, s[22:23]
	v_or_b32_e32 v53, v2, v1
.LBB4_720:                              ;   in Loop: Header=BB4_124 Depth=2
	s_or_b64 exec, exec, s[62:63]
.LBB4_721:                              ;   in Loop: Header=BB4_124 Depth=2
	s_or_b64 exec, exec, s[60:61]
                                        ; implicit-def: $vgpr3
.LBB4_722:                              ;   in Loop: Header=BB4_124 Depth=2
	s_andn2_saveexec_b64 s[22:23], s[24:25]
; %bb.723:                              ;   in Loop: Header=BB4_124 Depth=2
	v_or_b32_sdwa v1, v3, s76 dst_sel:DWORD dst_unused:UNUSED_PAD src0_sel:BYTE_3 src1_sel:DWORD
	v_cmp_eq_u64_e32 vcc, 0, v[54:55]
	v_cndmask_b32_e32 v53, v1, v53, vcc
; %bb.724:                              ;   in Loop: Header=BB4_124 Depth=2
	s_or_b64 exec, exec, s[22:23]
	v_lshrrev_b32_e32 v18, 24, v25
	v_lshrrev_b32_e32 v2, 24, v21
	v_cmp_lt_u64_e64 s[22:23], s[48:49], v[24:25]
	s_and_b64 vcc, exec, s[58:59]
	s_cbranch_vccz .LBB4_738
; %bb.725:                              ;   in Loop: Header=BB4_124 Depth=2
	v_mov_b32_e32 v3, 0
	v_mov_b32_e32 v1, 0
	s_and_saveexec_b64 s[24:25], s[22:23]
	s_cbranch_execz .LBB4_731
; %bb.726:                              ;   in Loop: Header=BB4_124 Depth=2
	v_cmp_ne_u32_e32 vcc, s75, v18
	v_bfrev_b32_e32 v1, 1
	s_and_saveexec_b64 s[60:61], vcc
	s_cbranch_execz .LBB4_730
; %bb.727:                              ;   in Loop: Header=BB4_124 Depth=2
	v_bfe_u32 v4, v25, 24, 7
	v_cmp_ne_u32_e32 vcc, s76, v4
	v_mov_b32_e32 v1, 0x7f800001
	s_and_saveexec_b64 s[62:63], vcc
	s_cbranch_execz .LBB4_729
; %bb.728:                              ;   in Loop: Header=BB4_124 Depth=2
	v_and_b32_e32 v1, 7, v18
	v_ffbh_u32_e32 v6, v1
	v_min_u32_e32 v8, 32, v6
	v_subrev_u32_e32 v6, 28, v8
	v_lshlrev_b64 v[6:7], v6, v[18:19]
	v_lshrrev_b32_e32 v5, 3, v4
	v_sub_u32_e32 v7, 29, v8
	v_and_b32_e32 v6, 7, v6
	v_cmp_gt_u32_e32 vcc, 8, v4
	v_cndmask_b32_e32 v4, v5, v7, vcc
	v_cndmask_b32_e32 v1, v1, v6, vcc
	v_lshlrev_b32_e32 v5, 24, v18
	v_lshlrev_b32_e32 v1, 20, v1
	v_and_b32_e32 v5, 0x80000000, v5
	v_lshl_add_u32 v4, v4, 23, v0
	v_or3_b32 v1, v5, v4, v1
.LBB4_729:                              ;   in Loop: Header=BB4_124 Depth=2
	s_or_b64 exec, exec, s[62:63]
.LBB4_730:                              ;   in Loop: Header=BB4_124 Depth=2
	s_or_b64 exec, exec, s[60:61]
.LBB4_731:                              ;   in Loop: Header=BB4_124 Depth=2
	s_or_b64 exec, exec, s[24:25]
	v_cmp_lt_u64_e32 vcc, s[48:49], v[20:21]
	s_and_saveexec_b64 s[24:25], vcc
	s_cbranch_execz .LBB4_737
; %bb.732:                              ;   in Loop: Header=BB4_124 Depth=2
	v_cmp_ne_u32_e32 vcc, s75, v2
	v_bfrev_b32_e32 v3, 1
	s_and_saveexec_b64 s[60:61], vcc
	s_cbranch_execz .LBB4_736
; %bb.733:                              ;   in Loop: Header=BB4_124 Depth=2
	v_bfe_u32 v4, v21, 24, 7
	v_cmp_ne_u32_e32 vcc, s76, v4
	v_mov_b32_e32 v3, 0x7f800001
	s_and_saveexec_b64 s[62:63], vcc
	s_cbranch_execz .LBB4_735
; %bb.734:                              ;   in Loop: Header=BB4_124 Depth=2
	v_and_b32_e32 v3, 7, v2
	v_ffbh_u32_e32 v6, v3
	v_min_u32_e32 v8, 32, v6
	v_subrev_u32_e32 v6, 28, v8
	v_lshlrev_b64 v[6:7], v6, v[2:3]
	v_lshrrev_b32_e32 v5, 3, v4
	v_sub_u32_e32 v7, 29, v8
	v_and_b32_e32 v6, 7, v6
	v_cmp_gt_u32_e32 vcc, 8, v4
	v_cndmask_b32_e32 v4, v5, v7, vcc
	v_cndmask_b32_e32 v3, v3, v6, vcc
	v_lshlrev_b32_e32 v5, 24, v2
	v_lshlrev_b32_e32 v3, 20, v3
	v_and_b32_e32 v5, 0x80000000, v5
	v_lshl_add_u32 v4, v4, 23, v0
	v_or3_b32 v3, v5, v4, v3
.LBB4_735:                              ;   in Loop: Header=BB4_124 Depth=2
	s_or_b64 exec, exec, s[62:63]
.LBB4_736:                              ;   in Loop: Header=BB4_124 Depth=2
	s_or_b64 exec, exec, s[60:61]
.LBB4_737:                              ;   in Loop: Header=BB4_124 Depth=2
	s_or_b64 exec, exec, s[24:25]
	v_max_f32_e32 v3, v3, v3
	v_max_f32_e32 v1, v1, v1
	;; [unrolled: 1-line block ×3, first 2 shown]
	s_branch .LBB4_752
.LBB4_738:                              ;   in Loop: Header=BB4_124 Depth=2
                                        ; implicit-def: $vgpr3
	s_cbranch_execz .LBB4_752
; %bb.739:                              ;   in Loop: Header=BB4_124 Depth=2
	v_mov_b32_e32 v3, 0
	v_mov_b32_e32 v1, 0
	s_and_saveexec_b64 s[24:25], s[22:23]
	s_cbranch_execz .LBB4_745
; %bb.740:                              ;   in Loop: Header=BB4_124 Depth=2
	v_cmp_ne_u32_e32 vcc, s75, v18
	v_bfrev_b32_e32 v1, 1
	s_and_saveexec_b64 s[22:23], vcc
	s_cbranch_execz .LBB4_744
; %bb.741:                              ;   in Loop: Header=BB4_124 Depth=2
	v_bfe_u32 v4, v25, 24, 7
	v_cmp_ne_u32_e32 vcc, s76, v4
	v_mov_b32_e32 v1, 0x7f800001
	s_and_saveexec_b64 s[60:61], vcc
	s_cbranch_execz .LBB4_743
; %bb.742:                              ;   in Loop: Header=BB4_124 Depth=2
	v_and_b32_e32 v1, 7, v18
	v_ffbh_u32_e32 v6, v1
	v_min_u32_e32 v8, 32, v6
	v_subrev_u32_e32 v6, 28, v8
	v_lshlrev_b64 v[6:7], v6, v[18:19]
	v_lshrrev_b32_e32 v5, 3, v4
	v_sub_u32_e32 v7, 29, v8
	v_and_b32_e32 v6, 7, v6
	v_cmp_gt_u32_e32 vcc, 8, v4
	v_cndmask_b32_e32 v4, v5, v7, vcc
	v_cndmask_b32_e32 v1, v1, v6, vcc
	v_lshlrev_b32_e32 v5, 24, v18
	v_lshlrev_b32_e32 v1, 20, v1
	v_and_b32_e32 v5, 0x80000000, v5
	v_lshl_add_u32 v4, v4, 23, v0
	v_or3_b32 v1, v5, v4, v1
.LBB4_743:                              ;   in Loop: Header=BB4_124 Depth=2
	s_or_b64 exec, exec, s[60:61]
.LBB4_744:                              ;   in Loop: Header=BB4_124 Depth=2
	s_or_b64 exec, exec, s[22:23]
.LBB4_745:                              ;   in Loop: Header=BB4_124 Depth=2
	s_or_b64 exec, exec, s[24:25]
	v_cmp_lt_u64_e32 vcc, s[48:49], v[20:21]
	s_and_saveexec_b64 s[22:23], vcc
	s_cbranch_execz .LBB4_751
; %bb.746:                              ;   in Loop: Header=BB4_124 Depth=2
	v_cmp_ne_u32_e32 vcc, s75, v2
	v_bfrev_b32_e32 v3, 1
	s_and_saveexec_b64 s[24:25], vcc
	s_cbranch_execz .LBB4_750
; %bb.747:                              ;   in Loop: Header=BB4_124 Depth=2
	v_bfe_u32 v4, v21, 24, 7
	v_cmp_ne_u32_e32 vcc, s76, v4
	v_mov_b32_e32 v3, 0x7f800001
	s_and_saveexec_b64 s[60:61], vcc
	s_cbranch_execz .LBB4_749
; %bb.748:                              ;   in Loop: Header=BB4_124 Depth=2
	v_and_b32_e32 v3, 7, v2
	v_ffbh_u32_e32 v6, v3
	v_min_u32_e32 v8, 32, v6
	v_subrev_u32_e32 v6, 28, v8
	v_lshlrev_b64 v[6:7], v6, v[2:3]
	v_lshrrev_b32_e32 v5, 3, v4
	v_sub_u32_e32 v7, 29, v8
	v_and_b32_e32 v6, 7, v6
	v_cmp_gt_u32_e32 vcc, 8, v4
	v_cndmask_b32_e32 v4, v5, v7, vcc
	v_cndmask_b32_e32 v3, v3, v6, vcc
	v_lshlrev_b32_e32 v2, 24, v2
	v_lshlrev_b32_e32 v3, 20, v3
	v_and_b32_e32 v2, 0x80000000, v2
	v_lshl_add_u32 v4, v4, 23, v0
	v_or3_b32 v3, v2, v4, v3
.LBB4_749:                              ;   in Loop: Header=BB4_124 Depth=2
	s_or_b64 exec, exec, s[60:61]
.LBB4_750:                              ;   in Loop: Header=BB4_124 Depth=2
	s_or_b64 exec, exec, s[24:25]
.LBB4_751:                              ;   in Loop: Header=BB4_124 Depth=2
	s_or_b64 exec, exec, s[22:23]
	v_max_f32_e32 v2, v3, v3
	v_max_f32_e32 v1, v1, v1
	v_min_f32_e32 v3, v1, v2
.LBB4_752:                              ;   in Loop: Header=BB4_124 Depth=2
	v_and_b32_sdwa v1, v3, s75 dst_sel:DWORD dst_unused:UNUSED_PAD src0_sel:BYTE_3 src1_sel:DWORD
	v_and_b32_e32 v4, 0x7f800000, v3
	v_mov_b32_e32 v5, v55
	v_and_b32_e32 v54, 0x7fffff, v3
	v_or_b32_e32 v21, 0x7e, v1
	v_cmp_ne_u64_e32 vcc, s[44:45], v[4:5]
	s_and_saveexec_b64 s[22:23], vcc
	s_xor_b64 s[24:25], exec, s[22:23]
	s_cbranch_execz .LBB4_762
; %bb.753:                              ;   in Loop: Header=BB4_124 Depth=2
	v_and_b32_e32 v4, 0x7fffffff, v3
	v_mov_b32_e32 v5, v55
	v_cmp_gt_u64_e32 vcc, s[46:47], v[4:5]
	s_and_saveexec_b64 s[60:61], vcc
	s_cbranch_execz .LBB4_761
; %bb.754:                              ;   in Loop: Header=BB4_124 Depth=2
	v_cmp_ne_u32_e32 vcc, 0, v3
	v_mov_b32_e32 v21, 0
	s_and_saveexec_b64 s[62:63], vcc
	s_cbranch_execz .LBB4_760
; %bb.755:                              ;   in Loop: Header=BB4_124 Depth=2
	v_bfe_u32 v2, v3, 23, 8
	v_sub_u32_e32 v4, 0x79, v2
	v_cmp_gt_u32_e32 vcc, s78, v2
	v_add_u32_e32 v3, 0xffffff81, v2
	v_cndmask_b32_e32 v4, 0, v4, vcc
	v_cmp_eq_u32_e32 vcc, 0, v2
	v_mov_b32_e32 v2, 0xffffff82
	v_cndmask_b32_e32 v18, v3, v2, vcc
	v_mov_b32_e32 v2, 0x78
	v_or_b32_e32 v5, 0x800000, v54
	v_cndmask_b32_e32 v4, v4, v2, vcc
	v_cndmask_b32_e32 v54, v5, v54, vcc
	v_add_u32_e32 v2, 20, v4
	v_lshlrev_b64 v[2:3], v2, -1
	v_add_u32_e32 v5, 19, v4
	v_lshrrev_b64 v[8:9], v4, v[54:55]
	v_not_b32_e32 v3, v3
	v_not_b32_e32 v2, v2
	v_lshlrev_b64 v[6:7], v5, 1
	v_lshrrev_b32_e32 v5, 23, v8
	v_and_b32_e32 v3, 0, v3
	v_and_b32_e32 v2, v54, v2
	v_add3_u32 v4, v4, v18, v5
	v_bfe_u32 v5, v8, 20, 1
	v_add_u32_e32 v5, -1, v5
	v_cmp_eq_u64_e32 vcc, v[2:3], v[6:7]
	v_cndmask_b32_e32 v2, 0, v5, vcc
	v_add_u32_e32 v2, v2, v8
	v_and_b32_e32 v2, 0xfffff, v2
	v_add_co_u32_e32 v2, vcc, v2, v8
	v_add_u32_e32 v19, 6, v4
	v_addc_co_u32_e32 v3, vcc, 0, v9, vcc
	v_cmp_ne_u32_e32 vcc, 0, v19
                                        ; implicit-def: $vgpr18
	s_and_saveexec_b64 s[22:23], vcc
	s_xor_b64 s[22:23], exec, s[22:23]
; %bb.756:                              ;   in Loop: Header=BB4_124 Depth=2
	v_add_u32_e32 v4, 7, v4
	v_cmp_lt_u64_e32 vcc, s[50:51], v[2:3]
	v_cndmask_b32_e32 v18, v19, v4, vcc
	v_cndmask_b32_e64 v4, 0, 1, vcc
	v_lshrrev_b64 v[2:3], v4, v[2:3]
; %bb.757:                              ;   in Loop: Header=BB4_124 Depth=2
	s_andn2_saveexec_b64 s[22:23], s[22:23]
; %bb.758:                              ;   in Loop: Header=BB4_124 Depth=2
	v_bfe_u32 v18, v2, 23, 1
; %bb.759:                              ;   in Loop: Header=BB4_124 Depth=2
	s_or_b64 exec, exec, s[22:23]
	v_lshrrev_b64 v[2:3], 20, v[2:3]
	v_cmp_gt_i32_e32 vcc, 16, v18
	v_cndmask_b32_e32 v3, 0, v3, vcc
	v_cndmask_b32_e32 v2, 7, v2, vcc
	v_cmp_eq_u64_e64 s[22:23], 0, v[2:3]
	v_min_i32_e32 v3, 15, v18
	v_lshlrev_b32_e32 v3, 3, v3
	v_cmp_eq_u32_e32 vcc, 0, v18
	v_and_b32_e32 v3, 0xf8, v3
	v_and_or_b32 v2, v2, 7, v3
	s_and_b64 s[22:23], vcc, s[22:23]
	v_cndmask_b32_e64 v2, v2, 0, s[22:23]
	v_or_b32_e32 v21, v2, v1
.LBB4_760:                              ;   in Loop: Header=BB4_124 Depth=2
	s_or_b64 exec, exec, s[62:63]
.LBB4_761:                              ;   in Loop: Header=BB4_124 Depth=2
	s_or_b64 exec, exec, s[60:61]
                                        ; implicit-def: $vgpr3
.LBB4_762:                              ;   in Loop: Header=BB4_124 Depth=2
	s_andn2_saveexec_b64 s[22:23], s[24:25]
; %bb.763:                              ;   in Loop: Header=BB4_124 Depth=2
	v_or_b32_sdwa v1, v3, s76 dst_sel:DWORD dst_unused:UNUSED_PAD src0_sel:BYTE_3 src1_sel:DWORD
	v_cmp_eq_u64_e32 vcc, 0, v[54:55]
	v_cndmask_b32_e32 v21, v1, v21, vcc
; %bb.764:                              ;   in Loop: Header=BB4_124 Depth=2
	s_or_b64 exec, exec, s[22:23]
	v_cndmask_b32_e64 v1, 0, 1, s[58:59]
	v_cmp_ne_u32_e64 s[22:23], 1, v1
	s_andn2_b64 vcc, exec, s[58:59]
	v_cmp_ne_u16_sdwa s[24:25], v14, v55 src0_sel:BYTE_0 src1_sel:DWORD
	s_cbranch_vccnz .LBB4_778
; %bb.765:                              ;   in Loop: Header=BB4_124 Depth=2
	v_mov_b32_e32 v2, 0
	v_mov_b32_e32 v1, 0
	s_and_saveexec_b64 s[60:61], s[24:25]
	s_cbranch_execz .LBB4_771
; %bb.766:                              ;   in Loop: Header=BB4_124 Depth=2
	v_cmp_ne_u16_sdwa vcc, v14, s75 src0_sel:BYTE_0 src1_sel:DWORD
	v_bfrev_b32_e32 v1, 1
	s_and_saveexec_b64 s[62:63], vcc
	s_cbranch_execz .LBB4_770
; %bb.767:                              ;   in Loop: Header=BB4_124 Depth=2
	v_and_b32_e32 v3, 0x7f, v14
	v_cmp_ne_u32_e32 vcc, s76, v3
	v_mov_b32_e32 v1, 0x7f800001
	s_and_saveexec_b64 s[64:65], vcc
	s_cbranch_execz .LBB4_769
; %bb.768:                              ;   in Loop: Header=BB4_124 Depth=2
	v_and_b32_e32 v1, 7, v14
	v_ffbh_u32_e32 v1, v1
	v_min_u32_e32 v1, 32, v1
	v_subrev_u32_e32 v5, 28, v1
	v_cmp_gt_u32_e32 vcc, 8, v3
	v_lshrrev_b32_e32 v4, 3, v3
	v_sub_u32_e32 v1, 29, v1
	v_cndmask_b32_e32 v3, 0, v5, vcc
	v_cndmask_b32_e32 v1, v4, v1, vcc
	v_lshlrev_b64 v[4:5], v3, v[14:15]
	v_lshlrev_b32_e32 v3, 20, v4
	v_lshlrev_b32_e32 v4, 24, v14
	v_and_b32_e32 v3, 0x700000, v3
	v_and_b32_e32 v4, 0x80000000, v4
	v_lshl_add_u32 v1, v1, 23, v0
	v_or3_b32 v1, v4, v1, v3
.LBB4_769:                              ;   in Loop: Header=BB4_124 Depth=2
	s_or_b64 exec, exec, s[64:65]
.LBB4_770:                              ;   in Loop: Header=BB4_124 Depth=2
	s_or_b64 exec, exec, s[62:63]
.LBB4_771:                              ;   in Loop: Header=BB4_124 Depth=2
	s_or_b64 exec, exec, s[60:61]
	v_cmp_ne_u16_sdwa vcc, v10, v55 src0_sel:BYTE_0 src1_sel:DWORD
	s_and_saveexec_b64 s[60:61], vcc
	s_cbranch_execz .LBB4_777
; %bb.772:                              ;   in Loop: Header=BB4_124 Depth=2
	v_cmp_ne_u16_sdwa vcc, v10, s75 src0_sel:BYTE_0 src1_sel:DWORD
	v_bfrev_b32_e32 v2, 1
	s_and_saveexec_b64 s[62:63], vcc
	s_cbranch_execz .LBB4_776
; %bb.773:                              ;   in Loop: Header=BB4_124 Depth=2
	v_and_b32_e32 v3, 0x7f, v10
	v_cmp_ne_u32_e32 vcc, s76, v3
	v_mov_b32_e32 v2, 0x7f800001
	s_and_saveexec_b64 s[64:65], vcc
	s_cbranch_execz .LBB4_775
; %bb.774:                              ;   in Loop: Header=BB4_124 Depth=2
	v_and_b32_e32 v2, 7, v10
	v_ffbh_u32_e32 v2, v2
	v_min_u32_e32 v2, 32, v2
	v_lshrrev_b32_e32 v4, 3, v3
	v_subrev_u32_e32 v5, 28, v2
	v_sub_u32_e32 v2, 29, v2
	v_cmp_gt_u32_e32 vcc, 8, v3
	v_cndmask_b32_e32 v4, v4, v2, vcc
	v_cndmask_b32_e32 v2, 0, v5, vcc
	v_lshlrev_b64 v[2:3], v2, v[10:11]
	v_lshlrev_b32_e32 v2, 20, v2
	v_lshlrev_b32_e32 v3, 24, v10
	v_and_b32_e32 v2, 0x700000, v2
	v_and_b32_e32 v3, 0x80000000, v3
	v_lshl_add_u32 v4, v4, 23, v0
	v_or3_b32 v2, v3, v4, v2
.LBB4_775:                              ;   in Loop: Header=BB4_124 Depth=2
	s_or_b64 exec, exec, s[64:65]
.LBB4_776:                              ;   in Loop: Header=BB4_124 Depth=2
	s_or_b64 exec, exec, s[62:63]
.LBB4_777:                              ;   in Loop: Header=BB4_124 Depth=2
	s_or_b64 exec, exec, s[60:61]
	v_max_f32_e32 v2, v2, v2
	v_max_f32_e32 v1, v1, v1
	;; [unrolled: 1-line block ×3, first 2 shown]
	s_branch .LBB4_792
.LBB4_778:                              ;   in Loop: Header=BB4_124 Depth=2
                                        ; implicit-def: $vgpr2
	s_cbranch_execz .LBB4_792
; %bb.779:                              ;   in Loop: Header=BB4_124 Depth=2
	v_mov_b32_e32 v2, 0
	v_mov_b32_e32 v1, 0
	s_and_saveexec_b64 s[60:61], s[24:25]
	s_cbranch_execz .LBB4_785
; %bb.780:                              ;   in Loop: Header=BB4_124 Depth=2
	v_cmp_ne_u16_sdwa vcc, v14, s75 src0_sel:BYTE_0 src1_sel:DWORD
	v_bfrev_b32_e32 v1, 1
	s_and_saveexec_b64 s[24:25], vcc
	s_cbranch_execz .LBB4_784
; %bb.781:                              ;   in Loop: Header=BB4_124 Depth=2
	v_and_b32_e32 v3, 0x7f, v14
	v_cmp_ne_u32_e32 vcc, s76, v3
	v_mov_b32_e32 v1, 0x7f800001
	s_and_saveexec_b64 s[62:63], vcc
	s_cbranch_execz .LBB4_783
; %bb.782:                              ;   in Loop: Header=BB4_124 Depth=2
	v_and_b32_e32 v1, 7, v14
	v_ffbh_u32_e32 v1, v1
	v_min_u32_e32 v1, 32, v1
	v_subrev_u32_e32 v5, 28, v1
	v_cmp_gt_u32_e32 vcc, 8, v3
	v_lshrrev_b32_e32 v4, 3, v3
	v_sub_u32_e32 v1, 29, v1
	v_cndmask_b32_e32 v3, 0, v5, vcc
	v_cndmask_b32_e32 v1, v4, v1, vcc
	v_lshlrev_b64 v[4:5], v3, v[14:15]
	v_lshlrev_b32_e32 v3, 20, v4
	v_lshlrev_b32_e32 v4, 24, v14
	v_and_b32_e32 v3, 0x700000, v3
	v_and_b32_e32 v4, 0x80000000, v4
	v_lshl_add_u32 v1, v1, 23, v0
	v_or3_b32 v1, v4, v1, v3
.LBB4_783:                              ;   in Loop: Header=BB4_124 Depth=2
	s_or_b64 exec, exec, s[62:63]
.LBB4_784:                              ;   in Loop: Header=BB4_124 Depth=2
	s_or_b64 exec, exec, s[24:25]
.LBB4_785:                              ;   in Loop: Header=BB4_124 Depth=2
	s_or_b64 exec, exec, s[60:61]
	v_cmp_ne_u16_sdwa vcc, v10, v55 src0_sel:BYTE_0 src1_sel:DWORD
	s_and_saveexec_b64 s[24:25], vcc
	s_cbranch_execz .LBB4_791
; %bb.786:                              ;   in Loop: Header=BB4_124 Depth=2
	v_cmp_ne_u16_sdwa vcc, v10, s75 src0_sel:BYTE_0 src1_sel:DWORD
	v_bfrev_b32_e32 v2, 1
	s_and_saveexec_b64 s[60:61], vcc
	s_cbranch_execz .LBB4_790
; %bb.787:                              ;   in Loop: Header=BB4_124 Depth=2
	v_and_b32_e32 v3, 0x7f, v10
	v_cmp_ne_u32_e32 vcc, s76, v3
	v_mov_b32_e32 v2, 0x7f800001
	s_and_saveexec_b64 s[62:63], vcc
	s_cbranch_execz .LBB4_789
; %bb.788:                              ;   in Loop: Header=BB4_124 Depth=2
	v_and_b32_e32 v2, 7, v10
	v_ffbh_u32_e32 v2, v2
	v_min_u32_e32 v2, 32, v2
	v_lshrrev_b32_e32 v4, 3, v3
	v_subrev_u32_e32 v5, 28, v2
	v_sub_u32_e32 v2, 29, v2
	v_cmp_gt_u32_e32 vcc, 8, v3
	v_cndmask_b32_e32 v4, v4, v2, vcc
	v_cndmask_b32_e32 v2, 0, v5, vcc
	v_lshlrev_b64 v[2:3], v2, v[10:11]
	v_lshlrev_b32_e32 v2, 20, v2
	v_lshlrev_b32_e32 v3, 24, v10
	v_and_b32_e32 v2, 0x700000, v2
	v_and_b32_e32 v3, 0x80000000, v3
	v_lshl_add_u32 v4, v4, 23, v0
	v_or3_b32 v2, v3, v4, v2
.LBB4_789:                              ;   in Loop: Header=BB4_124 Depth=2
	s_or_b64 exec, exec, s[62:63]
.LBB4_790:                              ;   in Loop: Header=BB4_124 Depth=2
	s_or_b64 exec, exec, s[60:61]
.LBB4_791:                              ;   in Loop: Header=BB4_124 Depth=2
	s_or_b64 exec, exec, s[24:25]
	v_max_f32_e32 v2, v2, v2
	v_max_f32_e32 v1, v1, v1
	v_min_f32_e32 v2, v1, v2
.LBB4_792:                              ;   in Loop: Header=BB4_124 Depth=2
	v_and_b32_sdwa v1, v2, s75 dst_sel:DWORD dst_unused:UNUSED_PAD src0_sel:BYTE_3 src1_sel:DWORD
	v_and_b32_e32 v4, 0x7f800000, v2
	v_mov_b32_e32 v5, v55
	v_and_b32_e32 v54, 0x7fffff, v2
	v_or_b32_e32 v24, 0x7e, v1
	v_cmp_ne_u64_e32 vcc, s[44:45], v[4:5]
	s_and_saveexec_b64 s[24:25], vcc
	s_xor_b64 s[60:61], exec, s[24:25]
	s_cbranch_execz .LBB4_802
; %bb.793:                              ;   in Loop: Header=BB4_124 Depth=2
	v_and_b32_e32 v4, 0x7fffffff, v2
	v_mov_b32_e32 v5, v55
	v_cmp_gt_u64_e32 vcc, s[46:47], v[4:5]
	s_and_saveexec_b64 s[62:63], vcc
	s_cbranch_execz .LBB4_801
; %bb.794:                              ;   in Loop: Header=BB4_124 Depth=2
	v_cmp_ne_u32_e32 vcc, 0, v2
	v_mov_b32_e32 v24, 0
	s_and_saveexec_b64 s[64:65], vcc
	s_cbranch_execz .LBB4_800
; %bb.795:                              ;   in Loop: Header=BB4_124 Depth=2
	v_bfe_u32 v2, v2, 23, 8
	v_sub_u32_e32 v4, 0x79, v2
	v_cmp_gt_u32_e32 vcc, s78, v2
	v_add_u32_e32 v3, 0xffffff81, v2
	v_cndmask_b32_e32 v4, 0, v4, vcc
	v_cmp_eq_u32_e32 vcc, 0, v2
	v_mov_b32_e32 v2, 0xffffff82
	v_cndmask_b32_e32 v18, v3, v2, vcc
	v_mov_b32_e32 v2, 0x78
	v_or_b32_e32 v5, 0x800000, v54
	v_cndmask_b32_e32 v4, v4, v2, vcc
	v_cndmask_b32_e32 v54, v5, v54, vcc
	v_add_u32_e32 v2, 20, v4
	v_lshlrev_b64 v[2:3], v2, -1
	v_add_u32_e32 v5, 19, v4
	v_lshrrev_b64 v[8:9], v4, v[54:55]
	v_not_b32_e32 v3, v3
	v_not_b32_e32 v2, v2
	v_lshlrev_b64 v[6:7], v5, 1
	v_lshrrev_b32_e32 v5, 23, v8
	v_and_b32_e32 v3, 0, v3
	v_and_b32_e32 v2, v54, v2
	v_add3_u32 v4, v4, v18, v5
	v_bfe_u32 v5, v8, 20, 1
	v_add_u32_e32 v5, -1, v5
	v_cmp_eq_u64_e32 vcc, v[2:3], v[6:7]
	v_cndmask_b32_e32 v2, 0, v5, vcc
	v_add_u32_e32 v2, v2, v8
	v_and_b32_e32 v2, 0xfffff, v2
	v_add_co_u32_e32 v2, vcc, v2, v8
	v_add_u32_e32 v19, 6, v4
	v_addc_co_u32_e32 v3, vcc, 0, v9, vcc
	v_cmp_ne_u32_e32 vcc, 0, v19
                                        ; implicit-def: $vgpr18
	s_and_saveexec_b64 s[24:25], vcc
	s_xor_b64 s[24:25], exec, s[24:25]
; %bb.796:                              ;   in Loop: Header=BB4_124 Depth=2
	v_add_u32_e32 v4, 7, v4
	v_cmp_lt_u64_e32 vcc, s[50:51], v[2:3]
	v_cndmask_b32_e32 v18, v19, v4, vcc
	v_cndmask_b32_e64 v4, 0, 1, vcc
	v_lshrrev_b64 v[2:3], v4, v[2:3]
; %bb.797:                              ;   in Loop: Header=BB4_124 Depth=2
	s_andn2_saveexec_b64 s[24:25], s[24:25]
; %bb.798:                              ;   in Loop: Header=BB4_124 Depth=2
	v_bfe_u32 v18, v2, 23, 1
; %bb.799:                              ;   in Loop: Header=BB4_124 Depth=2
	s_or_b64 exec, exec, s[24:25]
	v_lshrrev_b64 v[2:3], 20, v[2:3]
	v_cmp_gt_i32_e32 vcc, 16, v18
	v_cndmask_b32_e32 v3, 0, v3, vcc
	v_cndmask_b32_e32 v2, 7, v2, vcc
	v_cmp_eq_u64_e64 s[24:25], 0, v[2:3]
	v_min_i32_e32 v3, 15, v18
	v_cmp_eq_u32_e32 vcc, 0, v18
	v_lshlrev_b32_e32 v3, 3, v3
	v_and_or_b32 v2, v2, 7, v3
	s_and_b64 s[24:25], vcc, s[24:25]
	v_cndmask_b32_e64 v2, v2, 0, s[24:25]
	v_or_b32_e32 v24, v2, v1
.LBB4_800:                              ;   in Loop: Header=BB4_124 Depth=2
	s_or_b64 exec, exec, s[64:65]
.LBB4_801:                              ;   in Loop: Header=BB4_124 Depth=2
	s_or_b64 exec, exec, s[62:63]
                                        ; implicit-def: $vgpr2
.LBB4_802:                              ;   in Loop: Header=BB4_124 Depth=2
	s_andn2_saveexec_b64 s[24:25], s[60:61]
; %bb.803:                              ;   in Loop: Header=BB4_124 Depth=2
	v_or_b32_sdwa v1, v2, s76 dst_sel:DWORD dst_unused:UNUSED_PAD src0_sel:BYTE_3 src1_sel:DWORD
	v_cmp_eq_u64_e32 vcc, 0, v[54:55]
	v_cndmask_b32_e32 v24, v1, v24, vcc
; %bb.804:                              ;   in Loop: Header=BB4_124 Depth=2
	s_or_b64 exec, exec, s[24:25]
	v_lshrrev_b16_e32 v18, 8, v14
	v_lshrrev_b16_e32 v2, 8, v10
	s_and_b64 vcc, exec, s[22:23]
	v_cmp_ne_u16_e64 s[24:25], 0, v18
	s_cbranch_vccnz .LBB4_818
; %bb.805:                              ;   in Loop: Header=BB4_124 Depth=2
	v_mov_b32_e32 v3, 0
	v_mov_b32_e32 v1, 0
	s_and_saveexec_b64 s[60:61], s[24:25]
	s_cbranch_execz .LBB4_811
; %bb.806:                              ;   in Loop: Header=BB4_124 Depth=2
	v_cmp_ne_u16_e32 vcc, s75, v18
	v_bfrev_b32_e32 v1, 1
	s_and_saveexec_b64 s[62:63], vcc
	s_cbranch_execz .LBB4_810
; %bb.807:                              ;   in Loop: Header=BB4_124 Depth=2
	v_and_b32_e32 v4, 0x7f, v18
	v_cmp_ne_u32_e32 vcc, s76, v4
	v_mov_b32_e32 v1, 0x7f800001
	s_and_saveexec_b64 s[64:65], vcc
	s_cbranch_execz .LBB4_809
; %bb.808:                              ;   in Loop: Header=BB4_124 Depth=2
	v_and_b32_e32 v1, 7, v18
	v_ffbh_u32_e32 v6, v1
	v_min_u32_e32 v8, 32, v6
	v_subrev_u32_e32 v6, 28, v8
	v_lshlrev_b64 v[6:7], v6, v[18:19]
	v_lshrrev_b32_e32 v5, 3, v4
	v_sub_u32_e32 v7, 29, v8
	v_and_b32_e32 v6, 7, v6
	v_cmp_gt_u32_e32 vcc, 8, v4
	v_cndmask_b32_e32 v4, v5, v7, vcc
	v_cndmask_b32_e32 v1, v1, v6, vcc
	v_lshlrev_b32_e32 v5, 16, v14
	v_lshlrev_b32_e32 v1, 20, v1
	v_and_b32_e32 v5, 0x80000000, v5
	v_lshl_add_u32 v4, v4, 23, v0
	v_or3_b32 v1, v5, v4, v1
.LBB4_809:                              ;   in Loop: Header=BB4_124 Depth=2
	s_or_b64 exec, exec, s[64:65]
.LBB4_810:                              ;   in Loop: Header=BB4_124 Depth=2
	s_or_b64 exec, exec, s[62:63]
.LBB4_811:                              ;   in Loop: Header=BB4_124 Depth=2
	s_or_b64 exec, exec, s[60:61]
	v_cmp_ne_u16_e32 vcc, 0, v2
	s_and_saveexec_b64 s[60:61], vcc
	s_cbranch_execz .LBB4_817
; %bb.812:                              ;   in Loop: Header=BB4_124 Depth=2
	v_cmp_ne_u16_e32 vcc, s75, v2
	v_bfrev_b32_e32 v3, 1
	s_and_saveexec_b64 s[62:63], vcc
	s_cbranch_execz .LBB4_816
; %bb.813:                              ;   in Loop: Header=BB4_124 Depth=2
	v_and_b32_e32 v4, 0x7f, v2
	v_cmp_ne_u32_e32 vcc, s76, v4
	v_mov_b32_e32 v3, 0x7f800001
	s_and_saveexec_b64 s[64:65], vcc
	s_cbranch_execz .LBB4_815
; %bb.814:                              ;   in Loop: Header=BB4_124 Depth=2
	v_and_b32_e32 v3, 7, v2
	v_ffbh_u32_e32 v6, v3
	v_min_u32_e32 v8, 32, v6
	v_subrev_u32_e32 v6, 28, v8
	v_lshlrev_b64 v[6:7], v6, v[2:3]
	v_lshrrev_b32_e32 v5, 3, v4
	v_sub_u32_e32 v7, 29, v8
	v_and_b32_e32 v6, 7, v6
	v_cmp_gt_u32_e32 vcc, 8, v4
	v_cndmask_b32_e32 v4, v5, v7, vcc
	v_cndmask_b32_e32 v3, v3, v6, vcc
	v_lshlrev_b32_e32 v5, 16, v10
	v_lshlrev_b32_e32 v3, 20, v3
	v_and_b32_e32 v5, 0x80000000, v5
	v_lshl_add_u32 v4, v4, 23, v0
	v_or3_b32 v3, v5, v4, v3
.LBB4_815:                              ;   in Loop: Header=BB4_124 Depth=2
	s_or_b64 exec, exec, s[64:65]
.LBB4_816:                              ;   in Loop: Header=BB4_124 Depth=2
	s_or_b64 exec, exec, s[62:63]
.LBB4_817:                              ;   in Loop: Header=BB4_124 Depth=2
	s_or_b64 exec, exec, s[60:61]
	v_max_f32_e32 v3, v3, v3
	v_max_f32_e32 v1, v1, v1
	;; [unrolled: 1-line block ×3, first 2 shown]
	s_branch .LBB4_832
.LBB4_818:                              ;   in Loop: Header=BB4_124 Depth=2
                                        ; implicit-def: $vgpr3
	s_cbranch_execz .LBB4_832
; %bb.819:                              ;   in Loop: Header=BB4_124 Depth=2
	v_mov_b32_e32 v3, 0
	v_mov_b32_e32 v1, 0
	s_and_saveexec_b64 s[60:61], s[24:25]
	s_cbranch_execz .LBB4_825
; %bb.820:                              ;   in Loop: Header=BB4_124 Depth=2
	v_cmp_ne_u16_e32 vcc, s75, v18
	v_bfrev_b32_e32 v1, 1
	s_and_saveexec_b64 s[24:25], vcc
	s_cbranch_execz .LBB4_824
; %bb.821:                              ;   in Loop: Header=BB4_124 Depth=2
	v_and_b32_e32 v4, 0x7f, v18
	v_cmp_ne_u32_e32 vcc, s76, v4
	v_mov_b32_e32 v1, 0x7f800001
	s_and_saveexec_b64 s[62:63], vcc
	s_cbranch_execz .LBB4_823
; %bb.822:                              ;   in Loop: Header=BB4_124 Depth=2
	v_and_b32_e32 v1, 7, v18
	v_ffbh_u32_e32 v6, v1
	v_min_u32_e32 v8, 32, v6
	v_subrev_u32_e32 v6, 28, v8
	v_lshlrev_b64 v[6:7], v6, v[18:19]
	v_lshrrev_b32_e32 v5, 3, v4
	v_sub_u32_e32 v7, 29, v8
	v_and_b32_e32 v6, 7, v6
	v_cmp_gt_u32_e32 vcc, 8, v4
	v_cndmask_b32_e32 v4, v5, v7, vcc
	v_cndmask_b32_e32 v1, v1, v6, vcc
	v_lshlrev_b32_e32 v5, 16, v14
	v_lshlrev_b32_e32 v1, 20, v1
	v_and_b32_e32 v5, 0x80000000, v5
	v_lshl_add_u32 v4, v4, 23, v0
	v_or3_b32 v1, v5, v4, v1
.LBB4_823:                              ;   in Loop: Header=BB4_124 Depth=2
	s_or_b64 exec, exec, s[62:63]
.LBB4_824:                              ;   in Loop: Header=BB4_124 Depth=2
	s_or_b64 exec, exec, s[24:25]
.LBB4_825:                              ;   in Loop: Header=BB4_124 Depth=2
	s_or_b64 exec, exec, s[60:61]
	v_cmp_ne_u16_e32 vcc, 0, v2
	s_and_saveexec_b64 s[24:25], vcc
	s_cbranch_execz .LBB4_831
; %bb.826:                              ;   in Loop: Header=BB4_124 Depth=2
	v_cmp_ne_u16_e32 vcc, s75, v2
	v_bfrev_b32_e32 v3, 1
	s_and_saveexec_b64 s[60:61], vcc
	s_cbranch_execz .LBB4_830
; %bb.827:                              ;   in Loop: Header=BB4_124 Depth=2
	v_and_b32_e32 v4, 0x7f, v2
	v_cmp_ne_u32_e32 vcc, s76, v4
	v_mov_b32_e32 v3, 0x7f800001
	s_and_saveexec_b64 s[62:63], vcc
	s_cbranch_execz .LBB4_829
; %bb.828:                              ;   in Loop: Header=BB4_124 Depth=2
	v_and_b32_e32 v5, 7, v2
	v_ffbh_u32_e32 v3, v5
	v_min_u32_e32 v7, 32, v3
	v_subrev_u32_e32 v3, 28, v7
	v_lshlrev_b64 v[2:3], v3, v[2:3]
	v_lshrrev_b32_e32 v6, 3, v4
	v_sub_u32_e32 v3, 29, v7
	v_and_b32_e32 v2, 7, v2
	v_cmp_gt_u32_e32 vcc, 8, v4
	v_cndmask_b32_e32 v3, v6, v3, vcc
	v_cndmask_b32_e32 v2, v5, v2, vcc
	v_lshlrev_b32_e32 v4, 16, v10
	v_lshlrev_b32_e32 v2, 20, v2
	v_and_b32_e32 v4, 0x80000000, v4
	v_lshl_add_u32 v3, v3, 23, v0
	v_or3_b32 v3, v4, v3, v2
.LBB4_829:                              ;   in Loop: Header=BB4_124 Depth=2
	s_or_b64 exec, exec, s[62:63]
.LBB4_830:                              ;   in Loop: Header=BB4_124 Depth=2
	s_or_b64 exec, exec, s[60:61]
.LBB4_831:                              ;   in Loop: Header=BB4_124 Depth=2
	s_or_b64 exec, exec, s[24:25]
	v_max_f32_e32 v2, v3, v3
	v_max_f32_e32 v1, v1, v1
	v_min_f32_e32 v3, v1, v2
.LBB4_832:                              ;   in Loop: Header=BB4_124 Depth=2
	v_and_b32_sdwa v1, v3, s75 dst_sel:DWORD dst_unused:UNUSED_PAD src0_sel:BYTE_3 src1_sel:DWORD
	v_and_b32_e32 v4, 0x7f800000, v3
	v_mov_b32_e32 v5, v55
	v_and_b32_e32 v54, 0x7fffff, v3
	v_or_b32_e32 v25, 0x7e, v1
	v_cmp_ne_u64_e32 vcc, s[44:45], v[4:5]
	s_and_saveexec_b64 s[24:25], vcc
	s_xor_b64 s[60:61], exec, s[24:25]
	s_cbranch_execz .LBB4_842
; %bb.833:                              ;   in Loop: Header=BB4_124 Depth=2
	v_and_b32_e32 v4, 0x7fffffff, v3
	v_mov_b32_e32 v5, v55
	v_cmp_gt_u64_e32 vcc, s[46:47], v[4:5]
	s_and_saveexec_b64 s[62:63], vcc
	s_cbranch_execz .LBB4_841
; %bb.834:                              ;   in Loop: Header=BB4_124 Depth=2
	v_cmp_ne_u32_e32 vcc, 0, v3
	v_mov_b32_e32 v25, 0
	s_and_saveexec_b64 s[64:65], vcc
	s_cbranch_execz .LBB4_840
; %bb.835:                              ;   in Loop: Header=BB4_124 Depth=2
	v_bfe_u32 v2, v3, 23, 8
	v_sub_u32_e32 v4, 0x79, v2
	v_cmp_gt_u32_e32 vcc, s78, v2
	v_add_u32_e32 v3, 0xffffff81, v2
	v_cndmask_b32_e32 v4, 0, v4, vcc
	v_cmp_eq_u32_e32 vcc, 0, v2
	v_mov_b32_e32 v2, 0xffffff82
	v_cndmask_b32_e32 v18, v3, v2, vcc
	v_mov_b32_e32 v2, 0x78
	v_or_b32_e32 v5, 0x800000, v54
	v_cndmask_b32_e32 v4, v4, v2, vcc
	v_cndmask_b32_e32 v54, v5, v54, vcc
	v_add_u32_e32 v2, 20, v4
	v_lshlrev_b64 v[2:3], v2, -1
	v_add_u32_e32 v5, 19, v4
	v_lshrrev_b64 v[8:9], v4, v[54:55]
	v_not_b32_e32 v3, v3
	v_not_b32_e32 v2, v2
	v_lshlrev_b64 v[6:7], v5, 1
	v_lshrrev_b32_e32 v5, 23, v8
	v_and_b32_e32 v3, 0, v3
	v_and_b32_e32 v2, v54, v2
	v_add3_u32 v4, v4, v18, v5
	v_bfe_u32 v5, v8, 20, 1
	v_add_u32_e32 v5, -1, v5
	v_cmp_eq_u64_e32 vcc, v[2:3], v[6:7]
	v_cndmask_b32_e32 v2, 0, v5, vcc
	v_add_u32_e32 v2, v2, v8
	v_and_b32_e32 v2, 0xfffff, v2
	v_add_co_u32_e32 v2, vcc, v2, v8
	v_add_u32_e32 v19, 6, v4
	v_addc_co_u32_e32 v3, vcc, 0, v9, vcc
	v_cmp_ne_u32_e32 vcc, 0, v19
                                        ; implicit-def: $vgpr18
	s_and_saveexec_b64 s[24:25], vcc
	s_xor_b64 s[24:25], exec, s[24:25]
; %bb.836:                              ;   in Loop: Header=BB4_124 Depth=2
	v_add_u32_e32 v4, 7, v4
	v_cmp_lt_u64_e32 vcc, s[50:51], v[2:3]
	v_cndmask_b32_e32 v18, v19, v4, vcc
	v_cndmask_b32_e64 v4, 0, 1, vcc
	v_lshrrev_b64 v[2:3], v4, v[2:3]
; %bb.837:                              ;   in Loop: Header=BB4_124 Depth=2
	s_andn2_saveexec_b64 s[24:25], s[24:25]
; %bb.838:                              ;   in Loop: Header=BB4_124 Depth=2
	v_bfe_u32 v18, v2, 23, 1
; %bb.839:                              ;   in Loop: Header=BB4_124 Depth=2
	s_or_b64 exec, exec, s[24:25]
	v_lshrrev_b64 v[2:3], 20, v[2:3]
	v_cmp_gt_i32_e32 vcc, 16, v18
	v_cndmask_b32_e32 v3, 0, v3, vcc
	v_cndmask_b32_e32 v2, 7, v2, vcc
	v_cmp_eq_u64_e64 s[24:25], 0, v[2:3]
	v_min_i32_e32 v3, 15, v18
	v_cmp_eq_u32_e32 vcc, 0, v18
	v_lshlrev_b32_e32 v3, 3, v3
	v_and_or_b32 v2, v2, 7, v3
	s_and_b64 s[24:25], vcc, s[24:25]
	v_cndmask_b32_e64 v2, v2, 0, s[24:25]
	v_or_b32_e32 v25, v2, v1
.LBB4_840:                              ;   in Loop: Header=BB4_124 Depth=2
	s_or_b64 exec, exec, s[64:65]
.LBB4_841:                              ;   in Loop: Header=BB4_124 Depth=2
	s_or_b64 exec, exec, s[62:63]
                                        ; implicit-def: $vgpr3
.LBB4_842:                              ;   in Loop: Header=BB4_124 Depth=2
	s_andn2_saveexec_b64 s[24:25], s[60:61]
; %bb.843:                              ;   in Loop: Header=BB4_124 Depth=2
	v_or_b32_sdwa v1, v3, s76 dst_sel:DWORD dst_unused:UNUSED_PAD src0_sel:BYTE_3 src1_sel:DWORD
	v_cmp_eq_u64_e32 vcc, 0, v[54:55]
	v_cndmask_b32_e32 v25, v1, v25, vcc
; %bb.844:                              ;   in Loop: Header=BB4_124 Depth=2
	s_or_b64 exec, exec, s[24:25]
	v_lshrrev_b32_e32 v18, 16, v14
	v_lshrrev_b32_e32 v2, 16, v10
	s_and_b64 vcc, exec, s[22:23]
	v_cmp_ne_u16_sdwa s[24:25], v18, v55 src0_sel:BYTE_0 src1_sel:DWORD
	s_cbranch_vccnz .LBB4_858
; %bb.845:                              ;   in Loop: Header=BB4_124 Depth=2
	v_mov_b32_e32 v3, 0
	v_mov_b32_e32 v1, 0
	s_and_saveexec_b64 s[60:61], s[24:25]
	s_cbranch_execz .LBB4_851
; %bb.846:                              ;   in Loop: Header=BB4_124 Depth=2
	v_cmp_ne_u16_sdwa vcc, v18, s75 src0_sel:BYTE_0 src1_sel:DWORD
	v_bfrev_b32_e32 v1, 1
	s_and_saveexec_b64 s[62:63], vcc
	s_cbranch_execz .LBB4_850
; %bb.847:                              ;   in Loop: Header=BB4_124 Depth=2
	v_bfe_u32 v4, v14, 16, 7
	v_cmp_ne_u32_e32 vcc, s76, v4
	v_mov_b32_e32 v1, 0x7f800001
	s_and_saveexec_b64 s[64:65], vcc
	s_cbranch_execz .LBB4_849
; %bb.848:                              ;   in Loop: Header=BB4_124 Depth=2
	v_and_b32_e32 v1, 7, v18
	v_ffbh_u32_e32 v6, v1
	v_min_u32_e32 v8, 32, v6
	v_subrev_u32_e32 v6, 28, v8
	v_lshlrev_b64 v[6:7], v6, v[18:19]
	v_lshrrev_b32_e32 v5, 3, v4
	v_sub_u32_e32 v7, 29, v8
	v_and_b32_e32 v6, 7, v6
	v_cmp_gt_u32_e32 vcc, 8, v4
	v_cndmask_b32_e32 v4, v5, v7, vcc
	v_cndmask_b32_e32 v1, v1, v6, vcc
	v_lshlrev_b32_e32 v5, 24, v18
	v_lshlrev_b32_e32 v1, 20, v1
	v_and_b32_e32 v5, 0x80000000, v5
	v_lshl_add_u32 v4, v4, 23, v0
	v_or3_b32 v1, v5, v4, v1
.LBB4_849:                              ;   in Loop: Header=BB4_124 Depth=2
	s_or_b64 exec, exec, s[64:65]
.LBB4_850:                              ;   in Loop: Header=BB4_124 Depth=2
	s_or_b64 exec, exec, s[62:63]
.LBB4_851:                              ;   in Loop: Header=BB4_124 Depth=2
	s_or_b64 exec, exec, s[60:61]
	v_cmp_ne_u16_sdwa vcc, v2, v55 src0_sel:BYTE_0 src1_sel:DWORD
	s_and_saveexec_b64 s[60:61], vcc
	s_cbranch_execz .LBB4_857
; %bb.852:                              ;   in Loop: Header=BB4_124 Depth=2
	v_cmp_ne_u16_sdwa vcc, v2, s75 src0_sel:BYTE_0 src1_sel:DWORD
	v_bfrev_b32_e32 v3, 1
	s_and_saveexec_b64 s[62:63], vcc
	s_cbranch_execz .LBB4_856
; %bb.853:                              ;   in Loop: Header=BB4_124 Depth=2
	v_bfe_u32 v4, v10, 16, 7
	v_cmp_ne_u32_e32 vcc, s76, v4
	v_mov_b32_e32 v3, 0x7f800001
	s_and_saveexec_b64 s[64:65], vcc
	s_cbranch_execz .LBB4_855
; %bb.854:                              ;   in Loop: Header=BB4_124 Depth=2
	v_and_b32_e32 v3, 7, v2
	v_ffbh_u32_e32 v6, v3
	v_min_u32_e32 v8, 32, v6
	v_subrev_u32_e32 v6, 28, v8
	v_lshlrev_b64 v[6:7], v6, v[2:3]
	v_lshrrev_b32_e32 v5, 3, v4
	v_sub_u32_e32 v7, 29, v8
	v_and_b32_e32 v6, 7, v6
	v_cmp_gt_u32_e32 vcc, 8, v4
	v_cndmask_b32_e32 v4, v5, v7, vcc
	v_cndmask_b32_e32 v3, v3, v6, vcc
	v_lshlrev_b32_e32 v5, 24, v2
	v_lshlrev_b32_e32 v3, 20, v3
	v_and_b32_e32 v5, 0x80000000, v5
	v_lshl_add_u32 v4, v4, 23, v0
	v_or3_b32 v3, v5, v4, v3
.LBB4_855:                              ;   in Loop: Header=BB4_124 Depth=2
	s_or_b64 exec, exec, s[64:65]
.LBB4_856:                              ;   in Loop: Header=BB4_124 Depth=2
	s_or_b64 exec, exec, s[62:63]
.LBB4_857:                              ;   in Loop: Header=BB4_124 Depth=2
	s_or_b64 exec, exec, s[60:61]
	v_max_f32_e32 v3, v3, v3
	v_max_f32_e32 v1, v1, v1
	;; [unrolled: 1-line block ×3, first 2 shown]
	s_branch .LBB4_872
.LBB4_858:                              ;   in Loop: Header=BB4_124 Depth=2
                                        ; implicit-def: $vgpr3
	s_cbranch_execz .LBB4_872
; %bb.859:                              ;   in Loop: Header=BB4_124 Depth=2
	v_mov_b32_e32 v3, 0
	v_mov_b32_e32 v1, 0
	s_and_saveexec_b64 s[60:61], s[24:25]
	s_cbranch_execz .LBB4_865
; %bb.860:                              ;   in Loop: Header=BB4_124 Depth=2
	v_cmp_ne_u16_sdwa vcc, v18, s75 src0_sel:BYTE_0 src1_sel:DWORD
	v_bfrev_b32_e32 v1, 1
	s_and_saveexec_b64 s[24:25], vcc
	s_cbranch_execz .LBB4_864
; %bb.861:                              ;   in Loop: Header=BB4_124 Depth=2
	v_bfe_u32 v4, v14, 16, 7
	v_cmp_ne_u32_e32 vcc, s76, v4
	v_mov_b32_e32 v1, 0x7f800001
	s_and_saveexec_b64 s[62:63], vcc
	s_cbranch_execz .LBB4_863
; %bb.862:                              ;   in Loop: Header=BB4_124 Depth=2
	v_and_b32_e32 v1, 7, v18
	v_ffbh_u32_e32 v6, v1
	v_min_u32_e32 v8, 32, v6
	v_subrev_u32_e32 v6, 28, v8
	v_lshlrev_b64 v[6:7], v6, v[18:19]
	v_lshrrev_b32_e32 v5, 3, v4
	v_sub_u32_e32 v7, 29, v8
	v_and_b32_e32 v6, 7, v6
	v_cmp_gt_u32_e32 vcc, 8, v4
	v_cndmask_b32_e32 v4, v5, v7, vcc
	v_cndmask_b32_e32 v1, v1, v6, vcc
	v_lshlrev_b32_e32 v5, 24, v18
	v_lshlrev_b32_e32 v1, 20, v1
	v_and_b32_e32 v5, 0x80000000, v5
	v_lshl_add_u32 v4, v4, 23, v0
	v_or3_b32 v1, v5, v4, v1
.LBB4_863:                              ;   in Loop: Header=BB4_124 Depth=2
	s_or_b64 exec, exec, s[62:63]
.LBB4_864:                              ;   in Loop: Header=BB4_124 Depth=2
	s_or_b64 exec, exec, s[24:25]
.LBB4_865:                              ;   in Loop: Header=BB4_124 Depth=2
	s_or_b64 exec, exec, s[60:61]
	v_cmp_ne_u16_sdwa vcc, v2, v55 src0_sel:BYTE_0 src1_sel:DWORD
	s_and_saveexec_b64 s[24:25], vcc
	s_cbranch_execz .LBB4_871
; %bb.866:                              ;   in Loop: Header=BB4_124 Depth=2
	v_cmp_ne_u16_sdwa vcc, v2, s75 src0_sel:BYTE_0 src1_sel:DWORD
	v_bfrev_b32_e32 v3, 1
	s_and_saveexec_b64 s[60:61], vcc
	s_cbranch_execz .LBB4_870
; %bb.867:                              ;   in Loop: Header=BB4_124 Depth=2
	v_bfe_u32 v4, v10, 16, 7
	v_cmp_ne_u32_e32 vcc, s76, v4
	v_mov_b32_e32 v3, 0x7f800001
	s_and_saveexec_b64 s[62:63], vcc
	s_cbranch_execz .LBB4_869
; %bb.868:                              ;   in Loop: Header=BB4_124 Depth=2
	v_and_b32_e32 v3, 7, v2
	v_ffbh_u32_e32 v6, v3
	v_min_u32_e32 v8, 32, v6
	v_subrev_u32_e32 v6, 28, v8
	v_lshlrev_b64 v[6:7], v6, v[2:3]
	v_lshrrev_b32_e32 v5, 3, v4
	v_sub_u32_e32 v7, 29, v8
	v_and_b32_e32 v6, 7, v6
	v_cmp_gt_u32_e32 vcc, 8, v4
	v_cndmask_b32_e32 v4, v5, v7, vcc
	v_cndmask_b32_e32 v3, v3, v6, vcc
	v_lshlrev_b32_e32 v2, 24, v2
	v_lshlrev_b32_e32 v3, 20, v3
	v_and_b32_e32 v2, 0x80000000, v2
	v_lshl_add_u32 v4, v4, 23, v0
	v_or3_b32 v3, v2, v4, v3
.LBB4_869:                              ;   in Loop: Header=BB4_124 Depth=2
	s_or_b64 exec, exec, s[62:63]
.LBB4_870:                              ;   in Loop: Header=BB4_124 Depth=2
	s_or_b64 exec, exec, s[60:61]
.LBB4_871:                              ;   in Loop: Header=BB4_124 Depth=2
	s_or_b64 exec, exec, s[24:25]
	v_max_f32_e32 v2, v3, v3
	v_max_f32_e32 v1, v1, v1
	v_min_f32_e32 v3, v1, v2
.LBB4_872:                              ;   in Loop: Header=BB4_124 Depth=2
	v_and_b32_sdwa v1, v3, s75 dst_sel:DWORD dst_unused:UNUSED_PAD src0_sel:BYTE_3 src1_sel:DWORD
	v_and_b32_e32 v4, 0x7f800000, v3
	v_mov_b32_e32 v5, v55
	v_and_b32_e32 v54, 0x7fffff, v3
	v_or_b32_e32 v29, 0x7e, v1
	v_cmp_ne_u64_e32 vcc, s[44:45], v[4:5]
	s_and_saveexec_b64 s[24:25], vcc
	s_xor_b64 s[60:61], exec, s[24:25]
	s_cbranch_execz .LBB4_882
; %bb.873:                              ;   in Loop: Header=BB4_124 Depth=2
	v_and_b32_e32 v4, 0x7fffffff, v3
	v_mov_b32_e32 v5, v55
	v_cmp_gt_u64_e32 vcc, s[46:47], v[4:5]
	s_and_saveexec_b64 s[62:63], vcc
	s_cbranch_execz .LBB4_881
; %bb.874:                              ;   in Loop: Header=BB4_124 Depth=2
	v_cmp_ne_u32_e32 vcc, 0, v3
	v_mov_b32_e32 v29, 0
	s_and_saveexec_b64 s[64:65], vcc
	s_cbranch_execz .LBB4_880
; %bb.875:                              ;   in Loop: Header=BB4_124 Depth=2
	v_bfe_u32 v2, v3, 23, 8
	v_sub_u32_e32 v4, 0x79, v2
	v_cmp_gt_u32_e32 vcc, s78, v2
	v_add_u32_e32 v3, 0xffffff81, v2
	v_cndmask_b32_e32 v4, 0, v4, vcc
	v_cmp_eq_u32_e32 vcc, 0, v2
	v_mov_b32_e32 v2, 0xffffff82
	v_cndmask_b32_e32 v18, v3, v2, vcc
	v_mov_b32_e32 v2, 0x78
	v_or_b32_e32 v5, 0x800000, v54
	v_cndmask_b32_e32 v4, v4, v2, vcc
	v_cndmask_b32_e32 v54, v5, v54, vcc
	v_add_u32_e32 v2, 20, v4
	v_lshlrev_b64 v[2:3], v2, -1
	v_add_u32_e32 v5, 19, v4
	v_lshrrev_b64 v[8:9], v4, v[54:55]
	v_not_b32_e32 v3, v3
	v_not_b32_e32 v2, v2
	v_lshlrev_b64 v[6:7], v5, 1
	v_lshrrev_b32_e32 v5, 23, v8
	v_and_b32_e32 v3, 0, v3
	v_and_b32_e32 v2, v54, v2
	v_add3_u32 v4, v4, v18, v5
	v_bfe_u32 v5, v8, 20, 1
	v_add_u32_e32 v5, -1, v5
	v_cmp_eq_u64_e32 vcc, v[2:3], v[6:7]
	v_cndmask_b32_e32 v2, 0, v5, vcc
	v_add_u32_e32 v2, v2, v8
	v_and_b32_e32 v2, 0xfffff, v2
	v_add_co_u32_e32 v2, vcc, v2, v8
	v_add_u32_e32 v19, 6, v4
	v_addc_co_u32_e32 v3, vcc, 0, v9, vcc
	v_cmp_ne_u32_e32 vcc, 0, v19
                                        ; implicit-def: $vgpr18
	s_and_saveexec_b64 s[24:25], vcc
	s_xor_b64 s[24:25], exec, s[24:25]
; %bb.876:                              ;   in Loop: Header=BB4_124 Depth=2
	v_add_u32_e32 v4, 7, v4
	v_cmp_lt_u64_e32 vcc, s[50:51], v[2:3]
	v_cndmask_b32_e32 v18, v19, v4, vcc
	v_cndmask_b32_e64 v4, 0, 1, vcc
	v_lshrrev_b64 v[2:3], v4, v[2:3]
; %bb.877:                              ;   in Loop: Header=BB4_124 Depth=2
	s_andn2_saveexec_b64 s[24:25], s[24:25]
; %bb.878:                              ;   in Loop: Header=BB4_124 Depth=2
	v_bfe_u32 v18, v2, 23, 1
; %bb.879:                              ;   in Loop: Header=BB4_124 Depth=2
	s_or_b64 exec, exec, s[24:25]
	v_lshrrev_b64 v[2:3], 20, v[2:3]
	v_cmp_gt_i32_e32 vcc, 16, v18
	v_cndmask_b32_e32 v3, 0, v3, vcc
	v_cndmask_b32_e32 v2, 7, v2, vcc
	v_cmp_eq_u64_e64 s[24:25], 0, v[2:3]
	v_min_i32_e32 v3, 15, v18
	v_cmp_eq_u32_e32 vcc, 0, v18
	v_lshlrev_b32_e32 v3, 3, v3
	v_and_or_b32 v2, v2, 7, v3
	s_and_b64 s[24:25], vcc, s[24:25]
	v_cndmask_b32_e64 v2, v2, 0, s[24:25]
	v_or_b32_e32 v29, v2, v1
.LBB4_880:                              ;   in Loop: Header=BB4_124 Depth=2
	s_or_b64 exec, exec, s[64:65]
.LBB4_881:                              ;   in Loop: Header=BB4_124 Depth=2
	s_or_b64 exec, exec, s[62:63]
                                        ; implicit-def: $vgpr3
.LBB4_882:                              ;   in Loop: Header=BB4_124 Depth=2
	s_andn2_saveexec_b64 s[24:25], s[60:61]
; %bb.883:                              ;   in Loop: Header=BB4_124 Depth=2
	v_or_b32_sdwa v1, v3, s76 dst_sel:DWORD dst_unused:UNUSED_PAD src0_sel:BYTE_3 src1_sel:DWORD
	v_cmp_eq_u64_e32 vcc, 0, v[54:55]
	v_cndmask_b32_e32 v29, v1, v29, vcc
; %bb.884:                              ;   in Loop: Header=BB4_124 Depth=2
	s_or_b64 exec, exec, s[24:25]
	v_lshrrev_b32_e32 v18, 24, v14
	v_lshrrev_b32_e32 v2, 24, v10
	s_and_b64 vcc, exec, s[22:23]
	v_cmp_lt_u32_e64 s[24:25], s49, v14
	s_cbranch_vccnz .LBB4_898
; %bb.885:                              ;   in Loop: Header=BB4_124 Depth=2
	v_mov_b32_e32 v3, 0
	v_mov_b32_e32 v1, 0
	s_and_saveexec_b64 s[60:61], s[24:25]
	s_cbranch_execz .LBB4_891
; %bb.886:                              ;   in Loop: Header=BB4_124 Depth=2
	v_cmp_ne_u32_e32 vcc, s75, v18
	v_bfrev_b32_e32 v1, 1
	s_and_saveexec_b64 s[62:63], vcc
	s_cbranch_execz .LBB4_890
; %bb.887:                              ;   in Loop: Header=BB4_124 Depth=2
	v_bfe_u32 v4, v14, 24, 7
	v_cmp_ne_u32_e32 vcc, s76, v4
	v_mov_b32_e32 v1, 0x7f800001
	s_and_saveexec_b64 s[64:65], vcc
	s_cbranch_execz .LBB4_889
; %bb.888:                              ;   in Loop: Header=BB4_124 Depth=2
	v_and_b32_e32 v1, 7, v18
	v_ffbh_u32_e32 v6, v1
	v_min_u32_e32 v8, 32, v6
	v_subrev_u32_e32 v6, 28, v8
	v_lshlrev_b64 v[6:7], v6, v[18:19]
	v_lshrrev_b32_e32 v5, 3, v4
	v_sub_u32_e32 v7, 29, v8
	v_and_b32_e32 v6, 7, v6
	v_cmp_gt_u32_e32 vcc, 8, v4
	v_cndmask_b32_e32 v4, v5, v7, vcc
	v_cndmask_b32_e32 v1, v1, v6, vcc
	v_lshlrev_b32_e32 v5, 24, v18
	v_lshlrev_b32_e32 v1, 20, v1
	v_and_b32_e32 v5, 0x80000000, v5
	v_lshl_add_u32 v4, v4, 23, v0
	v_or3_b32 v1, v5, v4, v1
.LBB4_889:                              ;   in Loop: Header=BB4_124 Depth=2
	s_or_b64 exec, exec, s[64:65]
.LBB4_890:                              ;   in Loop: Header=BB4_124 Depth=2
	s_or_b64 exec, exec, s[62:63]
.LBB4_891:                              ;   in Loop: Header=BB4_124 Depth=2
	s_or_b64 exec, exec, s[60:61]
	v_cmp_lt_u32_e32 vcc, s49, v10
	s_and_saveexec_b64 s[60:61], vcc
	s_cbranch_execz .LBB4_897
; %bb.892:                              ;   in Loop: Header=BB4_124 Depth=2
	v_cmp_ne_u32_e32 vcc, s75, v2
	v_bfrev_b32_e32 v3, 1
	s_and_saveexec_b64 s[62:63], vcc
	s_cbranch_execz .LBB4_896
; %bb.893:                              ;   in Loop: Header=BB4_124 Depth=2
	v_bfe_u32 v4, v10, 24, 7
	v_cmp_ne_u32_e32 vcc, s76, v4
	v_mov_b32_e32 v3, 0x7f800001
	s_and_saveexec_b64 s[64:65], vcc
	s_cbranch_execz .LBB4_895
; %bb.894:                              ;   in Loop: Header=BB4_124 Depth=2
	v_and_b32_e32 v3, 7, v2
	v_ffbh_u32_e32 v6, v3
	v_min_u32_e32 v8, 32, v6
	v_subrev_u32_e32 v6, 28, v8
	v_lshlrev_b64 v[6:7], v6, v[2:3]
	v_lshrrev_b32_e32 v5, 3, v4
	v_sub_u32_e32 v7, 29, v8
	v_and_b32_e32 v6, 7, v6
	v_cmp_gt_u32_e32 vcc, 8, v4
	v_cndmask_b32_e32 v4, v5, v7, vcc
	v_cndmask_b32_e32 v3, v3, v6, vcc
	v_lshlrev_b32_e32 v5, 24, v2
	v_lshlrev_b32_e32 v3, 20, v3
	v_and_b32_e32 v5, 0x80000000, v5
	v_lshl_add_u32 v4, v4, 23, v0
	v_or3_b32 v3, v5, v4, v3
.LBB4_895:                              ;   in Loop: Header=BB4_124 Depth=2
	s_or_b64 exec, exec, s[64:65]
.LBB4_896:                              ;   in Loop: Header=BB4_124 Depth=2
	s_or_b64 exec, exec, s[62:63]
.LBB4_897:                              ;   in Loop: Header=BB4_124 Depth=2
	s_or_b64 exec, exec, s[60:61]
	v_max_f32_e32 v3, v3, v3
	v_max_f32_e32 v1, v1, v1
	;; [unrolled: 1-line block ×3, first 2 shown]
	s_branch .LBB4_912
.LBB4_898:                              ;   in Loop: Header=BB4_124 Depth=2
                                        ; implicit-def: $vgpr3
	s_cbranch_execz .LBB4_912
; %bb.899:                              ;   in Loop: Header=BB4_124 Depth=2
	v_mov_b32_e32 v3, 0
	v_mov_b32_e32 v1, 0
	s_and_saveexec_b64 s[60:61], s[24:25]
	s_cbranch_execz .LBB4_905
; %bb.900:                              ;   in Loop: Header=BB4_124 Depth=2
	v_cmp_ne_u32_e32 vcc, s75, v18
	v_bfrev_b32_e32 v1, 1
	s_and_saveexec_b64 s[24:25], vcc
	s_cbranch_execz .LBB4_904
; %bb.901:                              ;   in Loop: Header=BB4_124 Depth=2
	v_bfe_u32 v4, v14, 24, 7
	v_cmp_ne_u32_e32 vcc, s76, v4
	v_mov_b32_e32 v1, 0x7f800001
	s_and_saveexec_b64 s[62:63], vcc
	s_cbranch_execz .LBB4_903
; %bb.902:                              ;   in Loop: Header=BB4_124 Depth=2
	v_and_b32_e32 v1, 7, v18
	v_ffbh_u32_e32 v6, v1
	v_min_u32_e32 v8, 32, v6
	v_subrev_u32_e32 v6, 28, v8
	v_lshlrev_b64 v[6:7], v6, v[18:19]
	v_lshrrev_b32_e32 v5, 3, v4
	v_sub_u32_e32 v7, 29, v8
	v_and_b32_e32 v6, 7, v6
	v_cmp_gt_u32_e32 vcc, 8, v4
	v_cndmask_b32_e32 v4, v5, v7, vcc
	v_cndmask_b32_e32 v1, v1, v6, vcc
	v_lshlrev_b32_e32 v5, 24, v18
	v_lshlrev_b32_e32 v1, 20, v1
	v_and_b32_e32 v5, 0x80000000, v5
	v_lshl_add_u32 v4, v4, 23, v0
	v_or3_b32 v1, v5, v4, v1
.LBB4_903:                              ;   in Loop: Header=BB4_124 Depth=2
	s_or_b64 exec, exec, s[62:63]
.LBB4_904:                              ;   in Loop: Header=BB4_124 Depth=2
	s_or_b64 exec, exec, s[24:25]
.LBB4_905:                              ;   in Loop: Header=BB4_124 Depth=2
	s_or_b64 exec, exec, s[60:61]
	v_cmp_lt_u32_e32 vcc, s49, v10
	s_and_saveexec_b64 s[24:25], vcc
	s_cbranch_execz .LBB4_911
; %bb.906:                              ;   in Loop: Header=BB4_124 Depth=2
	v_cmp_ne_u32_e32 vcc, s75, v2
	v_bfrev_b32_e32 v3, 1
	s_and_saveexec_b64 s[60:61], vcc
	s_cbranch_execz .LBB4_910
; %bb.907:                              ;   in Loop: Header=BB4_124 Depth=2
	v_bfe_u32 v4, v10, 24, 7
	v_cmp_ne_u32_e32 vcc, s76, v4
	v_mov_b32_e32 v3, 0x7f800001
	s_and_saveexec_b64 s[62:63], vcc
	s_cbranch_execz .LBB4_909
; %bb.908:                              ;   in Loop: Header=BB4_124 Depth=2
	v_and_b32_e32 v3, 7, v2
	v_ffbh_u32_e32 v6, v3
	v_min_u32_e32 v8, 32, v6
	v_subrev_u32_e32 v6, 28, v8
	v_lshlrev_b64 v[6:7], v6, v[2:3]
	v_lshrrev_b32_e32 v5, 3, v4
	v_sub_u32_e32 v7, 29, v8
	v_and_b32_e32 v6, 7, v6
	v_cmp_gt_u32_e32 vcc, 8, v4
	v_cndmask_b32_e32 v4, v5, v7, vcc
	v_cndmask_b32_e32 v3, v3, v6, vcc
	v_lshlrev_b32_e32 v2, 24, v2
	v_lshlrev_b32_e32 v3, 20, v3
	v_and_b32_e32 v2, 0x80000000, v2
	v_lshl_add_u32 v4, v4, 23, v0
	v_or3_b32 v3, v2, v4, v3
.LBB4_909:                              ;   in Loop: Header=BB4_124 Depth=2
	s_or_b64 exec, exec, s[62:63]
.LBB4_910:                              ;   in Loop: Header=BB4_124 Depth=2
	s_or_b64 exec, exec, s[60:61]
.LBB4_911:                              ;   in Loop: Header=BB4_124 Depth=2
	s_or_b64 exec, exec, s[24:25]
	v_max_f32_e32 v2, v3, v3
	v_max_f32_e32 v1, v1, v1
	v_min_f32_e32 v3, v1, v2
.LBB4_912:                              ;   in Loop: Header=BB4_124 Depth=2
	v_and_b32_sdwa v18, v3, s75 dst_sel:DWORD dst_unused:UNUSED_PAD src0_sel:BYTE_3 src1_sel:DWORD
	v_and_b32_e32 v4, 0x7f800000, v3
	v_mov_b32_e32 v5, v55
	v_and_b32_e32 v54, 0x7fffff, v3
	v_or_b32_e32 v1, 0x7e, v18
	v_cmp_ne_u64_e32 vcc, s[44:45], v[4:5]
	s_and_saveexec_b64 s[24:25], vcc
	s_xor_b64 s[60:61], exec, s[24:25]
	s_cbranch_execz .LBB4_922
; %bb.913:                              ;   in Loop: Header=BB4_124 Depth=2
	v_and_b32_e32 v4, 0x7fffffff, v3
	v_mov_b32_e32 v5, v55
	v_cmp_gt_u64_e32 vcc, s[46:47], v[4:5]
	s_and_saveexec_b64 s[62:63], vcc
	s_cbranch_execz .LBB4_921
; %bb.914:                              ;   in Loop: Header=BB4_124 Depth=2
	v_cmp_ne_u32_e32 vcc, 0, v3
	v_mov_b32_e32 v1, 0
	s_and_saveexec_b64 s[64:65], vcc
	s_cbranch_execz .LBB4_920
; %bb.915:                              ;   in Loop: Header=BB4_124 Depth=2
	v_bfe_u32 v1, v3, 23, 8
	v_sub_u32_e32 v3, 0x79, v1
	v_cmp_gt_u32_e32 vcc, s78, v1
	v_add_u32_e32 v2, 0xffffff81, v1
	v_cndmask_b32_e32 v3, 0, v3, vcc
	v_cmp_eq_u32_e32 vcc, 0, v1
	v_mov_b32_e32 v1, 0xffffff82
	v_cndmask_b32_e32 v1, v2, v1, vcc
	v_mov_b32_e32 v2, 0x78
	v_or_b32_e32 v4, 0x800000, v54
	v_cndmask_b32_e32 v5, v3, v2, vcc
	v_cndmask_b32_e32 v54, v4, v54, vcc
	v_add_u32_e32 v2, 20, v5
	v_lshlrev_b64 v[2:3], v2, -1
	v_add_u32_e32 v4, 19, v5
	v_lshrrev_b64 v[8:9], v5, v[54:55]
	v_not_b32_e32 v3, v3
	v_not_b32_e32 v2, v2
	v_lshlrev_b64 v[6:7], v4, 1
	v_lshrrev_b32_e32 v4, 23, v8
	v_and_b32_e32 v3, 0, v3
	v_and_b32_e32 v2, v54, v2
	v_add3_u32 v4, v5, v1, v4
	v_bfe_u32 v1, v8, 20, 1
	v_add_u32_e32 v1, -1, v1
	v_cmp_eq_u64_e32 vcc, v[2:3], v[6:7]
	v_cndmask_b32_e32 v1, 0, v1, vcc
	v_add_u32_e32 v1, v1, v8
	v_and_b32_e32 v1, 0xfffff, v1
	v_add_co_u32_e32 v2, vcc, v1, v8
	v_add_u32_e32 v19, 6, v4
	v_addc_co_u32_e32 v3, vcc, 0, v9, vcc
	v_cmp_ne_u32_e32 vcc, 0, v19
                                        ; implicit-def: $vgpr1
	s_and_saveexec_b64 s[24:25], vcc
	s_xor_b64 s[24:25], exec, s[24:25]
; %bb.916:                              ;   in Loop: Header=BB4_124 Depth=2
	v_cmp_lt_u64_e32 vcc, s[50:51], v[2:3]
	v_add_u32_e32 v1, 7, v4
	v_cndmask_b32_e64 v4, 0, 1, vcc
	v_cndmask_b32_e32 v1, v19, v1, vcc
	v_lshrrev_b64 v[2:3], v4, v[2:3]
; %bb.917:                              ;   in Loop: Header=BB4_124 Depth=2
	s_andn2_saveexec_b64 s[24:25], s[24:25]
; %bb.918:                              ;   in Loop: Header=BB4_124 Depth=2
	v_bfe_u32 v1, v2, 23, 1
; %bb.919:                              ;   in Loop: Header=BB4_124 Depth=2
	s_or_b64 exec, exec, s[24:25]
	v_lshrrev_b64 v[2:3], 20, v[2:3]
	v_cmp_gt_i32_e32 vcc, 16, v1
	v_cndmask_b32_e32 v3, 0, v3, vcc
	v_cndmask_b32_e32 v2, 7, v2, vcc
	v_cmp_eq_u32_e32 vcc, 0, v1
	v_min_i32_e32 v1, 15, v1
	v_cmp_eq_u64_e64 s[24:25], 0, v[2:3]
	v_lshlrev_b32_e32 v1, 3, v1
	v_and_or_b32 v1, v2, 7, v1
	s_and_b64 s[24:25], vcc, s[24:25]
	v_cndmask_b32_e64 v1, v1, 0, s[24:25]
	v_or_b32_e32 v1, v1, v18
.LBB4_920:                              ;   in Loop: Header=BB4_124 Depth=2
	s_or_b64 exec, exec, s[64:65]
.LBB4_921:                              ;   in Loop: Header=BB4_124 Depth=2
	s_or_b64 exec, exec, s[62:63]
                                        ; implicit-def: $vgpr3
.LBB4_922:                              ;   in Loop: Header=BB4_124 Depth=2
	s_andn2_saveexec_b64 s[24:25], s[60:61]
; %bb.923:                              ;   in Loop: Header=BB4_124 Depth=2
	v_or_b32_sdwa v2, v3, s76 dst_sel:DWORD dst_unused:UNUSED_PAD src0_sel:BYTE_3 src1_sel:DWORD
	v_cmp_eq_u64_e32 vcc, 0, v[54:55]
	v_cndmask_b32_e32 v1, v2, v1, vcc
; %bb.924:                              ;   in Loop: Header=BB4_124 Depth=2
	s_or_b64 exec, exec, s[24:25]
	v_mov_b32_e32 v54, v15
	v_mov_b32_e32 v2, v11
	;; [unrolled: 1-line block ×3, first 2 shown]
	s_and_b64 vcc, exec, s[22:23]
	v_cmp_ne_u16_sdwa s[24:25], v15, v55 src0_sel:BYTE_0 src1_sel:DWORD
	s_cbranch_vccnz .LBB4_938
; %bb.925:                              ;   in Loop: Header=BB4_124 Depth=2
	v_mov_b32_e32 v19, 0
	v_mov_b32_e32 v18, 0
	s_and_saveexec_b64 s[60:61], s[24:25]
	s_cbranch_execz .LBB4_931
; %bb.926:                              ;   in Loop: Header=BB4_124 Depth=2
	v_cmp_ne_u16_sdwa vcc, v15, s75 src0_sel:BYTE_0 src1_sel:DWORD
	v_bfrev_b32_e32 v18, 1
	s_and_saveexec_b64 s[62:63], vcc
	s_cbranch_execz .LBB4_930
; %bb.927:                              ;   in Loop: Header=BB4_124 Depth=2
	v_and_b32_e32 v4, 0x7f, v15
	v_cmp_ne_u32_e32 vcc, s76, v4
	v_mov_b32_e32 v18, 0x7f800001
	s_and_saveexec_b64 s[64:65], vcc
	s_cbranch_execz .LBB4_929
; %bb.928:                              ;   in Loop: Header=BB4_124 Depth=2
	v_and_b32_e32 v5, 7, v15
	v_ffbh_u32_e32 v5, v5
	v_min_u32_e32 v5, 32, v5
	v_subrev_u32_e32 v7, 28, v5
	v_cmp_gt_u32_e32 vcc, 8, v4
	v_lshrrev_b32_e32 v6, 3, v4
	v_sub_u32_e32 v5, 29, v5
	v_cndmask_b32_e32 v4, 0, v7, vcc
	v_cndmask_b32_e32 v6, v6, v5, vcc
	v_lshlrev_b64 v[4:5], v4, v[54:55]
	v_lshlrev_b32_e32 v4, 20, v4
	v_lshlrev_b32_e32 v5, 24, v54
	v_and_b32_e32 v4, 0x700000, v4
	v_and_b32_e32 v5, 0x80000000, v5
	v_lshl_add_u32 v6, v6, 23, v0
	v_or3_b32 v18, v5, v6, v4
.LBB4_929:                              ;   in Loop: Header=BB4_124 Depth=2
	s_or_b64 exec, exec, s[64:65]
.LBB4_930:                              ;   in Loop: Header=BB4_124 Depth=2
	s_or_b64 exec, exec, s[62:63]
.LBB4_931:                              ;   in Loop: Header=BB4_124 Depth=2
	s_or_b64 exec, exec, s[60:61]
	v_cmp_ne_u16_sdwa vcc, v11, v55 src0_sel:BYTE_0 src1_sel:DWORD
	s_and_saveexec_b64 s[60:61], vcc
	s_cbranch_execz .LBB4_937
; %bb.932:                              ;   in Loop: Header=BB4_124 Depth=2
	v_cmp_ne_u16_sdwa vcc, v11, s75 src0_sel:BYTE_0 src1_sel:DWORD
	v_bfrev_b32_e32 v19, 1
	s_and_saveexec_b64 s[62:63], vcc
	s_cbranch_execz .LBB4_936
; %bb.933:                              ;   in Loop: Header=BB4_124 Depth=2
	v_and_b32_e32 v4, 0x7f, v11
	v_cmp_ne_u32_e32 vcc, s76, v4
	v_mov_b32_e32 v19, 0x7f800001
	s_and_saveexec_b64 s[64:65], vcc
	s_cbranch_execz .LBB4_935
; %bb.934:                              ;   in Loop: Header=BB4_124 Depth=2
	v_and_b32_e32 v5, 7, v11
	v_ffbh_u32_e32 v5, v5
	v_min_u32_e32 v5, 32, v5
	v_subrev_u32_e32 v7, 28, v5
	v_cmp_gt_u32_e32 vcc, 8, v4
	v_lshrrev_b32_e32 v6, 3, v4
	v_sub_u32_e32 v5, 29, v5
	v_cndmask_b32_e32 v4, 0, v7, vcc
	v_cndmask_b32_e32 v6, v6, v5, vcc
	v_lshlrev_b64 v[4:5], v4, v[2:3]
	v_lshlrev_b32_e32 v4, 20, v4
	v_lshlrev_b32_e32 v5, 24, v2
	v_and_b32_e32 v4, 0x700000, v4
	v_and_b32_e32 v5, 0x80000000, v5
	v_lshl_add_u32 v6, v6, 23, v0
	v_or3_b32 v19, v5, v6, v4
.LBB4_935:                              ;   in Loop: Header=BB4_124 Depth=2
	s_or_b64 exec, exec, s[64:65]
.LBB4_936:                              ;   in Loop: Header=BB4_124 Depth=2
	s_or_b64 exec, exec, s[62:63]
.LBB4_937:                              ;   in Loop: Header=BB4_124 Depth=2
	s_or_b64 exec, exec, s[60:61]
	v_max_f32_e32 v4, v19, v19
	v_max_f32_e32 v5, v18, v18
	;; [unrolled: 1-line block ×3, first 2 shown]
	s_branch .LBB4_952
.LBB4_938:                              ;   in Loop: Header=BB4_124 Depth=2
                                        ; implicit-def: $vgpr20
	s_cbranch_execz .LBB4_952
; %bb.939:                              ;   in Loop: Header=BB4_124 Depth=2
	v_mov_b32_e32 v19, 0
	v_mov_b32_e32 v18, 0
	s_and_saveexec_b64 s[60:61], s[24:25]
	s_cbranch_execz .LBB4_945
; %bb.940:                              ;   in Loop: Header=BB4_124 Depth=2
	v_cmp_ne_u16_sdwa vcc, v15, s75 src0_sel:BYTE_0 src1_sel:DWORD
	v_bfrev_b32_e32 v18, 1
	s_and_saveexec_b64 s[24:25], vcc
	s_cbranch_execz .LBB4_944
; %bb.941:                              ;   in Loop: Header=BB4_124 Depth=2
	v_and_b32_e32 v4, 0x7f, v15
	v_cmp_ne_u32_e32 vcc, s76, v4
	v_mov_b32_e32 v18, 0x7f800001
	s_and_saveexec_b64 s[62:63], vcc
	s_cbranch_execz .LBB4_943
; %bb.942:                              ;   in Loop: Header=BB4_124 Depth=2
	v_and_b32_e32 v5, 7, v15
	v_ffbh_u32_e32 v5, v5
	v_min_u32_e32 v5, 32, v5
	v_subrev_u32_e32 v7, 28, v5
	v_cmp_gt_u32_e32 vcc, 8, v4
	v_lshrrev_b32_e32 v6, 3, v4
	v_sub_u32_e32 v5, 29, v5
	v_cndmask_b32_e32 v4, 0, v7, vcc
	v_cndmask_b32_e32 v6, v6, v5, vcc
	v_lshlrev_b64 v[4:5], v4, v[54:55]
	v_lshlrev_b32_e32 v4, 20, v4
	v_lshlrev_b32_e32 v5, 24, v54
	v_and_b32_e32 v4, 0x700000, v4
	v_and_b32_e32 v5, 0x80000000, v5
	v_lshl_add_u32 v6, v6, 23, v0
	v_or3_b32 v18, v5, v6, v4
.LBB4_943:                              ;   in Loop: Header=BB4_124 Depth=2
	s_or_b64 exec, exec, s[62:63]
.LBB4_944:                              ;   in Loop: Header=BB4_124 Depth=2
	s_or_b64 exec, exec, s[24:25]
.LBB4_945:                              ;   in Loop: Header=BB4_124 Depth=2
	s_or_b64 exec, exec, s[60:61]
	v_cmp_ne_u16_sdwa vcc, v11, v55 src0_sel:BYTE_0 src1_sel:DWORD
	s_and_saveexec_b64 s[24:25], vcc
	s_cbranch_execz .LBB4_951
; %bb.946:                              ;   in Loop: Header=BB4_124 Depth=2
	v_cmp_ne_u16_sdwa vcc, v11, s75 src0_sel:BYTE_0 src1_sel:DWORD
	v_bfrev_b32_e32 v19, 1
	s_and_saveexec_b64 s[60:61], vcc
	s_cbranch_execz .LBB4_950
; %bb.947:                              ;   in Loop: Header=BB4_124 Depth=2
	v_and_b32_e32 v4, 0x7f, v11
	v_cmp_ne_u32_e32 vcc, s76, v4
	v_mov_b32_e32 v19, 0x7f800001
	s_and_saveexec_b64 s[62:63], vcc
	s_cbranch_execz .LBB4_949
; %bb.948:                              ;   in Loop: Header=BB4_124 Depth=2
	v_and_b32_e32 v5, 7, v11
	v_ffbh_u32_e32 v5, v5
	v_min_u32_e32 v5, 32, v5
	v_subrev_u32_e32 v7, 28, v5
	v_cmp_gt_u32_e32 vcc, 8, v4
	v_lshrrev_b32_e32 v6, 3, v4
	v_sub_u32_e32 v5, 29, v5
	v_cndmask_b32_e32 v4, 0, v7, vcc
	v_cndmask_b32_e32 v6, v6, v5, vcc
	v_lshlrev_b64 v[4:5], v4, v[2:3]
	v_lshlrev_b32_e32 v3, 20, v4
	v_lshlrev_b32_e32 v4, 24, v2
	v_and_b32_e32 v3, 0x700000, v3
	v_and_b32_e32 v4, 0x80000000, v4
	v_lshl_add_u32 v5, v6, 23, v0
	v_or3_b32 v19, v4, v5, v3
.LBB4_949:                              ;   in Loop: Header=BB4_124 Depth=2
	s_or_b64 exec, exec, s[62:63]
.LBB4_950:                              ;   in Loop: Header=BB4_124 Depth=2
	s_or_b64 exec, exec, s[60:61]
.LBB4_951:                              ;   in Loop: Header=BB4_124 Depth=2
	s_or_b64 exec, exec, s[24:25]
	v_max_f32_e32 v3, v19, v19
	v_max_f32_e32 v4, v18, v18
	v_min_f32_e32 v20, v4, v3
.LBB4_952:                              ;   in Loop: Header=BB4_124 Depth=2
	v_and_b32_sdwa v3, v20, s75 dst_sel:DWORD dst_unused:UNUSED_PAD src0_sel:BYTE_3 src1_sel:DWORD
	v_and_b32_e32 v4, 0x7f800000, v20
	v_mov_b32_e32 v5, v55
	v_and_b32_e32 v18, 0x7fffff, v20
	v_mov_b32_e32 v19, v55
	v_or_b32_e32 v43, 0x7e, v3
	v_cmp_ne_u64_e32 vcc, s[44:45], v[4:5]
	s_and_saveexec_b64 s[24:25], vcc
	s_xor_b64 s[60:61], exec, s[24:25]
	s_cbranch_execz .LBB4_962
; %bb.953:                              ;   in Loop: Header=BB4_124 Depth=2
	v_and_b32_e32 v4, 0x7fffffff, v20
	v_mov_b32_e32 v5, v55
	v_cmp_gt_u64_e32 vcc, s[46:47], v[4:5]
	s_and_saveexec_b64 s[62:63], vcc
	s_cbranch_execz .LBB4_961
; %bb.954:                              ;   in Loop: Header=BB4_124 Depth=2
	v_cmp_ne_u32_e32 vcc, 0, v20
	v_mov_b32_e32 v43, 0
	s_and_saveexec_b64 s[64:65], vcc
	s_cbranch_execz .LBB4_960
; %bb.955:                              ;   in Loop: Header=BB4_124 Depth=2
	v_bfe_u32 v4, v20, 23, 8
	v_sub_u32_e32 v6, 0x79, v4
	v_cmp_gt_u32_e32 vcc, s78, v4
	v_add_u32_e32 v5, 0xffffff81, v4
	v_cndmask_b32_e32 v6, 0, v6, vcc
	v_cmp_eq_u32_e32 vcc, 0, v4
	v_mov_b32_e32 v4, 0xffffff82
	v_cndmask_b32_e32 v20, v5, v4, vcc
	v_mov_b32_e32 v4, 0x78
	v_cndmask_b32_e32 v26, v6, v4, vcc
	v_add_u32_e32 v4, 20, v26
	v_or_b32_e32 v7, 0x800000, v18
	v_lshlrev_b64 v[4:5], v4, -1
	v_cndmask_b32_e32 v18, v7, v18, vcc
	v_not_b32_e32 v4, v4
	v_not_b32_e32 v5, v5
	v_and_b32_e32 v6, v18, v4
	v_add_u32_e32 v4, 19, v26
	v_lshrrev_b64 v[18:19], v26, v[18:19]
	v_and_b32_e32 v7, 0, v5
	v_lshlrev_b64 v[8:9], v4, 1
	v_bfe_u32 v5, v18, 20, 1
	v_add_u32_e32 v5, -1, v5
	v_cmp_eq_u64_e32 vcc, v[6:7], v[8:9]
	v_cndmask_b32_e32 v5, 0, v5, vcc
	v_add_u32_e32 v5, v5, v18
	v_lshrrev_b32_e32 v4, 23, v18
	v_and_b32_e32 v5, 0xfffff, v5
	v_add3_u32 v4, v26, v20, v4
	v_add_co_u32_e32 v18, vcc, v5, v18
	v_add_u32_e32 v26, 6, v4
	v_addc_co_u32_e32 v19, vcc, 0, v19, vcc
	v_cmp_ne_u32_e32 vcc, 0, v26
                                        ; implicit-def: $vgpr20
	s_and_saveexec_b64 s[24:25], vcc
	s_xor_b64 s[24:25], exec, s[24:25]
; %bb.956:                              ;   in Loop: Header=BB4_124 Depth=2
	v_add_u32_e32 v4, 7, v4
	v_cmp_lt_u64_e32 vcc, s[50:51], v[18:19]
	v_cndmask_b32_e32 v20, v26, v4, vcc
	v_cndmask_b32_e64 v4, 0, 1, vcc
	v_lshrrev_b64 v[18:19], v4, v[18:19]
; %bb.957:                              ;   in Loop: Header=BB4_124 Depth=2
	s_andn2_saveexec_b64 s[24:25], s[24:25]
; %bb.958:                              ;   in Loop: Header=BB4_124 Depth=2
	v_bfe_u32 v20, v18, 23, 1
; %bb.959:                              ;   in Loop: Header=BB4_124 Depth=2
	s_or_b64 exec, exec, s[24:25]
	v_lshrrev_b64 v[4:5], 20, v[18:19]
	v_cmp_gt_i32_e32 vcc, 16, v20
	v_cndmask_b32_e32 v5, 0, v5, vcc
	v_cndmask_b32_e32 v4, 7, v4, vcc
	v_cmp_eq_u64_e64 s[24:25], 0, v[4:5]
	v_min_i32_e32 v5, 15, v20
	v_cmp_eq_u32_e32 vcc, 0, v20
	v_lshlrev_b32_e32 v5, 3, v5
	v_and_or_b32 v4, v4, 7, v5
	s_and_b64 s[24:25], vcc, s[24:25]
	v_cndmask_b32_e64 v4, v4, 0, s[24:25]
	v_or_b32_e32 v43, v4, v3
.LBB4_960:                              ;   in Loop: Header=BB4_124 Depth=2
	s_or_b64 exec, exec, s[64:65]
.LBB4_961:                              ;   in Loop: Header=BB4_124 Depth=2
	s_or_b64 exec, exec, s[62:63]
                                        ; implicit-def: $vgpr20
                                        ; implicit-def: $vgpr18_vgpr19
.LBB4_962:                              ;   in Loop: Header=BB4_124 Depth=2
	s_andn2_saveexec_b64 s[24:25], s[60:61]
; %bb.963:                              ;   in Loop: Header=BB4_124 Depth=2
	v_or_b32_sdwa v3, v20, s76 dst_sel:DWORD dst_unused:UNUSED_PAD src0_sel:BYTE_3 src1_sel:DWORD
	v_cmp_eq_u64_e32 vcc, 0, v[18:19]
	v_cndmask_b32_e32 v43, v3, v43, vcc
; %bb.964:                              ;   in Loop: Header=BB4_124 Depth=2
	s_or_b64 exec, exec, s[24:25]
	v_lshrrev_b16_e32 v20, 8, v54
	v_lshrrev_b16_e32 v18, 8, v2
	s_and_b64 vcc, exec, s[22:23]
	v_cmp_ne_u16_e64 s[24:25], 0, v20
	s_cbranch_vccnz .LBB4_978
; %bb.965:                              ;   in Loop: Header=BB4_124 Depth=2
	v_mov_b32_e32 v19, 0
	v_mov_b32_e32 v3, 0
	s_and_saveexec_b64 s[60:61], s[24:25]
	s_cbranch_execz .LBB4_971
; %bb.966:                              ;   in Loop: Header=BB4_124 Depth=2
	v_cmp_ne_u16_e32 vcc, s75, v20
	v_bfrev_b32_e32 v3, 1
	s_and_saveexec_b64 s[62:63], vcc
	s_cbranch_execz .LBB4_970
; %bb.967:                              ;   in Loop: Header=BB4_124 Depth=2
	v_and_b32_e32 v4, 0x7f, v20
	v_cmp_ne_u32_e32 vcc, s76, v4
	v_mov_b32_e32 v3, 0x7f800001
	s_and_saveexec_b64 s[64:65], vcc
	s_cbranch_execz .LBB4_969
; %bb.968:                              ;   in Loop: Header=BB4_124 Depth=2
	v_and_b32_e32 v3, 7, v20
	v_ffbh_u32_e32 v6, v3
	v_min_u32_e32 v8, 32, v6
	v_subrev_u32_e32 v6, 28, v8
	v_lshlrev_b64 v[6:7], v6, v[20:21]
	v_lshrrev_b32_e32 v5, 3, v4
	v_sub_u32_e32 v7, 29, v8
	v_and_b32_e32 v6, 7, v6
	v_cmp_gt_u32_e32 vcc, 8, v4
	v_cndmask_b32_e32 v4, v5, v7, vcc
	v_cndmask_b32_e32 v3, v3, v6, vcc
	v_lshlrev_b32_e32 v5, 16, v54
	v_lshlrev_b32_e32 v3, 20, v3
	v_and_b32_e32 v5, 0x80000000, v5
	v_lshl_add_u32 v4, v4, 23, v0
	v_or3_b32 v3, v5, v4, v3
.LBB4_969:                              ;   in Loop: Header=BB4_124 Depth=2
	s_or_b64 exec, exec, s[64:65]
.LBB4_970:                              ;   in Loop: Header=BB4_124 Depth=2
	s_or_b64 exec, exec, s[62:63]
.LBB4_971:                              ;   in Loop: Header=BB4_124 Depth=2
	s_or_b64 exec, exec, s[60:61]
	v_cmp_ne_u16_e32 vcc, 0, v18
	s_and_saveexec_b64 s[60:61], vcc
	s_cbranch_execz .LBB4_977
; %bb.972:                              ;   in Loop: Header=BB4_124 Depth=2
	v_cmp_ne_u16_e32 vcc, s75, v18
	v_bfrev_b32_e32 v19, 1
	s_and_saveexec_b64 s[62:63], vcc
	s_cbranch_execz .LBB4_976
; %bb.973:                              ;   in Loop: Header=BB4_124 Depth=2
	v_and_b32_e32 v4, 0x7f, v18
	v_cmp_ne_u32_e32 vcc, s76, v4
	v_mov_b32_e32 v19, 0x7f800001
	s_and_saveexec_b64 s[64:65], vcc
	s_cbranch_execz .LBB4_975
; %bb.974:                              ;   in Loop: Header=BB4_124 Depth=2
	v_and_b32_e32 v5, 7, v18
	v_ffbh_u32_e32 v6, v5
	v_min_u32_e32 v9, 32, v6
	v_subrev_u32_e32 v6, 28, v9
	v_lshlrev_b64 v[6:7], v6, v[18:19]
	v_lshrrev_b32_e32 v8, 3, v4
	v_sub_u32_e32 v7, 29, v9
	v_and_b32_e32 v6, 7, v6
	v_cmp_gt_u32_e32 vcc, 8, v4
	v_cndmask_b32_e32 v4, v8, v7, vcc
	v_cndmask_b32_e32 v5, v5, v6, vcc
	v_lshlrev_b32_e32 v6, 16, v2
	v_lshlrev_b32_e32 v5, 20, v5
	v_and_b32_e32 v6, 0x80000000, v6
	v_lshl_add_u32 v4, v4, 23, v0
	v_or3_b32 v19, v6, v4, v5
.LBB4_975:                              ;   in Loop: Header=BB4_124 Depth=2
	s_or_b64 exec, exec, s[64:65]
.LBB4_976:                              ;   in Loop: Header=BB4_124 Depth=2
	s_or_b64 exec, exec, s[62:63]
.LBB4_977:                              ;   in Loop: Header=BB4_124 Depth=2
	s_or_b64 exec, exec, s[60:61]
	v_max_f32_e32 v4, v19, v19
	v_max_f32_e32 v3, v3, v3
	;; [unrolled: 1-line block ×3, first 2 shown]
	s_branch .LBB4_992
.LBB4_978:                              ;   in Loop: Header=BB4_124 Depth=2
                                        ; implicit-def: $vgpr3
	s_cbranch_execz .LBB4_992
; %bb.979:                              ;   in Loop: Header=BB4_124 Depth=2
	v_mov_b32_e32 v19, 0
	v_mov_b32_e32 v3, 0
	s_and_saveexec_b64 s[60:61], s[24:25]
	s_cbranch_execz .LBB4_985
; %bb.980:                              ;   in Loop: Header=BB4_124 Depth=2
	v_cmp_ne_u16_e32 vcc, s75, v20
	v_bfrev_b32_e32 v3, 1
	s_and_saveexec_b64 s[24:25], vcc
	s_cbranch_execz .LBB4_984
; %bb.981:                              ;   in Loop: Header=BB4_124 Depth=2
	v_and_b32_e32 v4, 0x7f, v20
	v_cmp_ne_u32_e32 vcc, s76, v4
	v_mov_b32_e32 v3, 0x7f800001
	s_and_saveexec_b64 s[62:63], vcc
	s_cbranch_execz .LBB4_983
; %bb.982:                              ;   in Loop: Header=BB4_124 Depth=2
	v_and_b32_e32 v3, 7, v20
	v_ffbh_u32_e32 v6, v3
	v_min_u32_e32 v8, 32, v6
	v_subrev_u32_e32 v6, 28, v8
	v_lshlrev_b64 v[6:7], v6, v[20:21]
	v_lshrrev_b32_e32 v5, 3, v4
	v_sub_u32_e32 v7, 29, v8
	v_and_b32_e32 v6, 7, v6
	v_cmp_gt_u32_e32 vcc, 8, v4
	v_cndmask_b32_e32 v4, v5, v7, vcc
	v_cndmask_b32_e32 v3, v3, v6, vcc
	v_lshlrev_b32_e32 v5, 16, v54
	v_lshlrev_b32_e32 v3, 20, v3
	v_and_b32_e32 v5, 0x80000000, v5
	v_lshl_add_u32 v4, v4, 23, v0
	v_or3_b32 v3, v5, v4, v3
.LBB4_983:                              ;   in Loop: Header=BB4_124 Depth=2
	s_or_b64 exec, exec, s[62:63]
.LBB4_984:                              ;   in Loop: Header=BB4_124 Depth=2
	s_or_b64 exec, exec, s[24:25]
.LBB4_985:                              ;   in Loop: Header=BB4_124 Depth=2
	s_or_b64 exec, exec, s[60:61]
	v_cmp_ne_u16_e32 vcc, 0, v18
	s_and_saveexec_b64 s[24:25], vcc
	s_cbranch_execz .LBB4_991
; %bb.986:                              ;   in Loop: Header=BB4_124 Depth=2
	v_cmp_ne_u16_e32 vcc, s75, v18
	v_bfrev_b32_e32 v19, 1
	s_and_saveexec_b64 s[60:61], vcc
	s_cbranch_execz .LBB4_990
; %bb.987:                              ;   in Loop: Header=BB4_124 Depth=2
	v_and_b32_e32 v4, 0x7f, v18
	v_cmp_ne_u32_e32 vcc, s76, v4
	v_mov_b32_e32 v19, 0x7f800001
	s_and_saveexec_b64 s[62:63], vcc
	s_cbranch_execz .LBB4_989
; %bb.988:                              ;   in Loop: Header=BB4_124 Depth=2
	v_and_b32_e32 v5, 7, v18
	v_ffbh_u32_e32 v6, v5
	v_min_u32_e32 v9, 32, v6
	v_subrev_u32_e32 v6, 28, v9
	v_lshlrev_b64 v[6:7], v6, v[18:19]
	v_lshrrev_b32_e32 v8, 3, v4
	v_sub_u32_e32 v7, 29, v9
	v_and_b32_e32 v6, 7, v6
	v_cmp_gt_u32_e32 vcc, 8, v4
	v_cndmask_b32_e32 v4, v8, v7, vcc
	v_cndmask_b32_e32 v5, v5, v6, vcc
	v_lshlrev_b32_e32 v2, 16, v2
	v_lshlrev_b32_e32 v5, 20, v5
	v_and_b32_e32 v2, 0x80000000, v2
	v_lshl_add_u32 v4, v4, 23, v0
	v_or3_b32 v19, v2, v4, v5
.LBB4_989:                              ;   in Loop: Header=BB4_124 Depth=2
	s_or_b64 exec, exec, s[62:63]
.LBB4_990:                              ;   in Loop: Header=BB4_124 Depth=2
	s_or_b64 exec, exec, s[60:61]
.LBB4_991:                              ;   in Loop: Header=BB4_124 Depth=2
	s_or_b64 exec, exec, s[24:25]
	v_max_f32_e32 v2, v19, v19
	v_max_f32_e32 v3, v3, v3
	v_min_f32_e32 v3, v3, v2
.LBB4_992:                              ;   in Loop: Header=BB4_124 Depth=2
	v_and_b32_sdwa v18, v3, s75 dst_sel:DWORD dst_unused:UNUSED_PAD src0_sel:BYTE_3 src1_sel:DWORD
	v_and_b32_e32 v4, 0x7f800000, v3
	v_mov_b32_e32 v5, v55
	v_and_b32_e32 v54, 0x7fffff, v3
	v_or_b32_e32 v19, 0x7e, v18
	v_cmp_ne_u64_e32 vcc, s[44:45], v[4:5]
	s_and_saveexec_b64 s[24:25], vcc
	s_xor_b64 s[60:61], exec, s[24:25]
	s_cbranch_execz .LBB4_1002
; %bb.993:                              ;   in Loop: Header=BB4_124 Depth=2
	v_and_b32_e32 v4, 0x7fffffff, v3
	v_mov_b32_e32 v5, v55
	v_cmp_gt_u64_e32 vcc, s[46:47], v[4:5]
	s_and_saveexec_b64 s[62:63], vcc
	s_cbranch_execz .LBB4_1001
; %bb.994:                              ;   in Loop: Header=BB4_124 Depth=2
	v_cmp_ne_u32_e32 vcc, 0, v3
	v_mov_b32_e32 v19, 0
	s_and_saveexec_b64 s[64:65], vcc
	s_cbranch_execz .LBB4_1000
; %bb.995:                              ;   in Loop: Header=BB4_124 Depth=2
	v_bfe_u32 v2, v3, 23, 8
	v_sub_u32_e32 v4, 0x79, v2
	v_cmp_gt_u32_e32 vcc, s78, v2
	v_add_u32_e32 v3, 0xffffff81, v2
	v_cndmask_b32_e32 v4, 0, v4, vcc
	v_cmp_eq_u32_e32 vcc, 0, v2
	v_mov_b32_e32 v2, 0xffffff82
	v_cndmask_b32_e32 v19, v3, v2, vcc
	v_mov_b32_e32 v2, 0x78
	v_or_b32_e32 v5, 0x800000, v54
	v_cndmask_b32_e32 v4, v4, v2, vcc
	v_cndmask_b32_e32 v54, v5, v54, vcc
	v_add_u32_e32 v2, 20, v4
	v_lshlrev_b64 v[2:3], v2, -1
	v_add_u32_e32 v5, 19, v4
	v_lshrrev_b64 v[8:9], v4, v[54:55]
	v_not_b32_e32 v3, v3
	v_not_b32_e32 v2, v2
	v_lshlrev_b64 v[6:7], v5, 1
	v_lshrrev_b32_e32 v5, 23, v8
	v_and_b32_e32 v3, 0, v3
	v_and_b32_e32 v2, v54, v2
	v_add3_u32 v4, v4, v19, v5
	v_bfe_u32 v5, v8, 20, 1
	v_add_u32_e32 v5, -1, v5
	v_cmp_eq_u64_e32 vcc, v[2:3], v[6:7]
	v_cndmask_b32_e32 v2, 0, v5, vcc
	v_add_u32_e32 v2, v2, v8
	v_and_b32_e32 v2, 0xfffff, v2
	v_add_co_u32_e32 v2, vcc, v2, v8
	v_add_u32_e32 v20, 6, v4
	v_addc_co_u32_e32 v3, vcc, 0, v9, vcc
	v_cmp_ne_u32_e32 vcc, 0, v20
                                        ; implicit-def: $vgpr19
	s_and_saveexec_b64 s[24:25], vcc
	s_xor_b64 s[24:25], exec, s[24:25]
; %bb.996:                              ;   in Loop: Header=BB4_124 Depth=2
	v_add_u32_e32 v4, 7, v4
	v_cmp_lt_u64_e32 vcc, s[50:51], v[2:3]
	v_cndmask_b32_e32 v19, v20, v4, vcc
	v_cndmask_b32_e64 v4, 0, 1, vcc
	v_lshrrev_b64 v[2:3], v4, v[2:3]
; %bb.997:                              ;   in Loop: Header=BB4_124 Depth=2
	s_andn2_saveexec_b64 s[24:25], s[24:25]
; %bb.998:                              ;   in Loop: Header=BB4_124 Depth=2
	v_bfe_u32 v19, v2, 23, 1
; %bb.999:                              ;   in Loop: Header=BB4_124 Depth=2
	s_or_b64 exec, exec, s[24:25]
	v_lshrrev_b64 v[2:3], 20, v[2:3]
	v_cmp_gt_i32_e32 vcc, 16, v19
	v_cndmask_b32_e32 v3, 0, v3, vcc
	v_cndmask_b32_e32 v2, 7, v2, vcc
	v_cmp_eq_u64_e64 s[24:25], 0, v[2:3]
	v_min_i32_e32 v3, 15, v19
	v_cmp_eq_u32_e32 vcc, 0, v19
	v_lshlrev_b32_e32 v3, 3, v3
	v_and_or_b32 v2, v2, 7, v3
	s_and_b64 s[24:25], vcc, s[24:25]
	v_cndmask_b32_e64 v2, v2, 0, s[24:25]
	v_or_b32_e32 v19, v2, v18
.LBB4_1000:                             ;   in Loop: Header=BB4_124 Depth=2
	s_or_b64 exec, exec, s[64:65]
.LBB4_1001:                             ;   in Loop: Header=BB4_124 Depth=2
	s_or_b64 exec, exec, s[62:63]
                                        ; implicit-def: $vgpr3
.LBB4_1002:                             ;   in Loop: Header=BB4_124 Depth=2
	s_andn2_saveexec_b64 s[24:25], s[60:61]
; %bb.1003:                             ;   in Loop: Header=BB4_124 Depth=2
	v_or_b32_sdwa v2, v3, s76 dst_sel:DWORD dst_unused:UNUSED_PAD src0_sel:BYTE_3 src1_sel:DWORD
	v_cmp_eq_u64_e32 vcc, 0, v[54:55]
	v_cndmask_b32_e32 v19, v2, v19, vcc
; %bb.1004:                             ;   in Loop: Header=BB4_124 Depth=2
	s_or_b64 exec, exec, s[24:25]
	v_lshrrev_b32_e32 v18, 16, v15
	v_lshrrev_b32_e32 v2, 16, v11
	s_and_b64 vcc, exec, s[22:23]
	v_cmp_ne_u16_sdwa s[24:25], v18, v55 src0_sel:BYTE_0 src1_sel:DWORD
	s_cbranch_vccnz .LBB4_1018
; %bb.1005:                             ;   in Loop: Header=BB4_124 Depth=2
	v_mov_b32_e32 v20, 0
	v_mov_b32_e32 v3, 0
	s_and_saveexec_b64 s[60:61], s[24:25]
	s_cbranch_execz .LBB4_1011
; %bb.1006:                             ;   in Loop: Header=BB4_124 Depth=2
	v_cmp_ne_u16_sdwa vcc, v18, s75 src0_sel:BYTE_0 src1_sel:DWORD
	v_bfrev_b32_e32 v3, 1
	s_and_saveexec_b64 s[62:63], vcc
	s_cbranch_execz .LBB4_1010
; %bb.1007:                             ;   in Loop: Header=BB4_124 Depth=2
	v_bfe_u32 v4, v15, 16, 7
	v_cmp_ne_u32_e32 vcc, s76, v4
	v_mov_b32_e32 v3, 0x7f800001
	s_and_saveexec_b64 s[64:65], vcc
	s_cbranch_execz .LBB4_1009
; %bb.1008:                             ;   in Loop: Header=BB4_124 Depth=2
	v_and_b32_e32 v3, 7, v18
	v_ffbh_u32_e32 v6, v3
	v_min_u32_e32 v8, 32, v6
	v_subrev_u32_e32 v6, 28, v8
	v_lshlrev_b64 v[6:7], v6, v[18:19]
	v_lshrrev_b32_e32 v5, 3, v4
	v_sub_u32_e32 v7, 29, v8
	v_and_b32_e32 v6, 7, v6
	v_cmp_gt_u32_e32 vcc, 8, v4
	v_cndmask_b32_e32 v4, v5, v7, vcc
	v_cndmask_b32_e32 v3, v3, v6, vcc
	v_lshlrev_b32_e32 v5, 24, v18
	v_lshlrev_b32_e32 v3, 20, v3
	v_and_b32_e32 v5, 0x80000000, v5
	v_lshl_add_u32 v4, v4, 23, v0
	v_or3_b32 v3, v5, v4, v3
.LBB4_1009:                             ;   in Loop: Header=BB4_124 Depth=2
	s_or_b64 exec, exec, s[64:65]
.LBB4_1010:                             ;   in Loop: Header=BB4_124 Depth=2
	s_or_b64 exec, exec, s[62:63]
.LBB4_1011:                             ;   in Loop: Header=BB4_124 Depth=2
	s_or_b64 exec, exec, s[60:61]
	v_cmp_ne_u16_sdwa vcc, v2, v55 src0_sel:BYTE_0 src1_sel:DWORD
	s_and_saveexec_b64 s[60:61], vcc
	s_cbranch_execz .LBB4_1017
; %bb.1012:                             ;   in Loop: Header=BB4_124 Depth=2
	v_cmp_ne_u16_sdwa vcc, v2, s75 src0_sel:BYTE_0 src1_sel:DWORD
	v_bfrev_b32_e32 v20, 1
	s_and_saveexec_b64 s[62:63], vcc
	s_cbranch_execz .LBB4_1016
; %bb.1013:                             ;   in Loop: Header=BB4_124 Depth=2
	v_bfe_u32 v4, v11, 16, 7
	v_cmp_ne_u32_e32 vcc, s76, v4
	v_mov_b32_e32 v20, 0x7f800001
	s_and_saveexec_b64 s[64:65], vcc
	s_cbranch_execz .LBB4_1015
; %bb.1014:                             ;   in Loop: Header=BB4_124 Depth=2
	v_and_b32_e32 v5, 7, v2
	v_ffbh_u32_e32 v6, v5
	v_min_u32_e32 v9, 32, v6
	v_subrev_u32_e32 v6, 28, v9
	v_lshlrev_b64 v[6:7], v6, v[2:3]
	v_lshrrev_b32_e32 v8, 3, v4
	v_sub_u32_e32 v7, 29, v9
	v_and_b32_e32 v6, 7, v6
	v_cmp_gt_u32_e32 vcc, 8, v4
	v_cndmask_b32_e32 v4, v8, v7, vcc
	v_cndmask_b32_e32 v5, v5, v6, vcc
	v_lshlrev_b32_e32 v6, 24, v2
	v_lshlrev_b32_e32 v5, 20, v5
	v_and_b32_e32 v6, 0x80000000, v6
	v_lshl_add_u32 v4, v4, 23, v0
	v_or3_b32 v20, v6, v4, v5
.LBB4_1015:                             ;   in Loop: Header=BB4_124 Depth=2
	s_or_b64 exec, exec, s[64:65]
.LBB4_1016:                             ;   in Loop: Header=BB4_124 Depth=2
	s_or_b64 exec, exec, s[62:63]
.LBB4_1017:                             ;   in Loop: Header=BB4_124 Depth=2
	s_or_b64 exec, exec, s[60:61]
	v_max_f32_e32 v4, v20, v20
	v_max_f32_e32 v3, v3, v3
	;; [unrolled: 1-line block ×3, first 2 shown]
	s_branch .LBB4_1032
.LBB4_1018:                             ;   in Loop: Header=BB4_124 Depth=2
                                        ; implicit-def: $vgpr3
	s_cbranch_execz .LBB4_1032
; %bb.1019:                             ;   in Loop: Header=BB4_124 Depth=2
	v_mov_b32_e32 v20, 0
	v_mov_b32_e32 v3, 0
	s_and_saveexec_b64 s[60:61], s[24:25]
	s_cbranch_execz .LBB4_1025
; %bb.1020:                             ;   in Loop: Header=BB4_124 Depth=2
	v_cmp_ne_u16_sdwa vcc, v18, s75 src0_sel:BYTE_0 src1_sel:DWORD
	v_bfrev_b32_e32 v3, 1
	s_and_saveexec_b64 s[24:25], vcc
	s_cbranch_execz .LBB4_1024
; %bb.1021:                             ;   in Loop: Header=BB4_124 Depth=2
	v_bfe_u32 v4, v15, 16, 7
	v_cmp_ne_u32_e32 vcc, s76, v4
	v_mov_b32_e32 v3, 0x7f800001
	s_and_saveexec_b64 s[62:63], vcc
	s_cbranch_execz .LBB4_1023
; %bb.1022:                             ;   in Loop: Header=BB4_124 Depth=2
	v_and_b32_e32 v3, 7, v18
	v_ffbh_u32_e32 v6, v3
	v_min_u32_e32 v8, 32, v6
	v_subrev_u32_e32 v6, 28, v8
	v_lshlrev_b64 v[6:7], v6, v[18:19]
	v_lshrrev_b32_e32 v5, 3, v4
	v_sub_u32_e32 v7, 29, v8
	v_and_b32_e32 v6, 7, v6
	v_cmp_gt_u32_e32 vcc, 8, v4
	v_cndmask_b32_e32 v4, v5, v7, vcc
	v_cndmask_b32_e32 v3, v3, v6, vcc
	v_lshlrev_b32_e32 v5, 24, v18
	v_lshlrev_b32_e32 v3, 20, v3
	v_and_b32_e32 v5, 0x80000000, v5
	v_lshl_add_u32 v4, v4, 23, v0
	v_or3_b32 v3, v5, v4, v3
.LBB4_1023:                             ;   in Loop: Header=BB4_124 Depth=2
	s_or_b64 exec, exec, s[62:63]
.LBB4_1024:                             ;   in Loop: Header=BB4_124 Depth=2
	s_or_b64 exec, exec, s[24:25]
.LBB4_1025:                             ;   in Loop: Header=BB4_124 Depth=2
	s_or_b64 exec, exec, s[60:61]
	v_cmp_ne_u16_sdwa vcc, v2, v55 src0_sel:BYTE_0 src1_sel:DWORD
	s_and_saveexec_b64 s[24:25], vcc
	s_cbranch_execz .LBB4_1031
; %bb.1026:                             ;   in Loop: Header=BB4_124 Depth=2
	v_cmp_ne_u16_sdwa vcc, v2, s75 src0_sel:BYTE_0 src1_sel:DWORD
	v_bfrev_b32_e32 v20, 1
	s_and_saveexec_b64 s[60:61], vcc
	s_cbranch_execz .LBB4_1030
; %bb.1027:                             ;   in Loop: Header=BB4_124 Depth=2
	v_bfe_u32 v4, v11, 16, 7
	v_cmp_ne_u32_e32 vcc, s76, v4
	v_mov_b32_e32 v20, 0x7f800001
	s_and_saveexec_b64 s[62:63], vcc
	s_cbranch_execz .LBB4_1029
; %bb.1028:                             ;   in Loop: Header=BB4_124 Depth=2
	v_and_b32_e32 v5, 7, v2
	v_ffbh_u32_e32 v6, v5
	v_min_u32_e32 v9, 32, v6
	v_subrev_u32_e32 v6, 28, v9
	v_lshlrev_b64 v[6:7], v6, v[2:3]
	v_lshrrev_b32_e32 v8, 3, v4
	v_sub_u32_e32 v7, 29, v9
	v_and_b32_e32 v6, 7, v6
	v_cmp_gt_u32_e32 vcc, 8, v4
	v_cndmask_b32_e32 v4, v8, v7, vcc
	v_cndmask_b32_e32 v5, v5, v6, vcc
	v_lshlrev_b32_e32 v2, 24, v2
	v_lshlrev_b32_e32 v5, 20, v5
	v_and_b32_e32 v2, 0x80000000, v2
	v_lshl_add_u32 v4, v4, 23, v0
	v_or3_b32 v20, v2, v4, v5
.LBB4_1029:                             ;   in Loop: Header=BB4_124 Depth=2
	s_or_b64 exec, exec, s[62:63]
.LBB4_1030:                             ;   in Loop: Header=BB4_124 Depth=2
	s_or_b64 exec, exec, s[60:61]
.LBB4_1031:                             ;   in Loop: Header=BB4_124 Depth=2
	s_or_b64 exec, exec, s[24:25]
	v_max_f32_e32 v2, v20, v20
	v_max_f32_e32 v3, v3, v3
	v_min_f32_e32 v3, v3, v2
.LBB4_1032:                             ;   in Loop: Header=BB4_124 Depth=2
	v_and_b32_sdwa v18, v3, s75 dst_sel:DWORD dst_unused:UNUSED_PAD src0_sel:BYTE_3 src1_sel:DWORD
	v_and_b32_e32 v4, 0x7f800000, v3
	v_mov_b32_e32 v5, v55
	v_and_b32_e32 v54, 0x7fffff, v3
	v_or_b32_e32 v20, 0x7e, v18
	v_cmp_ne_u64_e32 vcc, s[44:45], v[4:5]
	s_and_saveexec_b64 s[24:25], vcc
	s_xor_b64 s[60:61], exec, s[24:25]
	s_cbranch_execz .LBB4_1042
; %bb.1033:                             ;   in Loop: Header=BB4_124 Depth=2
	v_and_b32_e32 v4, 0x7fffffff, v3
	v_mov_b32_e32 v5, v55
	v_cmp_gt_u64_e32 vcc, s[46:47], v[4:5]
	s_and_saveexec_b64 s[62:63], vcc
	s_cbranch_execz .LBB4_1041
; %bb.1034:                             ;   in Loop: Header=BB4_124 Depth=2
	v_cmp_ne_u32_e32 vcc, 0, v3
	v_mov_b32_e32 v20, 0
	s_and_saveexec_b64 s[64:65], vcc
	s_cbranch_execz .LBB4_1040
; %bb.1035:                             ;   in Loop: Header=BB4_124 Depth=2
	v_bfe_u32 v2, v3, 23, 8
	v_sub_u32_e32 v4, 0x79, v2
	v_cmp_gt_u32_e32 vcc, s78, v2
	v_add_u32_e32 v3, 0xffffff81, v2
	v_cndmask_b32_e32 v4, 0, v4, vcc
	v_cmp_eq_u32_e32 vcc, 0, v2
	v_mov_b32_e32 v2, 0xffffff82
	v_cndmask_b32_e32 v20, v3, v2, vcc
	v_mov_b32_e32 v2, 0x78
	v_or_b32_e32 v5, 0x800000, v54
	v_cndmask_b32_e32 v4, v4, v2, vcc
	v_cndmask_b32_e32 v54, v5, v54, vcc
	v_add_u32_e32 v2, 20, v4
	v_lshlrev_b64 v[2:3], v2, -1
	v_add_u32_e32 v5, 19, v4
	v_lshrrev_b64 v[8:9], v4, v[54:55]
	v_not_b32_e32 v3, v3
	v_not_b32_e32 v2, v2
	v_lshlrev_b64 v[6:7], v5, 1
	v_lshrrev_b32_e32 v5, 23, v8
	v_and_b32_e32 v3, 0, v3
	v_and_b32_e32 v2, v54, v2
	v_add3_u32 v4, v4, v20, v5
	v_bfe_u32 v5, v8, 20, 1
	v_add_u32_e32 v5, -1, v5
	v_cmp_eq_u64_e32 vcc, v[2:3], v[6:7]
	v_cndmask_b32_e32 v2, 0, v5, vcc
	v_add_u32_e32 v2, v2, v8
	v_and_b32_e32 v2, 0xfffff, v2
	v_add_co_u32_e32 v2, vcc, v2, v8
	v_add_u32_e32 v26, 6, v4
	v_addc_co_u32_e32 v3, vcc, 0, v9, vcc
	v_cmp_ne_u32_e32 vcc, 0, v26
                                        ; implicit-def: $vgpr20
	s_and_saveexec_b64 s[24:25], vcc
	s_xor_b64 s[24:25], exec, s[24:25]
; %bb.1036:                             ;   in Loop: Header=BB4_124 Depth=2
	v_add_u32_e32 v4, 7, v4
	v_cmp_lt_u64_e32 vcc, s[50:51], v[2:3]
	v_cndmask_b32_e32 v20, v26, v4, vcc
	v_cndmask_b32_e64 v4, 0, 1, vcc
	v_lshrrev_b64 v[2:3], v4, v[2:3]
; %bb.1037:                             ;   in Loop: Header=BB4_124 Depth=2
	s_andn2_saveexec_b64 s[24:25], s[24:25]
; %bb.1038:                             ;   in Loop: Header=BB4_124 Depth=2
	v_bfe_u32 v20, v2, 23, 1
; %bb.1039:                             ;   in Loop: Header=BB4_124 Depth=2
	s_or_b64 exec, exec, s[24:25]
	v_lshrrev_b64 v[2:3], 20, v[2:3]
	v_cmp_gt_i32_e32 vcc, 16, v20
	v_cndmask_b32_e32 v3, 0, v3, vcc
	v_cndmask_b32_e32 v2, 7, v2, vcc
	v_cmp_eq_u64_e64 s[24:25], 0, v[2:3]
	v_min_i32_e32 v3, 15, v20
	v_lshlrev_b32_e32 v3, 3, v3
	v_cmp_eq_u32_e32 vcc, 0, v20
	v_and_b32_e32 v3, 0xf8, v3
	v_and_or_b32 v2, v2, 7, v3
	s_and_b64 s[24:25], vcc, s[24:25]
	v_cndmask_b32_e64 v2, v2, 0, s[24:25]
	v_or_b32_e32 v20, v2, v18
.LBB4_1040:                             ;   in Loop: Header=BB4_124 Depth=2
	s_or_b64 exec, exec, s[64:65]
.LBB4_1041:                             ;   in Loop: Header=BB4_124 Depth=2
	s_or_b64 exec, exec, s[62:63]
                                        ; implicit-def: $vgpr3
.LBB4_1042:                             ;   in Loop: Header=BB4_124 Depth=2
	s_andn2_saveexec_b64 s[24:25], s[60:61]
; %bb.1043:                             ;   in Loop: Header=BB4_124 Depth=2
	v_or_b32_sdwa v2, v3, s76 dst_sel:DWORD dst_unused:UNUSED_PAD src0_sel:BYTE_3 src1_sel:DWORD
	v_cmp_eq_u64_e32 vcc, 0, v[54:55]
	v_cndmask_b32_e32 v20, v2, v20, vcc
; %bb.1044:                             ;   in Loop: Header=BB4_124 Depth=2
	s_or_b64 exec, exec, s[24:25]
	v_lshrrev_b32_e32 v18, 24, v15
	v_lshrrev_b32_e32 v2, 24, v11
	s_and_b64 vcc, exec, s[22:23]
	v_cmp_lt_u64_e64 s[24:25], s[48:49], v[14:15]
	s_cbranch_vccnz .LBB4_1058
; %bb.1045:                             ;   in Loop: Header=BB4_124 Depth=2
	v_mov_b32_e32 v14, 0
	v_mov_b32_e32 v3, 0
	s_and_saveexec_b64 s[60:61], s[24:25]
	s_cbranch_execz .LBB4_1051
; %bb.1046:                             ;   in Loop: Header=BB4_124 Depth=2
	v_cmp_ne_u32_e32 vcc, s75, v18
	v_bfrev_b32_e32 v3, 1
	s_and_saveexec_b64 s[62:63], vcc
	s_cbranch_execz .LBB4_1050
; %bb.1047:                             ;   in Loop: Header=BB4_124 Depth=2
	v_bfe_u32 v4, v15, 24, 7
	v_cmp_ne_u32_e32 vcc, s76, v4
	v_mov_b32_e32 v3, 0x7f800001
	s_and_saveexec_b64 s[64:65], vcc
	s_cbranch_execz .LBB4_1049
; %bb.1048:                             ;   in Loop: Header=BB4_124 Depth=2
	v_and_b32_e32 v3, 7, v18
	v_ffbh_u32_e32 v6, v3
	v_min_u32_e32 v8, 32, v6
	v_subrev_u32_e32 v6, 28, v8
	v_lshlrev_b64 v[6:7], v6, v[18:19]
	v_lshrrev_b32_e32 v5, 3, v4
	v_sub_u32_e32 v7, 29, v8
	v_and_b32_e32 v6, 7, v6
	v_cmp_gt_u32_e32 vcc, 8, v4
	v_cndmask_b32_e32 v4, v5, v7, vcc
	v_cndmask_b32_e32 v3, v3, v6, vcc
	v_lshlrev_b32_e32 v5, 24, v18
	v_lshlrev_b32_e32 v3, 20, v3
	v_and_b32_e32 v5, 0x80000000, v5
	v_lshl_add_u32 v4, v4, 23, v0
	v_or3_b32 v3, v5, v4, v3
.LBB4_1049:                             ;   in Loop: Header=BB4_124 Depth=2
	s_or_b64 exec, exec, s[64:65]
.LBB4_1050:                             ;   in Loop: Header=BB4_124 Depth=2
	s_or_b64 exec, exec, s[62:63]
.LBB4_1051:                             ;   in Loop: Header=BB4_124 Depth=2
	s_or_b64 exec, exec, s[60:61]
	v_cmp_lt_u64_e32 vcc, s[48:49], v[10:11]
	s_and_saveexec_b64 s[60:61], vcc
	s_cbranch_execz .LBB4_1057
; %bb.1052:                             ;   in Loop: Header=BB4_124 Depth=2
	v_cmp_ne_u32_e32 vcc, s75, v2
	v_bfrev_b32_e32 v14, 1
	s_and_saveexec_b64 s[62:63], vcc
	s_cbranch_execz .LBB4_1056
; %bb.1053:                             ;   in Loop: Header=BB4_124 Depth=2
	v_bfe_u32 v4, v11, 24, 7
	v_cmp_ne_u32_e32 vcc, s76, v4
	v_mov_b32_e32 v14, 0x7f800001
	s_and_saveexec_b64 s[64:65], vcc
	s_cbranch_execz .LBB4_1055
; %bb.1054:                             ;   in Loop: Header=BB4_124 Depth=2
	v_and_b32_e32 v5, 7, v2
	v_ffbh_u32_e32 v6, v5
	v_min_u32_e32 v9, 32, v6
	v_subrev_u32_e32 v6, 28, v9
	v_lshlrev_b64 v[6:7], v6, v[2:3]
	v_lshrrev_b32_e32 v8, 3, v4
	v_sub_u32_e32 v7, 29, v9
	v_and_b32_e32 v6, 7, v6
	v_cmp_gt_u32_e32 vcc, 8, v4
	v_cndmask_b32_e32 v4, v8, v7, vcc
	v_cndmask_b32_e32 v5, v5, v6, vcc
	v_lshlrev_b32_e32 v6, 24, v2
	v_lshlrev_b32_e32 v5, 20, v5
	v_and_b32_e32 v6, 0x80000000, v6
	v_lshl_add_u32 v4, v4, 23, v0
	v_or3_b32 v14, v6, v4, v5
.LBB4_1055:                             ;   in Loop: Header=BB4_124 Depth=2
	s_or_b64 exec, exec, s[64:65]
.LBB4_1056:                             ;   in Loop: Header=BB4_124 Depth=2
	s_or_b64 exec, exec, s[62:63]
.LBB4_1057:                             ;   in Loop: Header=BB4_124 Depth=2
	s_or_b64 exec, exec, s[60:61]
	v_max_f32_e32 v4, v14, v14
	v_max_f32_e32 v3, v3, v3
	;; [unrolled: 1-line block ×3, first 2 shown]
	s_branch .LBB4_1072
.LBB4_1058:                             ;   in Loop: Header=BB4_124 Depth=2
                                        ; implicit-def: $vgpr3
	s_cbranch_execz .LBB4_1072
; %bb.1059:                             ;   in Loop: Header=BB4_124 Depth=2
	v_mov_b32_e32 v14, 0
	v_mov_b32_e32 v3, 0
	s_and_saveexec_b64 s[60:61], s[24:25]
	s_cbranch_execz .LBB4_1065
; %bb.1060:                             ;   in Loop: Header=BB4_124 Depth=2
	v_cmp_ne_u32_e32 vcc, s75, v18
	v_bfrev_b32_e32 v3, 1
	s_and_saveexec_b64 s[24:25], vcc
	s_cbranch_execz .LBB4_1064
; %bb.1061:                             ;   in Loop: Header=BB4_124 Depth=2
	v_bfe_u32 v4, v15, 24, 7
	v_cmp_ne_u32_e32 vcc, s76, v4
	v_mov_b32_e32 v3, 0x7f800001
	s_and_saveexec_b64 s[62:63], vcc
	s_cbranch_execz .LBB4_1063
; %bb.1062:                             ;   in Loop: Header=BB4_124 Depth=2
	v_and_b32_e32 v3, 7, v18
	v_ffbh_u32_e32 v6, v3
	v_min_u32_e32 v8, 32, v6
	v_subrev_u32_e32 v6, 28, v8
	v_lshlrev_b64 v[6:7], v6, v[18:19]
	v_lshrrev_b32_e32 v5, 3, v4
	v_sub_u32_e32 v7, 29, v8
	v_and_b32_e32 v6, 7, v6
	v_cmp_gt_u32_e32 vcc, 8, v4
	v_cndmask_b32_e32 v4, v5, v7, vcc
	v_cndmask_b32_e32 v3, v3, v6, vcc
	v_lshlrev_b32_e32 v5, 24, v18
	v_lshlrev_b32_e32 v3, 20, v3
	v_and_b32_e32 v5, 0x80000000, v5
	v_lshl_add_u32 v4, v4, 23, v0
	v_or3_b32 v3, v5, v4, v3
.LBB4_1063:                             ;   in Loop: Header=BB4_124 Depth=2
	s_or_b64 exec, exec, s[62:63]
.LBB4_1064:                             ;   in Loop: Header=BB4_124 Depth=2
	s_or_b64 exec, exec, s[24:25]
.LBB4_1065:                             ;   in Loop: Header=BB4_124 Depth=2
	s_or_b64 exec, exec, s[60:61]
	v_cmp_lt_u64_e32 vcc, s[48:49], v[10:11]
	s_and_saveexec_b64 s[24:25], vcc
	s_cbranch_execz .LBB4_1071
; %bb.1066:                             ;   in Loop: Header=BB4_124 Depth=2
	v_cmp_ne_u32_e32 vcc, s75, v2
	v_bfrev_b32_e32 v14, 1
	s_and_saveexec_b64 s[60:61], vcc
	s_cbranch_execz .LBB4_1070
; %bb.1067:                             ;   in Loop: Header=BB4_124 Depth=2
	v_bfe_u32 v4, v11, 24, 7
	v_cmp_ne_u32_e32 vcc, s76, v4
	v_mov_b32_e32 v14, 0x7f800001
	s_and_saveexec_b64 s[62:63], vcc
	s_cbranch_execz .LBB4_1069
; %bb.1068:                             ;   in Loop: Header=BB4_124 Depth=2
	v_and_b32_e32 v5, 7, v2
	v_ffbh_u32_e32 v6, v5
	v_min_u32_e32 v9, 32, v6
	v_subrev_u32_e32 v6, 28, v9
	v_lshlrev_b64 v[6:7], v6, v[2:3]
	v_lshrrev_b32_e32 v8, 3, v4
	v_sub_u32_e32 v7, 29, v9
	v_and_b32_e32 v6, 7, v6
	v_cmp_gt_u32_e32 vcc, 8, v4
	v_cndmask_b32_e32 v4, v8, v7, vcc
	v_cndmask_b32_e32 v5, v5, v6, vcc
	v_lshlrev_b32_e32 v2, 24, v2
	v_lshlrev_b32_e32 v5, 20, v5
	v_and_b32_e32 v2, 0x80000000, v2
	v_lshl_add_u32 v4, v4, 23, v0
	v_or3_b32 v14, v2, v4, v5
.LBB4_1069:                             ;   in Loop: Header=BB4_124 Depth=2
	s_or_b64 exec, exec, s[62:63]
.LBB4_1070:                             ;   in Loop: Header=BB4_124 Depth=2
	s_or_b64 exec, exec, s[60:61]
.LBB4_1071:                             ;   in Loop: Header=BB4_124 Depth=2
	s_or_b64 exec, exec, s[24:25]
	v_max_f32_e32 v2, v14, v14
	v_max_f32_e32 v3, v3, v3
	v_min_f32_e32 v3, v3, v2
.LBB4_1072:                             ;   in Loop: Header=BB4_124 Depth=2
	v_and_b32_sdwa v10, v3, s75 dst_sel:DWORD dst_unused:UNUSED_PAD src0_sel:BYTE_3 src1_sel:DWORD
	v_and_b32_e32 v4, 0x7f800000, v3
	v_mov_b32_e32 v5, v55
	v_and_b32_e32 v54, 0x7fffff, v3
	v_or_b32_e32 v15, 0x7e, v10
	v_cmp_ne_u64_e32 vcc, s[44:45], v[4:5]
	s_and_saveexec_b64 s[24:25], vcc
	s_xor_b64 s[60:61], exec, s[24:25]
	s_cbranch_execnz .LBB4_1088
; %bb.1073:                             ;   in Loop: Header=BB4_124 Depth=2
	s_andn2_saveexec_b64 s[24:25], s[60:61]
	s_cbranch_execnz .LBB4_1097
.LBB4_1074:                             ;   in Loop: Header=BB4_124 Depth=2
	s_or_b64 exec, exec, s[24:25]
	s_and_b64 vcc, exec, s[22:23]
	v_cmp_ne_u16_sdwa s[24:25], v16, v55 src0_sel:BYTE_0 src1_sel:DWORD
	s_cbranch_vccnz .LBB4_1098
.LBB4_1075:                             ;   in Loop: Header=BB4_124 Depth=2
	v_mov_b32_e32 v3, 0
	v_mov_b32_e32 v2, 0
	s_and_saveexec_b64 s[60:61], s[24:25]
	s_cbranch_execz .LBB4_1081
; %bb.1076:                             ;   in Loop: Header=BB4_124 Depth=2
	v_cmp_ne_u16_sdwa vcc, v16, s75 src0_sel:BYTE_0 src1_sel:DWORD
	v_bfrev_b32_e32 v2, 1
	s_and_saveexec_b64 s[62:63], vcc
	s_cbranch_execz .LBB4_1080
; %bb.1077:                             ;   in Loop: Header=BB4_124 Depth=2
	v_and_b32_e32 v4, 0x7f, v16
	v_cmp_ne_u32_e32 vcc, s76, v4
	v_mov_b32_e32 v2, 0x7f800001
	s_and_saveexec_b64 s[64:65], vcc
	s_cbranch_execz .LBB4_1079
; %bb.1078:                             ;   in Loop: Header=BB4_124 Depth=2
	v_and_b32_e32 v2, 7, v16
	v_ffbh_u32_e32 v2, v2
	v_min_u32_e32 v2, 32, v2
	v_subrev_u32_e32 v6, 28, v2
	v_cmp_gt_u32_e32 vcc, 8, v4
	v_lshrrev_b32_e32 v5, 3, v4
	v_sub_u32_e32 v2, 29, v2
	v_cndmask_b32_e32 v4, 0, v6, vcc
	v_cndmask_b32_e32 v2, v5, v2, vcc
	v_lshlrev_b64 v[4:5], v4, v[16:17]
	v_lshlrev_b32_e32 v4, 20, v4
	v_lshlrev_b32_e32 v5, 24, v16
	v_and_b32_e32 v4, 0x700000, v4
	v_and_b32_e32 v5, 0x80000000, v5
	v_lshl_add_u32 v2, v2, 23, v0
	v_or3_b32 v2, v5, v2, v4
.LBB4_1079:                             ;   in Loop: Header=BB4_124 Depth=2
	s_or_b64 exec, exec, s[64:65]
.LBB4_1080:                             ;   in Loop: Header=BB4_124 Depth=2
	s_or_b64 exec, exec, s[62:63]
.LBB4_1081:                             ;   in Loop: Header=BB4_124 Depth=2
	s_or_b64 exec, exec, s[60:61]
	v_cmp_ne_u16_sdwa vcc, v12, v55 src0_sel:BYTE_0 src1_sel:DWORD
	s_and_saveexec_b64 s[60:61], vcc
	s_cbranch_execz .LBB4_1087
; %bb.1082:                             ;   in Loop: Header=BB4_124 Depth=2
	v_cmp_ne_u16_sdwa vcc, v12, s75 src0_sel:BYTE_0 src1_sel:DWORD
	v_bfrev_b32_e32 v3, 1
	s_and_saveexec_b64 s[62:63], vcc
	s_cbranch_execz .LBB4_1086
; %bb.1083:                             ;   in Loop: Header=BB4_124 Depth=2
	v_and_b32_e32 v4, 0x7f, v12
	v_cmp_ne_u32_e32 vcc, s76, v4
	v_mov_b32_e32 v3, 0x7f800001
	s_and_saveexec_b64 s[64:65], vcc
	s_cbranch_execz .LBB4_1085
; %bb.1084:                             ;   in Loop: Header=BB4_124 Depth=2
	v_and_b32_e32 v3, 7, v12
	v_ffbh_u32_e32 v3, v3
	v_min_u32_e32 v3, 32, v3
	v_subrev_u32_e32 v6, 28, v3
	v_cmp_gt_u32_e32 vcc, 8, v4
	v_lshrrev_b32_e32 v5, 3, v4
	v_sub_u32_e32 v3, 29, v3
	v_cndmask_b32_e32 v4, 0, v6, vcc
	v_cndmask_b32_e32 v3, v5, v3, vcc
	v_lshlrev_b64 v[4:5], v4, v[12:13]
	v_lshlrev_b32_e32 v4, 20, v4
	v_lshlrev_b32_e32 v5, 24, v12
	v_and_b32_e32 v4, 0x700000, v4
	v_and_b32_e32 v5, 0x80000000, v5
	v_lshl_add_u32 v3, v3, 23, v0
	v_or3_b32 v3, v5, v3, v4
.LBB4_1085:                             ;   in Loop: Header=BB4_124 Depth=2
	s_or_b64 exec, exec, s[64:65]
.LBB4_1086:                             ;   in Loop: Header=BB4_124 Depth=2
	s_or_b64 exec, exec, s[62:63]
.LBB4_1087:                             ;   in Loop: Header=BB4_124 Depth=2
	s_or_b64 exec, exec, s[60:61]
	v_max_f32_e32 v3, v3, v3
	v_max_f32_e32 v2, v2, v2
	;; [unrolled: 1-line block ×3, first 2 shown]
	s_branch .LBB4_1112
.LBB4_1088:                             ;   in Loop: Header=BB4_124 Depth=2
	v_and_b32_e32 v4, 0x7fffffff, v3
	v_mov_b32_e32 v5, v55
	v_cmp_gt_u64_e32 vcc, s[46:47], v[4:5]
	s_and_saveexec_b64 s[62:63], vcc
	s_cbranch_execz .LBB4_1096
; %bb.1089:                             ;   in Loop: Header=BB4_124 Depth=2
	v_cmp_ne_u32_e32 vcc, 0, v3
	v_mov_b32_e32 v15, 0
	s_and_saveexec_b64 s[64:65], vcc
	s_cbranch_execz .LBB4_1095
; %bb.1090:                             ;   in Loop: Header=BB4_124 Depth=2
	v_bfe_u32 v2, v3, 23, 8
	v_sub_u32_e32 v4, 0x79, v2
	v_cmp_gt_u32_e32 vcc, s78, v2
	v_add_u32_e32 v3, 0xffffff81, v2
	v_cndmask_b32_e32 v4, 0, v4, vcc
	v_cmp_eq_u32_e32 vcc, 0, v2
	v_mov_b32_e32 v2, 0xffffff82
	v_cndmask_b32_e32 v11, v3, v2, vcc
	v_mov_b32_e32 v2, 0x78
	v_or_b32_e32 v5, 0x800000, v54
	v_cndmask_b32_e32 v4, v4, v2, vcc
	v_cndmask_b32_e32 v54, v5, v54, vcc
	v_add_u32_e32 v2, 20, v4
	v_lshlrev_b64 v[2:3], v2, -1
	v_add_u32_e32 v5, 19, v4
	v_lshrrev_b64 v[8:9], v4, v[54:55]
	v_not_b32_e32 v3, v3
	v_not_b32_e32 v2, v2
	v_lshlrev_b64 v[6:7], v5, 1
	v_lshrrev_b32_e32 v5, 23, v8
	v_and_b32_e32 v3, 0, v3
	v_and_b32_e32 v2, v54, v2
	v_add3_u32 v4, v4, v11, v5
	v_bfe_u32 v5, v8, 20, 1
	v_add_u32_e32 v5, -1, v5
	v_cmp_eq_u64_e32 vcc, v[2:3], v[6:7]
	v_cndmask_b32_e32 v2, 0, v5, vcc
	v_add_u32_e32 v2, v2, v8
	v_and_b32_e32 v2, 0xfffff, v2
	v_add_co_u32_e32 v2, vcc, v2, v8
	v_add_u32_e32 v14, 6, v4
	v_addc_co_u32_e32 v3, vcc, 0, v9, vcc
	v_cmp_ne_u32_e32 vcc, 0, v14
                                        ; implicit-def: $vgpr11
	s_and_saveexec_b64 s[24:25], vcc
	s_xor_b64 s[24:25], exec, s[24:25]
; %bb.1091:                             ;   in Loop: Header=BB4_124 Depth=2
	v_add_u32_e32 v4, 7, v4
	v_cmp_lt_u64_e32 vcc, s[50:51], v[2:3]
	v_cndmask_b32_e32 v11, v14, v4, vcc
	v_cndmask_b32_e64 v4, 0, 1, vcc
	v_lshrrev_b64 v[2:3], v4, v[2:3]
; %bb.1092:                             ;   in Loop: Header=BB4_124 Depth=2
	s_andn2_saveexec_b64 s[24:25], s[24:25]
; %bb.1093:                             ;   in Loop: Header=BB4_124 Depth=2
	v_bfe_u32 v11, v2, 23, 1
; %bb.1094:                             ;   in Loop: Header=BB4_124 Depth=2
	s_or_b64 exec, exec, s[24:25]
	v_lshrrev_b64 v[2:3], 20, v[2:3]
	v_cmp_gt_i32_e32 vcc, 16, v11
	v_cndmask_b32_e32 v3, 0, v3, vcc
	v_cndmask_b32_e32 v2, 7, v2, vcc
	v_cmp_eq_u64_e64 s[24:25], 0, v[2:3]
	v_min_i32_e32 v3, 15, v11
	v_lshlrev_b32_e32 v3, 3, v3
	v_cmp_eq_u32_e32 vcc, 0, v11
	v_and_b32_e32 v3, 0xf8, v3
	v_and_or_b32 v2, v2, 7, v3
	s_and_b64 s[24:25], vcc, s[24:25]
	v_cndmask_b32_e64 v2, v2, 0, s[24:25]
	v_or_b32_e32 v15, v2, v10
.LBB4_1095:                             ;   in Loop: Header=BB4_124 Depth=2
	s_or_b64 exec, exec, s[64:65]
.LBB4_1096:                             ;   in Loop: Header=BB4_124 Depth=2
	s_or_b64 exec, exec, s[62:63]
                                        ; implicit-def: $vgpr3
	s_andn2_saveexec_b64 s[24:25], s[60:61]
	s_cbranch_execz .LBB4_1074
.LBB4_1097:                             ;   in Loop: Header=BB4_124 Depth=2
	v_or_b32_sdwa v2, v3, s76 dst_sel:DWORD dst_unused:UNUSED_PAD src0_sel:BYTE_3 src1_sel:DWORD
	v_cmp_eq_u64_e32 vcc, 0, v[54:55]
	v_cndmask_b32_e32 v15, v2, v15, vcc
	s_or_b64 exec, exec, s[24:25]
	s_and_b64 vcc, exec, s[22:23]
	v_cmp_ne_u16_sdwa s[24:25], v16, v55 src0_sel:BYTE_0 src1_sel:DWORD
	s_cbranch_vccz .LBB4_1075
.LBB4_1098:                             ;   in Loop: Header=BB4_124 Depth=2
                                        ; implicit-def: $vgpr2
	s_cbranch_execz .LBB4_1112
; %bb.1099:                             ;   in Loop: Header=BB4_124 Depth=2
	v_mov_b32_e32 v3, 0
	v_mov_b32_e32 v2, 0
	s_and_saveexec_b64 s[60:61], s[24:25]
	s_cbranch_execz .LBB4_1105
; %bb.1100:                             ;   in Loop: Header=BB4_124 Depth=2
	v_cmp_ne_u16_sdwa vcc, v16, s75 src0_sel:BYTE_0 src1_sel:DWORD
	v_bfrev_b32_e32 v2, 1
	s_and_saveexec_b64 s[24:25], vcc
	s_cbranch_execz .LBB4_1104
; %bb.1101:                             ;   in Loop: Header=BB4_124 Depth=2
	v_and_b32_e32 v4, 0x7f, v16
	v_cmp_ne_u32_e32 vcc, s76, v4
	v_mov_b32_e32 v2, 0x7f800001
	s_and_saveexec_b64 s[62:63], vcc
	s_cbranch_execz .LBB4_1103
; %bb.1102:                             ;   in Loop: Header=BB4_124 Depth=2
	v_and_b32_e32 v2, 7, v16
	v_ffbh_u32_e32 v2, v2
	v_min_u32_e32 v2, 32, v2
	v_subrev_u32_e32 v6, 28, v2
	v_cmp_gt_u32_e32 vcc, 8, v4
	v_lshrrev_b32_e32 v5, 3, v4
	v_sub_u32_e32 v2, 29, v2
	v_cndmask_b32_e32 v4, 0, v6, vcc
	v_cndmask_b32_e32 v2, v5, v2, vcc
	v_lshlrev_b64 v[4:5], v4, v[16:17]
	v_lshlrev_b32_e32 v4, 20, v4
	v_lshlrev_b32_e32 v5, 24, v16
	v_and_b32_e32 v4, 0x700000, v4
	v_and_b32_e32 v5, 0x80000000, v5
	v_lshl_add_u32 v2, v2, 23, v0
	v_or3_b32 v2, v5, v2, v4
.LBB4_1103:                             ;   in Loop: Header=BB4_124 Depth=2
	s_or_b64 exec, exec, s[62:63]
.LBB4_1104:                             ;   in Loop: Header=BB4_124 Depth=2
	s_or_b64 exec, exec, s[24:25]
.LBB4_1105:                             ;   in Loop: Header=BB4_124 Depth=2
	s_or_b64 exec, exec, s[60:61]
	v_cmp_ne_u16_sdwa vcc, v12, v55 src0_sel:BYTE_0 src1_sel:DWORD
	s_and_saveexec_b64 s[24:25], vcc
	s_cbranch_execz .LBB4_1111
; %bb.1106:                             ;   in Loop: Header=BB4_124 Depth=2
	v_cmp_ne_u16_sdwa vcc, v12, s75 src0_sel:BYTE_0 src1_sel:DWORD
	v_bfrev_b32_e32 v3, 1
	s_and_saveexec_b64 s[60:61], vcc
	s_cbranch_execz .LBB4_1110
; %bb.1107:                             ;   in Loop: Header=BB4_124 Depth=2
	v_and_b32_e32 v4, 0x7f, v12
	v_cmp_ne_u32_e32 vcc, s76, v4
	v_mov_b32_e32 v3, 0x7f800001
	s_and_saveexec_b64 s[62:63], vcc
	s_cbranch_execz .LBB4_1109
; %bb.1108:                             ;   in Loop: Header=BB4_124 Depth=2
	v_and_b32_e32 v3, 7, v12
	v_ffbh_u32_e32 v3, v3
	v_min_u32_e32 v3, 32, v3
	v_subrev_u32_e32 v6, 28, v3
	v_cmp_gt_u32_e32 vcc, 8, v4
	v_lshrrev_b32_e32 v5, 3, v4
	v_sub_u32_e32 v3, 29, v3
	v_cndmask_b32_e32 v4, 0, v6, vcc
	v_cndmask_b32_e32 v3, v5, v3, vcc
	v_lshlrev_b64 v[4:5], v4, v[12:13]
	v_lshlrev_b32_e32 v4, 20, v4
	v_lshlrev_b32_e32 v5, 24, v12
	v_and_b32_e32 v4, 0x700000, v4
	v_and_b32_e32 v5, 0x80000000, v5
	v_lshl_add_u32 v3, v3, 23, v0
	v_or3_b32 v3, v5, v3, v4
.LBB4_1109:                             ;   in Loop: Header=BB4_124 Depth=2
	s_or_b64 exec, exec, s[62:63]
.LBB4_1110:                             ;   in Loop: Header=BB4_124 Depth=2
	s_or_b64 exec, exec, s[60:61]
.LBB4_1111:                             ;   in Loop: Header=BB4_124 Depth=2
	s_or_b64 exec, exec, s[24:25]
	v_max_f32_e32 v3, v3, v3
	v_max_f32_e32 v2, v2, v2
	v_min_f32_e32 v2, v2, v3
.LBB4_1112:                             ;   in Loop: Header=BB4_124 Depth=2
	v_and_b32_sdwa v10, v2, s75 dst_sel:DWORD dst_unused:UNUSED_PAD src0_sel:BYTE_3 src1_sel:DWORD
	v_and_b32_e32 v4, 0x7f800000, v2
	v_mov_b32_e32 v5, v55
	v_and_b32_e32 v54, 0x7fffff, v2
	v_or_b32_e32 v18, 0x7e, v10
	v_cmp_ne_u64_e32 vcc, s[44:45], v[4:5]
	s_and_saveexec_b64 s[24:25], vcc
	s_xor_b64 s[60:61], exec, s[24:25]
	s_cbranch_execz .LBB4_1122
; %bb.1113:                             ;   in Loop: Header=BB4_124 Depth=2
	v_and_b32_e32 v4, 0x7fffffff, v2
	v_mov_b32_e32 v5, v55
	v_cmp_gt_u64_e32 vcc, s[46:47], v[4:5]
	s_and_saveexec_b64 s[62:63], vcc
	s_cbranch_execz .LBB4_1121
; %bb.1114:                             ;   in Loop: Header=BB4_124 Depth=2
	v_cmp_ne_u32_e32 vcc, 0, v2
	v_mov_b32_e32 v18, 0
	s_and_saveexec_b64 s[64:65], vcc
	s_cbranch_execz .LBB4_1120
; %bb.1115:                             ;   in Loop: Header=BB4_124 Depth=2
	v_bfe_u32 v2, v2, 23, 8
	v_sub_u32_e32 v4, 0x79, v2
	v_cmp_gt_u32_e32 vcc, s78, v2
	v_add_u32_e32 v3, 0xffffff81, v2
	v_cndmask_b32_e32 v4, 0, v4, vcc
	v_cmp_eq_u32_e32 vcc, 0, v2
	v_mov_b32_e32 v2, 0xffffff82
	v_cndmask_b32_e32 v11, v3, v2, vcc
	v_mov_b32_e32 v2, 0x78
	v_or_b32_e32 v5, 0x800000, v54
	v_cndmask_b32_e32 v4, v4, v2, vcc
	v_cndmask_b32_e32 v54, v5, v54, vcc
	v_add_u32_e32 v2, 20, v4
	v_lshlrev_b64 v[2:3], v2, -1
	v_add_u32_e32 v5, 19, v4
	v_lshrrev_b64 v[8:9], v4, v[54:55]
	v_not_b32_e32 v3, v3
	v_not_b32_e32 v2, v2
	v_lshlrev_b64 v[6:7], v5, 1
	v_lshrrev_b32_e32 v5, 23, v8
	v_and_b32_e32 v3, 0, v3
	v_and_b32_e32 v2, v54, v2
	v_add3_u32 v4, v4, v11, v5
	v_bfe_u32 v5, v8, 20, 1
	v_add_u32_e32 v5, -1, v5
	v_cmp_eq_u64_e32 vcc, v[2:3], v[6:7]
	v_cndmask_b32_e32 v2, 0, v5, vcc
	v_add_u32_e32 v2, v2, v8
	v_and_b32_e32 v2, 0xfffff, v2
	v_add_co_u32_e32 v2, vcc, v2, v8
	v_add_u32_e32 v14, 6, v4
	v_addc_co_u32_e32 v3, vcc, 0, v9, vcc
	v_cmp_ne_u32_e32 vcc, 0, v14
                                        ; implicit-def: $vgpr11
	s_and_saveexec_b64 s[24:25], vcc
	s_xor_b64 s[24:25], exec, s[24:25]
; %bb.1116:                             ;   in Loop: Header=BB4_124 Depth=2
	v_add_u32_e32 v4, 7, v4
	v_cmp_lt_u64_e32 vcc, s[50:51], v[2:3]
	v_cndmask_b32_e32 v11, v14, v4, vcc
	v_cndmask_b32_e64 v4, 0, 1, vcc
	v_lshrrev_b64 v[2:3], v4, v[2:3]
; %bb.1117:                             ;   in Loop: Header=BB4_124 Depth=2
	s_andn2_saveexec_b64 s[24:25], s[24:25]
; %bb.1118:                             ;   in Loop: Header=BB4_124 Depth=2
	v_bfe_u32 v11, v2, 23, 1
; %bb.1119:                             ;   in Loop: Header=BB4_124 Depth=2
	s_or_b64 exec, exec, s[24:25]
	v_lshrrev_b64 v[2:3], 20, v[2:3]
	v_cmp_gt_i32_e32 vcc, 16, v11
	v_cndmask_b32_e32 v3, 0, v3, vcc
	v_cndmask_b32_e32 v2, 7, v2, vcc
	v_cmp_eq_u64_e64 s[24:25], 0, v[2:3]
	v_min_i32_e32 v3, 15, v11
	v_cmp_eq_u32_e32 vcc, 0, v11
	v_lshlrev_b32_e32 v3, 3, v3
	v_and_or_b32 v2, v2, 7, v3
	s_and_b64 s[24:25], vcc, s[24:25]
	v_cndmask_b32_e64 v2, v2, 0, s[24:25]
	v_or_b32_e32 v18, v2, v10
.LBB4_1120:                             ;   in Loop: Header=BB4_124 Depth=2
	s_or_b64 exec, exec, s[64:65]
.LBB4_1121:                             ;   in Loop: Header=BB4_124 Depth=2
	s_or_b64 exec, exec, s[62:63]
                                        ; implicit-def: $vgpr2
.LBB4_1122:                             ;   in Loop: Header=BB4_124 Depth=2
	s_andn2_saveexec_b64 s[24:25], s[60:61]
; %bb.1123:                             ;   in Loop: Header=BB4_124 Depth=2
	v_or_b32_sdwa v2, v2, s76 dst_sel:DWORD dst_unused:UNUSED_PAD src0_sel:BYTE_3 src1_sel:DWORD
	v_cmp_eq_u64_e32 vcc, 0, v[54:55]
	v_cndmask_b32_e32 v18, v2, v18, vcc
; %bb.1124:                             ;   in Loop: Header=BB4_124 Depth=2
	s_or_b64 exec, exec, s[24:25]
	v_lshrrev_b16_e32 v10, 8, v16
	v_lshrrev_b16_e32 v2, 8, v12
	s_and_b64 vcc, exec, s[22:23]
	v_cmp_ne_u16_e64 s[24:25], 0, v10
	s_cbranch_vccnz .LBB4_1138
; %bb.1125:                             ;   in Loop: Header=BB4_124 Depth=2
	v_mov_b32_e32 v11, 0
	v_mov_b32_e32 v3, 0
	s_and_saveexec_b64 s[60:61], s[24:25]
	s_cbranch_execz .LBB4_1131
; %bb.1126:                             ;   in Loop: Header=BB4_124 Depth=2
	v_cmp_ne_u16_e32 vcc, s75, v10
	v_bfrev_b32_e32 v3, 1
	s_and_saveexec_b64 s[62:63], vcc
	s_cbranch_execz .LBB4_1130
; %bb.1127:                             ;   in Loop: Header=BB4_124 Depth=2
	v_and_b32_e32 v4, 0x7f, v10
	v_cmp_ne_u32_e32 vcc, s76, v4
	v_mov_b32_e32 v3, 0x7f800001
	s_and_saveexec_b64 s[64:65], vcc
	s_cbranch_execz .LBB4_1129
; %bb.1128:                             ;   in Loop: Header=BB4_124 Depth=2
	v_and_b32_e32 v3, 7, v10
	v_ffbh_u32_e32 v6, v3
	v_min_u32_e32 v8, 32, v6
	v_subrev_u32_e32 v6, 28, v8
	v_lshlrev_b64 v[6:7], v6, v[10:11]
	v_lshrrev_b32_e32 v5, 3, v4
	v_sub_u32_e32 v7, 29, v8
	v_and_b32_e32 v6, 7, v6
	v_cmp_gt_u32_e32 vcc, 8, v4
	v_cndmask_b32_e32 v4, v5, v7, vcc
	v_cndmask_b32_e32 v3, v3, v6, vcc
	v_lshlrev_b32_e32 v5, 16, v16
	v_lshlrev_b32_e32 v3, 20, v3
	v_and_b32_e32 v5, 0x80000000, v5
	v_lshl_add_u32 v4, v4, 23, v0
	v_or3_b32 v3, v5, v4, v3
.LBB4_1129:                             ;   in Loop: Header=BB4_124 Depth=2
	s_or_b64 exec, exec, s[64:65]
.LBB4_1130:                             ;   in Loop: Header=BB4_124 Depth=2
	s_or_b64 exec, exec, s[62:63]
.LBB4_1131:                             ;   in Loop: Header=BB4_124 Depth=2
	s_or_b64 exec, exec, s[60:61]
	v_cmp_ne_u16_e32 vcc, 0, v2
	s_and_saveexec_b64 s[60:61], vcc
	s_cbranch_execz .LBB4_1137
; %bb.1132:                             ;   in Loop: Header=BB4_124 Depth=2
	v_cmp_ne_u16_e32 vcc, s75, v2
	v_bfrev_b32_e32 v11, 1
	s_and_saveexec_b64 s[62:63], vcc
	s_cbranch_execz .LBB4_1136
; %bb.1133:                             ;   in Loop: Header=BB4_124 Depth=2
	v_and_b32_e32 v4, 0x7f, v2
	v_cmp_ne_u32_e32 vcc, s76, v4
	v_mov_b32_e32 v11, 0x7f800001
	s_and_saveexec_b64 s[64:65], vcc
	s_cbranch_execz .LBB4_1135
; %bb.1134:                             ;   in Loop: Header=BB4_124 Depth=2
	v_and_b32_e32 v5, 7, v2
	v_ffbh_u32_e32 v6, v5
	v_min_u32_e32 v9, 32, v6
	v_subrev_u32_e32 v6, 28, v9
	v_lshlrev_b64 v[6:7], v6, v[2:3]
	v_lshrrev_b32_e32 v8, 3, v4
	v_sub_u32_e32 v7, 29, v9
	v_and_b32_e32 v6, 7, v6
	v_cmp_gt_u32_e32 vcc, 8, v4
	v_cndmask_b32_e32 v4, v8, v7, vcc
	v_cndmask_b32_e32 v5, v5, v6, vcc
	v_lshlrev_b32_e32 v6, 16, v12
	v_lshlrev_b32_e32 v5, 20, v5
	v_and_b32_e32 v6, 0x80000000, v6
	v_lshl_add_u32 v4, v4, 23, v0
	v_or3_b32 v11, v6, v4, v5
.LBB4_1135:                             ;   in Loop: Header=BB4_124 Depth=2
	s_or_b64 exec, exec, s[64:65]
.LBB4_1136:                             ;   in Loop: Header=BB4_124 Depth=2
	s_or_b64 exec, exec, s[62:63]
.LBB4_1137:                             ;   in Loop: Header=BB4_124 Depth=2
	s_or_b64 exec, exec, s[60:61]
	v_max_f32_e32 v4, v11, v11
	v_max_f32_e32 v3, v3, v3
	;; [unrolled: 1-line block ×3, first 2 shown]
	s_branch .LBB4_1152
.LBB4_1138:                             ;   in Loop: Header=BB4_124 Depth=2
                                        ; implicit-def: $vgpr3
	s_cbranch_execz .LBB4_1152
; %bb.1139:                             ;   in Loop: Header=BB4_124 Depth=2
	v_mov_b32_e32 v11, 0
	v_mov_b32_e32 v3, 0
	s_and_saveexec_b64 s[60:61], s[24:25]
	s_cbranch_execz .LBB4_1145
; %bb.1140:                             ;   in Loop: Header=BB4_124 Depth=2
	v_cmp_ne_u16_e32 vcc, s75, v10
	v_bfrev_b32_e32 v3, 1
	s_and_saveexec_b64 s[24:25], vcc
	s_cbranch_execz .LBB4_1144
; %bb.1141:                             ;   in Loop: Header=BB4_124 Depth=2
	v_and_b32_e32 v4, 0x7f, v10
	v_cmp_ne_u32_e32 vcc, s76, v4
	v_mov_b32_e32 v3, 0x7f800001
	s_and_saveexec_b64 s[62:63], vcc
	s_cbranch_execz .LBB4_1143
; %bb.1142:                             ;   in Loop: Header=BB4_124 Depth=2
	v_and_b32_e32 v3, 7, v10
	v_ffbh_u32_e32 v6, v3
	v_min_u32_e32 v8, 32, v6
	v_subrev_u32_e32 v6, 28, v8
	v_lshlrev_b64 v[6:7], v6, v[10:11]
	v_lshrrev_b32_e32 v5, 3, v4
	v_sub_u32_e32 v7, 29, v8
	v_and_b32_e32 v6, 7, v6
	v_cmp_gt_u32_e32 vcc, 8, v4
	v_cndmask_b32_e32 v4, v5, v7, vcc
	v_cndmask_b32_e32 v3, v3, v6, vcc
	v_lshlrev_b32_e32 v5, 16, v16
	v_lshlrev_b32_e32 v3, 20, v3
	v_and_b32_e32 v5, 0x80000000, v5
	v_lshl_add_u32 v4, v4, 23, v0
	v_or3_b32 v3, v5, v4, v3
.LBB4_1143:                             ;   in Loop: Header=BB4_124 Depth=2
	s_or_b64 exec, exec, s[62:63]
.LBB4_1144:                             ;   in Loop: Header=BB4_124 Depth=2
	s_or_b64 exec, exec, s[24:25]
.LBB4_1145:                             ;   in Loop: Header=BB4_124 Depth=2
	s_or_b64 exec, exec, s[60:61]
	v_cmp_ne_u16_e32 vcc, 0, v2
	s_and_saveexec_b64 s[24:25], vcc
	s_cbranch_execz .LBB4_1151
; %bb.1146:                             ;   in Loop: Header=BB4_124 Depth=2
	v_cmp_ne_u16_e32 vcc, s75, v2
	v_bfrev_b32_e32 v11, 1
	s_and_saveexec_b64 s[60:61], vcc
	s_cbranch_execz .LBB4_1150
; %bb.1147:                             ;   in Loop: Header=BB4_124 Depth=2
	v_and_b32_e32 v4, 0x7f, v2
	v_cmp_ne_u32_e32 vcc, s76, v4
	v_mov_b32_e32 v11, 0x7f800001
	s_and_saveexec_b64 s[62:63], vcc
	s_cbranch_execz .LBB4_1149
; %bb.1148:                             ;   in Loop: Header=BB4_124 Depth=2
	v_and_b32_e32 v5, 7, v2
	v_ffbh_u32_e32 v6, v5
	v_min_u32_e32 v9, 32, v6
	v_subrev_u32_e32 v6, 28, v9
	v_lshlrev_b64 v[6:7], v6, v[2:3]
	v_lshrrev_b32_e32 v8, 3, v4
	v_sub_u32_e32 v2, 29, v9
	v_and_b32_e32 v6, 7, v6
	v_cmp_gt_u32_e32 vcc, 8, v4
	v_cndmask_b32_e32 v2, v8, v2, vcc
	v_cndmask_b32_e32 v4, v5, v6, vcc
	v_lshlrev_b32_e32 v5, 16, v12
	v_lshlrev_b32_e32 v4, 20, v4
	v_and_b32_e32 v5, 0x80000000, v5
	v_lshl_add_u32 v2, v2, 23, v0
	v_or3_b32 v11, v5, v2, v4
.LBB4_1149:                             ;   in Loop: Header=BB4_124 Depth=2
	s_or_b64 exec, exec, s[62:63]
.LBB4_1150:                             ;   in Loop: Header=BB4_124 Depth=2
	s_or_b64 exec, exec, s[60:61]
.LBB4_1151:                             ;   in Loop: Header=BB4_124 Depth=2
	s_or_b64 exec, exec, s[24:25]
	v_max_f32_e32 v2, v11, v11
	v_max_f32_e32 v3, v3, v3
	v_min_f32_e32 v3, v3, v2
.LBB4_1152:                             ;   in Loop: Header=BB4_124 Depth=2
	v_and_b32_sdwa v10, v3, s75 dst_sel:DWORD dst_unused:UNUSED_PAD src0_sel:BYTE_3 src1_sel:DWORD
	v_and_b32_e32 v4, 0x7f800000, v3
	v_mov_b32_e32 v5, v55
	v_and_b32_e32 v54, 0x7fffff, v3
	v_or_b32_e32 v26, 0x7e, v10
	v_cmp_ne_u64_e32 vcc, s[44:45], v[4:5]
	s_and_saveexec_b64 s[24:25], vcc
	s_xor_b64 s[60:61], exec, s[24:25]
	s_cbranch_execz .LBB4_1162
; %bb.1153:                             ;   in Loop: Header=BB4_124 Depth=2
	v_and_b32_e32 v4, 0x7fffffff, v3
	v_mov_b32_e32 v5, v55
	v_cmp_gt_u64_e32 vcc, s[46:47], v[4:5]
	s_and_saveexec_b64 s[62:63], vcc
	s_cbranch_execz .LBB4_1161
; %bb.1154:                             ;   in Loop: Header=BB4_124 Depth=2
	v_cmp_ne_u32_e32 vcc, 0, v3
	v_mov_b32_e32 v26, 0
	s_and_saveexec_b64 s[64:65], vcc
	s_cbranch_execz .LBB4_1160
; %bb.1155:                             ;   in Loop: Header=BB4_124 Depth=2
	v_bfe_u32 v2, v3, 23, 8
	v_sub_u32_e32 v4, 0x79, v2
	v_cmp_gt_u32_e32 vcc, s78, v2
	v_add_u32_e32 v3, 0xffffff81, v2
	v_cndmask_b32_e32 v4, 0, v4, vcc
	v_cmp_eq_u32_e32 vcc, 0, v2
	v_mov_b32_e32 v2, 0xffffff82
	v_cndmask_b32_e32 v11, v3, v2, vcc
	v_mov_b32_e32 v2, 0x78
	v_or_b32_e32 v5, 0x800000, v54
	v_cndmask_b32_e32 v4, v4, v2, vcc
	v_cndmask_b32_e32 v54, v5, v54, vcc
	v_add_u32_e32 v2, 20, v4
	v_lshlrev_b64 v[2:3], v2, -1
	v_add_u32_e32 v5, 19, v4
	v_lshrrev_b64 v[8:9], v4, v[54:55]
	v_not_b32_e32 v3, v3
	v_not_b32_e32 v2, v2
	v_lshlrev_b64 v[6:7], v5, 1
	v_lshrrev_b32_e32 v5, 23, v8
	v_and_b32_e32 v3, 0, v3
	v_and_b32_e32 v2, v54, v2
	v_add3_u32 v4, v4, v11, v5
	v_bfe_u32 v5, v8, 20, 1
	v_add_u32_e32 v5, -1, v5
	v_cmp_eq_u64_e32 vcc, v[2:3], v[6:7]
	v_cndmask_b32_e32 v2, 0, v5, vcc
	v_add_u32_e32 v2, v2, v8
	v_and_b32_e32 v2, 0xfffff, v2
	v_add_co_u32_e32 v2, vcc, v2, v8
	v_add_u32_e32 v14, 6, v4
	v_addc_co_u32_e32 v3, vcc, 0, v9, vcc
	v_cmp_ne_u32_e32 vcc, 0, v14
                                        ; implicit-def: $vgpr11
	s_and_saveexec_b64 s[24:25], vcc
	s_xor_b64 s[24:25], exec, s[24:25]
; %bb.1156:                             ;   in Loop: Header=BB4_124 Depth=2
	v_add_u32_e32 v4, 7, v4
	v_cmp_lt_u64_e32 vcc, s[50:51], v[2:3]
	v_cndmask_b32_e32 v11, v14, v4, vcc
	v_cndmask_b32_e64 v4, 0, 1, vcc
	v_lshrrev_b64 v[2:3], v4, v[2:3]
; %bb.1157:                             ;   in Loop: Header=BB4_124 Depth=2
	s_andn2_saveexec_b64 s[24:25], s[24:25]
; %bb.1158:                             ;   in Loop: Header=BB4_124 Depth=2
	v_bfe_u32 v11, v2, 23, 1
; %bb.1159:                             ;   in Loop: Header=BB4_124 Depth=2
	s_or_b64 exec, exec, s[24:25]
	v_lshrrev_b64 v[2:3], 20, v[2:3]
	v_cmp_gt_i32_e32 vcc, 16, v11
	v_cndmask_b32_e32 v3, 0, v3, vcc
	v_cndmask_b32_e32 v2, 7, v2, vcc
	v_cmp_eq_u64_e64 s[24:25], 0, v[2:3]
	v_min_i32_e32 v3, 15, v11
	v_cmp_eq_u32_e32 vcc, 0, v11
	v_lshlrev_b32_e32 v3, 3, v3
	v_and_or_b32 v2, v2, 7, v3
	s_and_b64 s[24:25], vcc, s[24:25]
	v_cndmask_b32_e64 v2, v2, 0, s[24:25]
	v_or_b32_e32 v26, v2, v10
.LBB4_1160:                             ;   in Loop: Header=BB4_124 Depth=2
	s_or_b64 exec, exec, s[64:65]
.LBB4_1161:                             ;   in Loop: Header=BB4_124 Depth=2
	s_or_b64 exec, exec, s[62:63]
                                        ; implicit-def: $vgpr3
.LBB4_1162:                             ;   in Loop: Header=BB4_124 Depth=2
	s_andn2_saveexec_b64 s[24:25], s[60:61]
; %bb.1163:                             ;   in Loop: Header=BB4_124 Depth=2
	v_or_b32_sdwa v2, v3, s76 dst_sel:DWORD dst_unused:UNUSED_PAD src0_sel:BYTE_3 src1_sel:DWORD
	v_cmp_eq_u64_e32 vcc, 0, v[54:55]
	v_cndmask_b32_e32 v26, v2, v26, vcc
; %bb.1164:                             ;   in Loop: Header=BB4_124 Depth=2
	s_or_b64 exec, exec, s[24:25]
	v_lshrrev_b32_e32 v10, 16, v16
	v_lshrrev_b32_e32 v2, 16, v12
	s_and_b64 vcc, exec, s[22:23]
	v_cmp_ne_u16_sdwa s[24:25], v10, v55 src0_sel:BYTE_0 src1_sel:DWORD
	s_cbranch_vccnz .LBB4_1178
; %bb.1165:                             ;   in Loop: Header=BB4_124 Depth=2
	v_mov_b32_e32 v11, 0
	v_mov_b32_e32 v3, 0
	s_and_saveexec_b64 s[60:61], s[24:25]
	s_cbranch_execz .LBB4_1171
; %bb.1166:                             ;   in Loop: Header=BB4_124 Depth=2
	v_cmp_ne_u16_sdwa vcc, v10, s75 src0_sel:BYTE_0 src1_sel:DWORD
	v_bfrev_b32_e32 v3, 1
	s_and_saveexec_b64 s[62:63], vcc
	s_cbranch_execz .LBB4_1170
; %bb.1167:                             ;   in Loop: Header=BB4_124 Depth=2
	v_bfe_u32 v4, v16, 16, 7
	v_cmp_ne_u32_e32 vcc, s76, v4
	v_mov_b32_e32 v3, 0x7f800001
	s_and_saveexec_b64 s[64:65], vcc
	s_cbranch_execz .LBB4_1169
; %bb.1168:                             ;   in Loop: Header=BB4_124 Depth=2
	v_and_b32_e32 v3, 7, v10
	v_ffbh_u32_e32 v6, v3
	v_min_u32_e32 v8, 32, v6
	v_subrev_u32_e32 v6, 28, v8
	v_lshlrev_b64 v[6:7], v6, v[10:11]
	v_lshrrev_b32_e32 v5, 3, v4
	v_sub_u32_e32 v7, 29, v8
	v_and_b32_e32 v6, 7, v6
	v_cmp_gt_u32_e32 vcc, 8, v4
	v_cndmask_b32_e32 v4, v5, v7, vcc
	v_cndmask_b32_e32 v3, v3, v6, vcc
	v_lshlrev_b32_e32 v5, 24, v10
	v_lshlrev_b32_e32 v3, 20, v3
	v_and_b32_e32 v5, 0x80000000, v5
	v_lshl_add_u32 v4, v4, 23, v0
	v_or3_b32 v3, v5, v4, v3
.LBB4_1169:                             ;   in Loop: Header=BB4_124 Depth=2
	s_or_b64 exec, exec, s[64:65]
.LBB4_1170:                             ;   in Loop: Header=BB4_124 Depth=2
	s_or_b64 exec, exec, s[62:63]
.LBB4_1171:                             ;   in Loop: Header=BB4_124 Depth=2
	s_or_b64 exec, exec, s[60:61]
	v_cmp_ne_u16_sdwa vcc, v2, v55 src0_sel:BYTE_0 src1_sel:DWORD
	s_and_saveexec_b64 s[60:61], vcc
	s_cbranch_execz .LBB4_1177
; %bb.1172:                             ;   in Loop: Header=BB4_124 Depth=2
	v_cmp_ne_u16_sdwa vcc, v2, s75 src0_sel:BYTE_0 src1_sel:DWORD
	v_bfrev_b32_e32 v11, 1
	s_and_saveexec_b64 s[62:63], vcc
	s_cbranch_execz .LBB4_1176
; %bb.1173:                             ;   in Loop: Header=BB4_124 Depth=2
	v_bfe_u32 v4, v12, 16, 7
	v_cmp_ne_u32_e32 vcc, s76, v4
	v_mov_b32_e32 v11, 0x7f800001
	s_and_saveexec_b64 s[64:65], vcc
	s_cbranch_execz .LBB4_1175
; %bb.1174:                             ;   in Loop: Header=BB4_124 Depth=2
	v_and_b32_e32 v5, 7, v2
	v_ffbh_u32_e32 v6, v5
	v_min_u32_e32 v9, 32, v6
	v_subrev_u32_e32 v6, 28, v9
	v_lshlrev_b64 v[6:7], v6, v[2:3]
	v_lshrrev_b32_e32 v8, 3, v4
	v_sub_u32_e32 v7, 29, v9
	v_and_b32_e32 v6, 7, v6
	v_cmp_gt_u32_e32 vcc, 8, v4
	v_cndmask_b32_e32 v4, v8, v7, vcc
	v_cndmask_b32_e32 v5, v5, v6, vcc
	v_lshlrev_b32_e32 v6, 24, v2
	v_lshlrev_b32_e32 v5, 20, v5
	v_and_b32_e32 v6, 0x80000000, v6
	v_lshl_add_u32 v4, v4, 23, v0
	v_or3_b32 v11, v6, v4, v5
.LBB4_1175:                             ;   in Loop: Header=BB4_124 Depth=2
	s_or_b64 exec, exec, s[64:65]
.LBB4_1176:                             ;   in Loop: Header=BB4_124 Depth=2
	s_or_b64 exec, exec, s[62:63]
.LBB4_1177:                             ;   in Loop: Header=BB4_124 Depth=2
	s_or_b64 exec, exec, s[60:61]
	v_max_f32_e32 v4, v11, v11
	v_max_f32_e32 v3, v3, v3
	;; [unrolled: 1-line block ×3, first 2 shown]
	s_branch .LBB4_1192
.LBB4_1178:                             ;   in Loop: Header=BB4_124 Depth=2
                                        ; implicit-def: $vgpr3
	s_cbranch_execz .LBB4_1192
; %bb.1179:                             ;   in Loop: Header=BB4_124 Depth=2
	v_mov_b32_e32 v11, 0
	v_mov_b32_e32 v3, 0
	s_and_saveexec_b64 s[60:61], s[24:25]
	s_cbranch_execz .LBB4_1185
; %bb.1180:                             ;   in Loop: Header=BB4_124 Depth=2
	v_cmp_ne_u16_sdwa vcc, v10, s75 src0_sel:BYTE_0 src1_sel:DWORD
	v_bfrev_b32_e32 v3, 1
	s_and_saveexec_b64 s[24:25], vcc
	s_cbranch_execz .LBB4_1184
; %bb.1181:                             ;   in Loop: Header=BB4_124 Depth=2
	v_bfe_u32 v4, v16, 16, 7
	v_cmp_ne_u32_e32 vcc, s76, v4
	v_mov_b32_e32 v3, 0x7f800001
	s_and_saveexec_b64 s[62:63], vcc
	s_cbranch_execz .LBB4_1183
; %bb.1182:                             ;   in Loop: Header=BB4_124 Depth=2
	v_and_b32_e32 v3, 7, v10
	v_ffbh_u32_e32 v6, v3
	v_min_u32_e32 v8, 32, v6
	v_subrev_u32_e32 v6, 28, v8
	v_lshlrev_b64 v[6:7], v6, v[10:11]
	v_lshrrev_b32_e32 v5, 3, v4
	v_sub_u32_e32 v7, 29, v8
	v_and_b32_e32 v6, 7, v6
	v_cmp_gt_u32_e32 vcc, 8, v4
	v_cndmask_b32_e32 v4, v5, v7, vcc
	v_cndmask_b32_e32 v3, v3, v6, vcc
	v_lshlrev_b32_e32 v5, 24, v10
	v_lshlrev_b32_e32 v3, 20, v3
	v_and_b32_e32 v5, 0x80000000, v5
	v_lshl_add_u32 v4, v4, 23, v0
	v_or3_b32 v3, v5, v4, v3
.LBB4_1183:                             ;   in Loop: Header=BB4_124 Depth=2
	s_or_b64 exec, exec, s[62:63]
.LBB4_1184:                             ;   in Loop: Header=BB4_124 Depth=2
	s_or_b64 exec, exec, s[24:25]
.LBB4_1185:                             ;   in Loop: Header=BB4_124 Depth=2
	s_or_b64 exec, exec, s[60:61]
	v_cmp_ne_u16_sdwa vcc, v2, v55 src0_sel:BYTE_0 src1_sel:DWORD
	s_and_saveexec_b64 s[24:25], vcc
	s_cbranch_execz .LBB4_1191
; %bb.1186:                             ;   in Loop: Header=BB4_124 Depth=2
	v_cmp_ne_u16_sdwa vcc, v2, s75 src0_sel:BYTE_0 src1_sel:DWORD
	v_bfrev_b32_e32 v11, 1
	s_and_saveexec_b64 s[60:61], vcc
	s_cbranch_execz .LBB4_1190
; %bb.1187:                             ;   in Loop: Header=BB4_124 Depth=2
	v_bfe_u32 v4, v12, 16, 7
	v_cmp_ne_u32_e32 vcc, s76, v4
	v_mov_b32_e32 v11, 0x7f800001
	s_and_saveexec_b64 s[62:63], vcc
	s_cbranch_execz .LBB4_1189
; %bb.1188:                             ;   in Loop: Header=BB4_124 Depth=2
	v_and_b32_e32 v5, 7, v2
	v_ffbh_u32_e32 v6, v5
	v_min_u32_e32 v9, 32, v6
	v_subrev_u32_e32 v6, 28, v9
	v_lshlrev_b64 v[6:7], v6, v[2:3]
	v_lshrrev_b32_e32 v8, 3, v4
	v_sub_u32_e32 v7, 29, v9
	v_and_b32_e32 v6, 7, v6
	v_cmp_gt_u32_e32 vcc, 8, v4
	v_cndmask_b32_e32 v4, v8, v7, vcc
	v_cndmask_b32_e32 v5, v5, v6, vcc
	v_lshlrev_b32_e32 v2, 24, v2
	v_lshlrev_b32_e32 v5, 20, v5
	v_and_b32_e32 v2, 0x80000000, v2
	v_lshl_add_u32 v4, v4, 23, v0
	v_or3_b32 v11, v2, v4, v5
.LBB4_1189:                             ;   in Loop: Header=BB4_124 Depth=2
	s_or_b64 exec, exec, s[62:63]
.LBB4_1190:                             ;   in Loop: Header=BB4_124 Depth=2
	s_or_b64 exec, exec, s[60:61]
.LBB4_1191:                             ;   in Loop: Header=BB4_124 Depth=2
	s_or_b64 exec, exec, s[24:25]
	v_max_f32_e32 v2, v11, v11
	v_max_f32_e32 v3, v3, v3
	v_min_f32_e32 v3, v3, v2
.LBB4_1192:                             ;   in Loop: Header=BB4_124 Depth=2
	v_and_b32_sdwa v10, v3, s75 dst_sel:DWORD dst_unused:UNUSED_PAD src0_sel:BYTE_3 src1_sel:DWORD
	v_and_b32_e32 v4, 0x7f800000, v3
	v_mov_b32_e32 v5, v55
	v_and_b32_e32 v54, 0x7fffff, v3
	v_or_b32_e32 v27, 0x7e, v10
	v_cmp_ne_u64_e32 vcc, s[44:45], v[4:5]
	s_and_saveexec_b64 s[24:25], vcc
	s_xor_b64 s[60:61], exec, s[24:25]
	s_cbranch_execz .LBB4_1202
; %bb.1193:                             ;   in Loop: Header=BB4_124 Depth=2
	v_and_b32_e32 v4, 0x7fffffff, v3
	v_mov_b32_e32 v5, v55
	v_cmp_gt_u64_e32 vcc, s[46:47], v[4:5]
	s_and_saveexec_b64 s[62:63], vcc
	s_cbranch_execz .LBB4_1201
; %bb.1194:                             ;   in Loop: Header=BB4_124 Depth=2
	v_cmp_ne_u32_e32 vcc, 0, v3
	v_mov_b32_e32 v27, 0
	s_and_saveexec_b64 s[64:65], vcc
	s_cbranch_execz .LBB4_1200
; %bb.1195:                             ;   in Loop: Header=BB4_124 Depth=2
	v_bfe_u32 v2, v3, 23, 8
	v_sub_u32_e32 v4, 0x79, v2
	v_cmp_gt_u32_e32 vcc, s78, v2
	v_add_u32_e32 v3, 0xffffff81, v2
	v_cndmask_b32_e32 v4, 0, v4, vcc
	v_cmp_eq_u32_e32 vcc, 0, v2
	v_mov_b32_e32 v2, 0xffffff82
	v_cndmask_b32_e32 v11, v3, v2, vcc
	v_mov_b32_e32 v2, 0x78
	v_or_b32_e32 v5, 0x800000, v54
	v_cndmask_b32_e32 v4, v4, v2, vcc
	v_cndmask_b32_e32 v54, v5, v54, vcc
	v_add_u32_e32 v2, 20, v4
	v_lshlrev_b64 v[2:3], v2, -1
	v_add_u32_e32 v5, 19, v4
	v_lshrrev_b64 v[8:9], v4, v[54:55]
	v_not_b32_e32 v3, v3
	v_not_b32_e32 v2, v2
	v_lshlrev_b64 v[6:7], v5, 1
	v_lshrrev_b32_e32 v5, 23, v8
	v_and_b32_e32 v3, 0, v3
	v_and_b32_e32 v2, v54, v2
	v_add3_u32 v4, v4, v11, v5
	v_bfe_u32 v5, v8, 20, 1
	v_add_u32_e32 v5, -1, v5
	v_cmp_eq_u64_e32 vcc, v[2:3], v[6:7]
	v_cndmask_b32_e32 v2, 0, v5, vcc
	v_add_u32_e32 v2, v2, v8
	v_and_b32_e32 v2, 0xfffff, v2
	v_add_co_u32_e32 v2, vcc, v2, v8
	v_add_u32_e32 v14, 6, v4
	v_addc_co_u32_e32 v3, vcc, 0, v9, vcc
	v_cmp_ne_u32_e32 vcc, 0, v14
                                        ; implicit-def: $vgpr11
	s_and_saveexec_b64 s[24:25], vcc
	s_xor_b64 s[24:25], exec, s[24:25]
; %bb.1196:                             ;   in Loop: Header=BB4_124 Depth=2
	v_add_u32_e32 v4, 7, v4
	v_cmp_lt_u64_e32 vcc, s[50:51], v[2:3]
	v_cndmask_b32_e32 v11, v14, v4, vcc
	v_cndmask_b32_e64 v4, 0, 1, vcc
	v_lshrrev_b64 v[2:3], v4, v[2:3]
; %bb.1197:                             ;   in Loop: Header=BB4_124 Depth=2
	s_andn2_saveexec_b64 s[24:25], s[24:25]
; %bb.1198:                             ;   in Loop: Header=BB4_124 Depth=2
	v_bfe_u32 v11, v2, 23, 1
; %bb.1199:                             ;   in Loop: Header=BB4_124 Depth=2
	s_or_b64 exec, exec, s[24:25]
	v_lshrrev_b64 v[2:3], 20, v[2:3]
	v_cmp_gt_i32_e32 vcc, 16, v11
	v_cndmask_b32_e32 v3, 0, v3, vcc
	v_cndmask_b32_e32 v2, 7, v2, vcc
	v_cmp_eq_u64_e64 s[24:25], 0, v[2:3]
	v_min_i32_e32 v3, 15, v11
	v_cmp_eq_u32_e32 vcc, 0, v11
	v_lshlrev_b32_e32 v3, 3, v3
	v_and_or_b32 v2, v2, 7, v3
	s_and_b64 s[24:25], vcc, s[24:25]
	v_cndmask_b32_e64 v2, v2, 0, s[24:25]
	v_or_b32_e32 v27, v2, v10
.LBB4_1200:                             ;   in Loop: Header=BB4_124 Depth=2
	s_or_b64 exec, exec, s[64:65]
.LBB4_1201:                             ;   in Loop: Header=BB4_124 Depth=2
	s_or_b64 exec, exec, s[62:63]
                                        ; implicit-def: $vgpr3
.LBB4_1202:                             ;   in Loop: Header=BB4_124 Depth=2
	s_andn2_saveexec_b64 s[24:25], s[60:61]
; %bb.1203:                             ;   in Loop: Header=BB4_124 Depth=2
	v_or_b32_sdwa v2, v3, s76 dst_sel:DWORD dst_unused:UNUSED_PAD src0_sel:BYTE_3 src1_sel:DWORD
	v_cmp_eq_u64_e32 vcc, 0, v[54:55]
	v_cndmask_b32_e32 v27, v2, v27, vcc
; %bb.1204:                             ;   in Loop: Header=BB4_124 Depth=2
	s_or_b64 exec, exec, s[24:25]
	v_lshrrev_b32_e32 v10, 24, v16
	v_lshrrev_b32_e32 v2, 24, v12
	s_and_b64 vcc, exec, s[22:23]
	v_cmp_lt_u32_e64 s[24:25], s49, v16
	s_cbranch_vccnz .LBB4_1218
; %bb.1205:                             ;   in Loop: Header=BB4_124 Depth=2
	v_mov_b32_e32 v11, 0
	v_mov_b32_e32 v3, 0
	s_and_saveexec_b64 s[60:61], s[24:25]
	s_cbranch_execz .LBB4_1211
; %bb.1206:                             ;   in Loop: Header=BB4_124 Depth=2
	v_cmp_ne_u32_e32 vcc, s75, v10
	v_bfrev_b32_e32 v3, 1
	s_and_saveexec_b64 s[62:63], vcc
	s_cbranch_execz .LBB4_1210
; %bb.1207:                             ;   in Loop: Header=BB4_124 Depth=2
	v_bfe_u32 v4, v16, 24, 7
	v_cmp_ne_u32_e32 vcc, s76, v4
	v_mov_b32_e32 v3, 0x7f800001
	s_and_saveexec_b64 s[64:65], vcc
	s_cbranch_execz .LBB4_1209
; %bb.1208:                             ;   in Loop: Header=BB4_124 Depth=2
	v_and_b32_e32 v3, 7, v10
	v_ffbh_u32_e32 v6, v3
	v_min_u32_e32 v8, 32, v6
	v_subrev_u32_e32 v6, 28, v8
	v_lshlrev_b64 v[6:7], v6, v[10:11]
	v_lshrrev_b32_e32 v5, 3, v4
	v_sub_u32_e32 v7, 29, v8
	v_and_b32_e32 v6, 7, v6
	v_cmp_gt_u32_e32 vcc, 8, v4
	v_cndmask_b32_e32 v4, v5, v7, vcc
	v_cndmask_b32_e32 v3, v3, v6, vcc
	v_lshlrev_b32_e32 v5, 24, v10
	v_lshlrev_b32_e32 v3, 20, v3
	v_and_b32_e32 v5, 0x80000000, v5
	v_lshl_add_u32 v4, v4, 23, v0
	v_or3_b32 v3, v5, v4, v3
.LBB4_1209:                             ;   in Loop: Header=BB4_124 Depth=2
	s_or_b64 exec, exec, s[64:65]
.LBB4_1210:                             ;   in Loop: Header=BB4_124 Depth=2
	s_or_b64 exec, exec, s[62:63]
.LBB4_1211:                             ;   in Loop: Header=BB4_124 Depth=2
	s_or_b64 exec, exec, s[60:61]
	v_cmp_lt_u32_e32 vcc, s49, v12
	s_and_saveexec_b64 s[60:61], vcc
	s_cbranch_execz .LBB4_1217
; %bb.1212:                             ;   in Loop: Header=BB4_124 Depth=2
	v_cmp_ne_u32_e32 vcc, s75, v2
	v_bfrev_b32_e32 v11, 1
	s_and_saveexec_b64 s[62:63], vcc
	s_cbranch_execz .LBB4_1216
; %bb.1213:                             ;   in Loop: Header=BB4_124 Depth=2
	v_bfe_u32 v4, v12, 24, 7
	v_cmp_ne_u32_e32 vcc, s76, v4
	v_mov_b32_e32 v11, 0x7f800001
	s_and_saveexec_b64 s[64:65], vcc
	s_cbranch_execz .LBB4_1215
; %bb.1214:                             ;   in Loop: Header=BB4_124 Depth=2
	v_and_b32_e32 v5, 7, v2
	v_ffbh_u32_e32 v6, v5
	v_min_u32_e32 v9, 32, v6
	v_subrev_u32_e32 v6, 28, v9
	v_lshlrev_b64 v[6:7], v6, v[2:3]
	v_lshrrev_b32_e32 v8, 3, v4
	v_sub_u32_e32 v7, 29, v9
	v_and_b32_e32 v6, 7, v6
	v_cmp_gt_u32_e32 vcc, 8, v4
	v_cndmask_b32_e32 v4, v8, v7, vcc
	v_cndmask_b32_e32 v5, v5, v6, vcc
	v_lshlrev_b32_e32 v6, 24, v2
	v_lshlrev_b32_e32 v5, 20, v5
	v_and_b32_e32 v6, 0x80000000, v6
	v_lshl_add_u32 v4, v4, 23, v0
	v_or3_b32 v11, v6, v4, v5
.LBB4_1215:                             ;   in Loop: Header=BB4_124 Depth=2
	s_or_b64 exec, exec, s[64:65]
.LBB4_1216:                             ;   in Loop: Header=BB4_124 Depth=2
	s_or_b64 exec, exec, s[62:63]
.LBB4_1217:                             ;   in Loop: Header=BB4_124 Depth=2
	s_or_b64 exec, exec, s[60:61]
	v_max_f32_e32 v4, v11, v11
	v_max_f32_e32 v3, v3, v3
	;; [unrolled: 1-line block ×3, first 2 shown]
	s_branch .LBB4_1232
.LBB4_1218:                             ;   in Loop: Header=BB4_124 Depth=2
                                        ; implicit-def: $vgpr3
	s_cbranch_execz .LBB4_1232
; %bb.1219:                             ;   in Loop: Header=BB4_124 Depth=2
	v_mov_b32_e32 v11, 0
	v_mov_b32_e32 v3, 0
	s_and_saveexec_b64 s[60:61], s[24:25]
	s_cbranch_execz .LBB4_1225
; %bb.1220:                             ;   in Loop: Header=BB4_124 Depth=2
	v_cmp_ne_u32_e32 vcc, s75, v10
	v_bfrev_b32_e32 v3, 1
	s_and_saveexec_b64 s[24:25], vcc
	s_cbranch_execz .LBB4_1224
; %bb.1221:                             ;   in Loop: Header=BB4_124 Depth=2
	v_bfe_u32 v4, v16, 24, 7
	v_cmp_ne_u32_e32 vcc, s76, v4
	v_mov_b32_e32 v3, 0x7f800001
	s_and_saveexec_b64 s[62:63], vcc
	s_cbranch_execz .LBB4_1223
; %bb.1222:                             ;   in Loop: Header=BB4_124 Depth=2
	v_and_b32_e32 v3, 7, v10
	v_ffbh_u32_e32 v6, v3
	v_min_u32_e32 v8, 32, v6
	v_subrev_u32_e32 v6, 28, v8
	v_lshlrev_b64 v[6:7], v6, v[10:11]
	v_lshrrev_b32_e32 v5, 3, v4
	v_sub_u32_e32 v7, 29, v8
	v_and_b32_e32 v6, 7, v6
	v_cmp_gt_u32_e32 vcc, 8, v4
	v_cndmask_b32_e32 v4, v5, v7, vcc
	v_cndmask_b32_e32 v3, v3, v6, vcc
	v_lshlrev_b32_e32 v5, 24, v10
	v_lshlrev_b32_e32 v3, 20, v3
	v_and_b32_e32 v5, 0x80000000, v5
	v_lshl_add_u32 v4, v4, 23, v0
	v_or3_b32 v3, v5, v4, v3
.LBB4_1223:                             ;   in Loop: Header=BB4_124 Depth=2
	s_or_b64 exec, exec, s[62:63]
.LBB4_1224:                             ;   in Loop: Header=BB4_124 Depth=2
	s_or_b64 exec, exec, s[24:25]
.LBB4_1225:                             ;   in Loop: Header=BB4_124 Depth=2
	s_or_b64 exec, exec, s[60:61]
	v_cmp_lt_u32_e32 vcc, s49, v12
	s_and_saveexec_b64 s[24:25], vcc
	s_cbranch_execz .LBB4_1231
; %bb.1226:                             ;   in Loop: Header=BB4_124 Depth=2
	v_cmp_ne_u32_e32 vcc, s75, v2
	v_bfrev_b32_e32 v11, 1
	s_and_saveexec_b64 s[60:61], vcc
	s_cbranch_execz .LBB4_1230
; %bb.1227:                             ;   in Loop: Header=BB4_124 Depth=2
	v_bfe_u32 v4, v12, 24, 7
	v_cmp_ne_u32_e32 vcc, s76, v4
	v_mov_b32_e32 v11, 0x7f800001
	s_and_saveexec_b64 s[62:63], vcc
	s_cbranch_execz .LBB4_1229
; %bb.1228:                             ;   in Loop: Header=BB4_124 Depth=2
	v_and_b32_e32 v5, 7, v2
	v_ffbh_u32_e32 v6, v5
	v_min_u32_e32 v9, 32, v6
	v_subrev_u32_e32 v6, 28, v9
	v_lshlrev_b64 v[6:7], v6, v[2:3]
	v_lshrrev_b32_e32 v8, 3, v4
	v_sub_u32_e32 v7, 29, v9
	v_and_b32_e32 v6, 7, v6
	v_cmp_gt_u32_e32 vcc, 8, v4
	v_cndmask_b32_e32 v4, v8, v7, vcc
	v_cndmask_b32_e32 v5, v5, v6, vcc
	v_lshlrev_b32_e32 v2, 24, v2
	v_lshlrev_b32_e32 v5, 20, v5
	v_and_b32_e32 v2, 0x80000000, v2
	v_lshl_add_u32 v4, v4, 23, v0
	v_or3_b32 v11, v2, v4, v5
.LBB4_1229:                             ;   in Loop: Header=BB4_124 Depth=2
	s_or_b64 exec, exec, s[62:63]
.LBB4_1230:                             ;   in Loop: Header=BB4_124 Depth=2
	s_or_b64 exec, exec, s[60:61]
.LBB4_1231:                             ;   in Loop: Header=BB4_124 Depth=2
	s_or_b64 exec, exec, s[24:25]
	v_max_f32_e32 v2, v11, v11
	v_max_f32_e32 v3, v3, v3
	v_min_f32_e32 v3, v3, v2
.LBB4_1232:                             ;   in Loop: Header=BB4_124 Depth=2
	v_and_b32_sdwa v10, v3, s75 dst_sel:DWORD dst_unused:UNUSED_PAD src0_sel:BYTE_3 src1_sel:DWORD
	v_and_b32_e32 v4, 0x7f800000, v3
	v_mov_b32_e32 v5, v55
	v_and_b32_e32 v54, 0x7fffff, v3
	v_or_b32_e32 v48, 0x7e, v10
	v_cmp_ne_u64_e32 vcc, s[44:45], v[4:5]
	s_and_saveexec_b64 s[24:25], vcc
	s_xor_b64 s[60:61], exec, s[24:25]
	s_cbranch_execz .LBB4_1242
; %bb.1233:                             ;   in Loop: Header=BB4_124 Depth=2
	v_and_b32_e32 v4, 0x7fffffff, v3
	v_mov_b32_e32 v5, v55
	v_cmp_gt_u64_e32 vcc, s[46:47], v[4:5]
	s_and_saveexec_b64 s[62:63], vcc
	s_cbranch_execz .LBB4_1241
; %bb.1234:                             ;   in Loop: Header=BB4_124 Depth=2
	v_cmp_ne_u32_e32 vcc, 0, v3
	v_mov_b32_e32 v48, 0
	s_and_saveexec_b64 s[64:65], vcc
	s_cbranch_execz .LBB4_1240
; %bb.1235:                             ;   in Loop: Header=BB4_124 Depth=2
	v_bfe_u32 v2, v3, 23, 8
	v_sub_u32_e32 v4, 0x79, v2
	v_cmp_gt_u32_e32 vcc, s78, v2
	v_add_u32_e32 v3, 0xffffff81, v2
	v_cndmask_b32_e32 v4, 0, v4, vcc
	v_cmp_eq_u32_e32 vcc, 0, v2
	v_mov_b32_e32 v2, 0xffffff82
	v_cndmask_b32_e32 v11, v3, v2, vcc
	v_mov_b32_e32 v2, 0x78
	v_or_b32_e32 v5, 0x800000, v54
	v_cndmask_b32_e32 v4, v4, v2, vcc
	v_cndmask_b32_e32 v54, v5, v54, vcc
	v_add_u32_e32 v2, 20, v4
	v_lshlrev_b64 v[2:3], v2, -1
	v_add_u32_e32 v5, 19, v4
	v_lshrrev_b64 v[8:9], v4, v[54:55]
	v_not_b32_e32 v3, v3
	v_not_b32_e32 v2, v2
	v_lshlrev_b64 v[6:7], v5, 1
	v_lshrrev_b32_e32 v5, 23, v8
	v_and_b32_e32 v3, 0, v3
	v_and_b32_e32 v2, v54, v2
	v_add3_u32 v4, v4, v11, v5
	v_bfe_u32 v5, v8, 20, 1
	v_add_u32_e32 v5, -1, v5
	v_cmp_eq_u64_e32 vcc, v[2:3], v[6:7]
	v_cndmask_b32_e32 v2, 0, v5, vcc
	v_add_u32_e32 v2, v2, v8
	v_and_b32_e32 v2, 0xfffff, v2
	v_add_co_u32_e32 v2, vcc, v2, v8
	v_add_u32_e32 v14, 6, v4
	v_addc_co_u32_e32 v3, vcc, 0, v9, vcc
	v_cmp_ne_u32_e32 vcc, 0, v14
                                        ; implicit-def: $vgpr11
	s_and_saveexec_b64 s[24:25], vcc
	s_xor_b64 s[24:25], exec, s[24:25]
; %bb.1236:                             ;   in Loop: Header=BB4_124 Depth=2
	v_add_u32_e32 v4, 7, v4
	v_cmp_lt_u64_e32 vcc, s[50:51], v[2:3]
	v_cndmask_b32_e32 v11, v14, v4, vcc
	v_cndmask_b32_e64 v4, 0, 1, vcc
	v_lshrrev_b64 v[2:3], v4, v[2:3]
; %bb.1237:                             ;   in Loop: Header=BB4_124 Depth=2
	s_andn2_saveexec_b64 s[24:25], s[24:25]
; %bb.1238:                             ;   in Loop: Header=BB4_124 Depth=2
	v_bfe_u32 v11, v2, 23, 1
; %bb.1239:                             ;   in Loop: Header=BB4_124 Depth=2
	s_or_b64 exec, exec, s[24:25]
	v_lshrrev_b64 v[2:3], 20, v[2:3]
	v_cmp_gt_i32_e32 vcc, 16, v11
	v_cndmask_b32_e32 v3, 0, v3, vcc
	v_cndmask_b32_e32 v2, 7, v2, vcc
	v_cmp_eq_u64_e64 s[24:25], 0, v[2:3]
	v_min_i32_e32 v3, 15, v11
	v_cmp_eq_u32_e32 vcc, 0, v11
	v_lshlrev_b32_e32 v3, 3, v3
	v_and_or_b32 v2, v2, 7, v3
	s_and_b64 s[24:25], vcc, s[24:25]
	v_cndmask_b32_e64 v2, v2, 0, s[24:25]
	v_or_b32_e32 v48, v2, v10
.LBB4_1240:                             ;   in Loop: Header=BB4_124 Depth=2
	s_or_b64 exec, exec, s[64:65]
.LBB4_1241:                             ;   in Loop: Header=BB4_124 Depth=2
	s_or_b64 exec, exec, s[62:63]
                                        ; implicit-def: $vgpr3
.LBB4_1242:                             ;   in Loop: Header=BB4_124 Depth=2
	s_andn2_saveexec_b64 s[24:25], s[60:61]
; %bb.1243:                             ;   in Loop: Header=BB4_124 Depth=2
	v_or_b32_sdwa v2, v3, s76 dst_sel:DWORD dst_unused:UNUSED_PAD src0_sel:BYTE_3 src1_sel:DWORD
	v_cmp_eq_u64_e32 vcc, 0, v[54:55]
	v_cndmask_b32_e32 v48, v2, v48, vcc
; %bb.1244:                             ;   in Loop: Header=BB4_124 Depth=2
	s_or_b64 exec, exec, s[24:25]
	v_mov_b32_e32 v54, v17
	v_mov_b32_e32 v2, v13
	;; [unrolled: 1-line block ×3, first 2 shown]
	s_and_b64 vcc, exec, s[22:23]
	v_cmp_ne_u16_sdwa s[24:25], v17, v55 src0_sel:BYTE_0 src1_sel:DWORD
	s_cbranch_vccnz .LBB4_1258
; %bb.1245:                             ;   in Loop: Header=BB4_124 Depth=2
	v_mov_b32_e32 v11, 0
	v_mov_b32_e32 v10, 0
	s_and_saveexec_b64 s[60:61], s[24:25]
	s_cbranch_execz .LBB4_1251
; %bb.1246:                             ;   in Loop: Header=BB4_124 Depth=2
	v_cmp_ne_u16_sdwa vcc, v17, s75 src0_sel:BYTE_0 src1_sel:DWORD
	v_bfrev_b32_e32 v10, 1
	s_and_saveexec_b64 s[62:63], vcc
	s_cbranch_execz .LBB4_1250
; %bb.1247:                             ;   in Loop: Header=BB4_124 Depth=2
	v_and_b32_e32 v4, 0x7f, v17
	v_cmp_ne_u32_e32 vcc, s76, v4
	v_mov_b32_e32 v10, 0x7f800001
	s_and_saveexec_b64 s[64:65], vcc
	s_cbranch_execz .LBB4_1249
; %bb.1248:                             ;   in Loop: Header=BB4_124 Depth=2
	v_and_b32_e32 v5, 7, v17
	v_ffbh_u32_e32 v5, v5
	v_min_u32_e32 v5, 32, v5
	v_subrev_u32_e32 v7, 28, v5
	v_cmp_gt_u32_e32 vcc, 8, v4
	v_lshrrev_b32_e32 v6, 3, v4
	v_sub_u32_e32 v5, 29, v5
	v_cndmask_b32_e32 v4, 0, v7, vcc
	v_cndmask_b32_e32 v6, v6, v5, vcc
	v_lshlrev_b64 v[4:5], v4, v[54:55]
	v_lshlrev_b32_e32 v4, 20, v4
	v_lshlrev_b32_e32 v5, 24, v54
	v_and_b32_e32 v4, 0x700000, v4
	v_and_b32_e32 v5, 0x80000000, v5
	v_lshl_add_u32 v6, v6, 23, v0
	v_or3_b32 v10, v5, v6, v4
.LBB4_1249:                             ;   in Loop: Header=BB4_124 Depth=2
	s_or_b64 exec, exec, s[64:65]
.LBB4_1250:                             ;   in Loop: Header=BB4_124 Depth=2
	s_or_b64 exec, exec, s[62:63]
.LBB4_1251:                             ;   in Loop: Header=BB4_124 Depth=2
	s_or_b64 exec, exec, s[60:61]
	v_cmp_ne_u16_sdwa vcc, v13, v55 src0_sel:BYTE_0 src1_sel:DWORD
	s_and_saveexec_b64 s[60:61], vcc
	s_cbranch_execz .LBB4_1257
; %bb.1252:                             ;   in Loop: Header=BB4_124 Depth=2
	v_cmp_ne_u16_sdwa vcc, v13, s75 src0_sel:BYTE_0 src1_sel:DWORD
	v_bfrev_b32_e32 v11, 1
	s_and_saveexec_b64 s[62:63], vcc
	s_cbranch_execz .LBB4_1256
; %bb.1253:                             ;   in Loop: Header=BB4_124 Depth=2
	v_and_b32_e32 v4, 0x7f, v13
	v_cmp_ne_u32_e32 vcc, s76, v4
	v_mov_b32_e32 v11, 0x7f800001
	s_and_saveexec_b64 s[64:65], vcc
	s_cbranch_execz .LBB4_1255
; %bb.1254:                             ;   in Loop: Header=BB4_124 Depth=2
	v_and_b32_e32 v5, 7, v13
	v_ffbh_u32_e32 v5, v5
	v_min_u32_e32 v5, 32, v5
	v_subrev_u32_e32 v7, 28, v5
	v_cmp_gt_u32_e32 vcc, 8, v4
	v_lshrrev_b32_e32 v6, 3, v4
	v_sub_u32_e32 v5, 29, v5
	v_cndmask_b32_e32 v4, 0, v7, vcc
	v_cndmask_b32_e32 v6, v6, v5, vcc
	v_lshlrev_b64 v[4:5], v4, v[2:3]
	v_lshlrev_b32_e32 v4, 20, v4
	v_lshlrev_b32_e32 v5, 24, v2
	v_and_b32_e32 v4, 0x700000, v4
	v_and_b32_e32 v5, 0x80000000, v5
	v_lshl_add_u32 v6, v6, 23, v0
	v_or3_b32 v11, v5, v6, v4
.LBB4_1255:                             ;   in Loop: Header=BB4_124 Depth=2
	s_or_b64 exec, exec, s[64:65]
.LBB4_1256:                             ;   in Loop: Header=BB4_124 Depth=2
	s_or_b64 exec, exec, s[62:63]
.LBB4_1257:                             ;   in Loop: Header=BB4_124 Depth=2
	s_or_b64 exec, exec, s[60:61]
	v_max_f32_e32 v4, v11, v11
	v_max_f32_e32 v5, v10, v10
	;; [unrolled: 1-line block ×3, first 2 shown]
	s_branch .LBB4_1272
.LBB4_1258:                             ;   in Loop: Header=BB4_124 Depth=2
                                        ; implicit-def: $vgpr14
	s_cbranch_execz .LBB4_1272
; %bb.1259:                             ;   in Loop: Header=BB4_124 Depth=2
	v_mov_b32_e32 v11, 0
	v_mov_b32_e32 v10, 0
	s_and_saveexec_b64 s[60:61], s[24:25]
	s_cbranch_execz .LBB4_1265
; %bb.1260:                             ;   in Loop: Header=BB4_124 Depth=2
	v_cmp_ne_u16_sdwa vcc, v17, s75 src0_sel:BYTE_0 src1_sel:DWORD
	v_bfrev_b32_e32 v10, 1
	s_and_saveexec_b64 s[24:25], vcc
	s_cbranch_execz .LBB4_1264
; %bb.1261:                             ;   in Loop: Header=BB4_124 Depth=2
	v_and_b32_e32 v4, 0x7f, v17
	v_cmp_ne_u32_e32 vcc, s76, v4
	v_mov_b32_e32 v10, 0x7f800001
	s_and_saveexec_b64 s[62:63], vcc
	s_cbranch_execz .LBB4_1263
; %bb.1262:                             ;   in Loop: Header=BB4_124 Depth=2
	v_and_b32_e32 v5, 7, v17
	v_ffbh_u32_e32 v5, v5
	v_min_u32_e32 v5, 32, v5
	v_subrev_u32_e32 v7, 28, v5
	v_cmp_gt_u32_e32 vcc, 8, v4
	v_lshrrev_b32_e32 v6, 3, v4
	v_sub_u32_e32 v5, 29, v5
	v_cndmask_b32_e32 v4, 0, v7, vcc
	v_cndmask_b32_e32 v6, v6, v5, vcc
	v_lshlrev_b64 v[4:5], v4, v[54:55]
	v_lshlrev_b32_e32 v4, 20, v4
	v_lshlrev_b32_e32 v5, 24, v54
	v_and_b32_e32 v4, 0x700000, v4
	v_and_b32_e32 v5, 0x80000000, v5
	v_lshl_add_u32 v6, v6, 23, v0
	v_or3_b32 v10, v5, v6, v4
.LBB4_1263:                             ;   in Loop: Header=BB4_124 Depth=2
	s_or_b64 exec, exec, s[62:63]
.LBB4_1264:                             ;   in Loop: Header=BB4_124 Depth=2
	s_or_b64 exec, exec, s[24:25]
.LBB4_1265:                             ;   in Loop: Header=BB4_124 Depth=2
	s_or_b64 exec, exec, s[60:61]
	v_cmp_ne_u16_sdwa vcc, v13, v55 src0_sel:BYTE_0 src1_sel:DWORD
	s_and_saveexec_b64 s[24:25], vcc
	s_cbranch_execz .LBB4_1271
; %bb.1266:                             ;   in Loop: Header=BB4_124 Depth=2
	v_cmp_ne_u16_sdwa vcc, v13, s75 src0_sel:BYTE_0 src1_sel:DWORD
	v_bfrev_b32_e32 v11, 1
	s_and_saveexec_b64 s[60:61], vcc
	s_cbranch_execz .LBB4_1270
; %bb.1267:                             ;   in Loop: Header=BB4_124 Depth=2
	v_and_b32_e32 v4, 0x7f, v13
	v_cmp_ne_u32_e32 vcc, s76, v4
	v_mov_b32_e32 v11, 0x7f800001
	s_and_saveexec_b64 s[62:63], vcc
	s_cbranch_execz .LBB4_1269
; %bb.1268:                             ;   in Loop: Header=BB4_124 Depth=2
	v_and_b32_e32 v5, 7, v13
	v_ffbh_u32_e32 v5, v5
	v_min_u32_e32 v5, 32, v5
	v_subrev_u32_e32 v7, 28, v5
	v_cmp_gt_u32_e32 vcc, 8, v4
	v_lshrrev_b32_e32 v6, 3, v4
	v_sub_u32_e32 v5, 29, v5
	v_cndmask_b32_e32 v4, 0, v7, vcc
	v_cndmask_b32_e32 v6, v6, v5, vcc
	v_lshlrev_b64 v[4:5], v4, v[2:3]
	v_lshlrev_b32_e32 v3, 20, v4
	v_lshlrev_b32_e32 v4, 24, v2
	v_and_b32_e32 v3, 0x700000, v3
	v_and_b32_e32 v4, 0x80000000, v4
	v_lshl_add_u32 v5, v6, 23, v0
	v_or3_b32 v11, v4, v5, v3
.LBB4_1269:                             ;   in Loop: Header=BB4_124 Depth=2
	s_or_b64 exec, exec, s[62:63]
.LBB4_1270:                             ;   in Loop: Header=BB4_124 Depth=2
	s_or_b64 exec, exec, s[60:61]
.LBB4_1271:                             ;   in Loop: Header=BB4_124 Depth=2
	s_or_b64 exec, exec, s[24:25]
	v_max_f32_e32 v3, v11, v11
	v_max_f32_e32 v4, v10, v10
	v_min_f32_e32 v14, v4, v3
.LBB4_1272:                             ;   in Loop: Header=BB4_124 Depth=2
	v_and_b32_sdwa v3, v14, s75 dst_sel:DWORD dst_unused:UNUSED_PAD src0_sel:BYTE_3 src1_sel:DWORD
	v_and_b32_e32 v4, 0x7f800000, v14
	v_mov_b32_e32 v5, v55
	v_and_b32_e32 v10, 0x7fffff, v14
	v_mov_b32_e32 v11, v55
	v_or_b32_e32 v49, 0x7e, v3
	v_cmp_ne_u64_e32 vcc, s[44:45], v[4:5]
	s_and_saveexec_b64 s[24:25], vcc
	s_xor_b64 s[60:61], exec, s[24:25]
	s_cbranch_execz .LBB4_1282
; %bb.1273:                             ;   in Loop: Header=BB4_124 Depth=2
	v_and_b32_e32 v4, 0x7fffffff, v14
	v_mov_b32_e32 v5, v55
	v_cmp_gt_u64_e32 vcc, s[46:47], v[4:5]
	s_and_saveexec_b64 s[62:63], vcc
	s_cbranch_execz .LBB4_1281
; %bb.1274:                             ;   in Loop: Header=BB4_124 Depth=2
	v_cmp_ne_u32_e32 vcc, 0, v14
	v_mov_b32_e32 v49, 0
	s_and_saveexec_b64 s[64:65], vcc
	s_cbranch_execz .LBB4_1280
; %bb.1275:                             ;   in Loop: Header=BB4_124 Depth=2
	v_bfe_u32 v4, v14, 23, 8
	v_sub_u32_e32 v6, 0x79, v4
	v_cmp_gt_u32_e32 vcc, s78, v4
	v_add_u32_e32 v5, 0xffffff81, v4
	v_cndmask_b32_e32 v6, 0, v6, vcc
	v_cmp_eq_u32_e32 vcc, 0, v4
	v_mov_b32_e32 v4, 0xffffff82
	v_cndmask_b32_e32 v14, v5, v4, vcc
	v_mov_b32_e32 v4, 0x78
	v_cndmask_b32_e32 v38, v6, v4, vcc
	v_add_u32_e32 v4, 20, v38
	v_or_b32_e32 v7, 0x800000, v10
	v_lshlrev_b64 v[4:5], v4, -1
	v_cndmask_b32_e32 v10, v7, v10, vcc
	v_not_b32_e32 v4, v4
	v_not_b32_e32 v5, v5
	v_and_b32_e32 v6, v10, v4
	v_add_u32_e32 v4, 19, v38
	v_lshrrev_b64 v[10:11], v38, v[10:11]
	v_and_b32_e32 v7, 0, v5
	v_lshlrev_b64 v[8:9], v4, 1
	v_bfe_u32 v5, v10, 20, 1
	v_add_u32_e32 v5, -1, v5
	v_cmp_eq_u64_e32 vcc, v[6:7], v[8:9]
	v_cndmask_b32_e32 v5, 0, v5, vcc
	v_add_u32_e32 v5, v5, v10
	v_lshrrev_b32_e32 v4, 23, v10
	v_and_b32_e32 v5, 0xfffff, v5
	v_add3_u32 v4, v38, v14, v4
	v_add_co_u32_e32 v10, vcc, v5, v10
	v_add_u32_e32 v49, 6, v4
	v_addc_co_u32_e32 v11, vcc, 0, v11, vcc
	v_cmp_ne_u32_e32 vcc, 0, v49
                                        ; implicit-def: $vgpr14
	s_and_saveexec_b64 s[24:25], vcc
	s_xor_b64 s[24:25], exec, s[24:25]
; %bb.1276:                             ;   in Loop: Header=BB4_124 Depth=2
	v_add_u32_e32 v4, 7, v4
	v_cmp_lt_u64_e32 vcc, s[50:51], v[10:11]
	v_cndmask_b32_e32 v14, v49, v4, vcc
	v_cndmask_b32_e64 v4, 0, 1, vcc
	v_lshrrev_b64 v[10:11], v4, v[10:11]
; %bb.1277:                             ;   in Loop: Header=BB4_124 Depth=2
	s_andn2_saveexec_b64 s[24:25], s[24:25]
; %bb.1278:                             ;   in Loop: Header=BB4_124 Depth=2
	v_bfe_u32 v14, v10, 23, 1
; %bb.1279:                             ;   in Loop: Header=BB4_124 Depth=2
	s_or_b64 exec, exec, s[24:25]
	v_lshrrev_b64 v[4:5], 20, v[10:11]
	v_cmp_gt_i32_e32 vcc, 16, v14
	v_cndmask_b32_e32 v5, 0, v5, vcc
	v_cndmask_b32_e32 v4, 7, v4, vcc
	v_cmp_eq_u64_e64 s[24:25], 0, v[4:5]
	v_min_i32_e32 v5, 15, v14
	v_cmp_eq_u32_e32 vcc, 0, v14
	v_lshlrev_b32_e32 v5, 3, v5
	v_and_or_b32 v4, v4, 7, v5
	s_and_b64 s[24:25], vcc, s[24:25]
	v_cndmask_b32_e64 v4, v4, 0, s[24:25]
	v_or_b32_e32 v49, v4, v3
	v_accvgpr_read_b32 v38, a30
.LBB4_1280:                             ;   in Loop: Header=BB4_124 Depth=2
	s_or_b64 exec, exec, s[64:65]
.LBB4_1281:                             ;   in Loop: Header=BB4_124 Depth=2
	s_or_b64 exec, exec, s[62:63]
                                        ; implicit-def: $vgpr14
                                        ; implicit-def: $vgpr10_vgpr11
.LBB4_1282:                             ;   in Loop: Header=BB4_124 Depth=2
	s_andn2_saveexec_b64 s[24:25], s[60:61]
; %bb.1283:                             ;   in Loop: Header=BB4_124 Depth=2
	v_or_b32_sdwa v3, v14, s76 dst_sel:DWORD dst_unused:UNUSED_PAD src0_sel:BYTE_3 src1_sel:DWORD
	v_cmp_eq_u64_e32 vcc, 0, v[10:11]
	v_cndmask_b32_e32 v49, v3, v49, vcc
; %bb.1284:                             ;   in Loop: Header=BB4_124 Depth=2
	s_or_b64 exec, exec, s[24:25]
	v_lshrrev_b16_e32 v14, 8, v54
	v_lshrrev_b16_e32 v10, 8, v2
	s_and_b64 vcc, exec, s[22:23]
	v_cmp_ne_u16_e64 s[24:25], 0, v14
	s_cbranch_vccnz .LBB4_1298
; %bb.1285:                             ;   in Loop: Header=BB4_124 Depth=2
	v_mov_b32_e32 v11, 0
	v_mov_b32_e32 v3, 0
	s_and_saveexec_b64 s[60:61], s[24:25]
	s_cbranch_execz .LBB4_1291
; %bb.1286:                             ;   in Loop: Header=BB4_124 Depth=2
	v_cmp_ne_u16_e32 vcc, s75, v14
	v_bfrev_b32_e32 v3, 1
	s_and_saveexec_b64 s[62:63], vcc
	s_cbranch_execz .LBB4_1290
; %bb.1287:                             ;   in Loop: Header=BB4_124 Depth=2
	v_and_b32_e32 v4, 0x7f, v14
	v_cmp_ne_u32_e32 vcc, s76, v4
	v_mov_b32_e32 v3, 0x7f800001
	s_and_saveexec_b64 s[64:65], vcc
	s_cbranch_execz .LBB4_1289
; %bb.1288:                             ;   in Loop: Header=BB4_124 Depth=2
	v_and_b32_e32 v3, 7, v14
	v_ffbh_u32_e32 v6, v3
	v_min_u32_e32 v8, 32, v6
	v_subrev_u32_e32 v6, 28, v8
	v_lshlrev_b64 v[6:7], v6, v[14:15]
	v_lshrrev_b32_e32 v5, 3, v4
	v_sub_u32_e32 v7, 29, v8
	v_and_b32_e32 v6, 7, v6
	v_cmp_gt_u32_e32 vcc, 8, v4
	v_cndmask_b32_e32 v4, v5, v7, vcc
	v_cndmask_b32_e32 v3, v3, v6, vcc
	v_lshlrev_b32_e32 v5, 16, v54
	v_lshlrev_b32_e32 v3, 20, v3
	v_and_b32_e32 v5, 0x80000000, v5
	v_lshl_add_u32 v4, v4, 23, v0
	v_or3_b32 v3, v5, v4, v3
.LBB4_1289:                             ;   in Loop: Header=BB4_124 Depth=2
	s_or_b64 exec, exec, s[64:65]
.LBB4_1290:                             ;   in Loop: Header=BB4_124 Depth=2
	s_or_b64 exec, exec, s[62:63]
.LBB4_1291:                             ;   in Loop: Header=BB4_124 Depth=2
	s_or_b64 exec, exec, s[60:61]
	v_cmp_ne_u16_e32 vcc, 0, v10
	s_and_saveexec_b64 s[60:61], vcc
	s_cbranch_execz .LBB4_1297
; %bb.1292:                             ;   in Loop: Header=BB4_124 Depth=2
	v_cmp_ne_u16_e32 vcc, s75, v10
	v_bfrev_b32_e32 v11, 1
	s_and_saveexec_b64 s[62:63], vcc
	s_cbranch_execz .LBB4_1296
; %bb.1293:                             ;   in Loop: Header=BB4_124 Depth=2
	v_and_b32_e32 v4, 0x7f, v10
	v_cmp_ne_u32_e32 vcc, s76, v4
	v_mov_b32_e32 v11, 0x7f800001
	s_and_saveexec_b64 s[64:65], vcc
	s_cbranch_execz .LBB4_1295
; %bb.1294:                             ;   in Loop: Header=BB4_124 Depth=2
	v_and_b32_e32 v5, 7, v10
	v_ffbh_u32_e32 v6, v5
	v_min_u32_e32 v9, 32, v6
	v_subrev_u32_e32 v6, 28, v9
	v_lshlrev_b64 v[6:7], v6, v[10:11]
	v_lshrrev_b32_e32 v8, 3, v4
	v_sub_u32_e32 v7, 29, v9
	v_and_b32_e32 v6, 7, v6
	v_cmp_gt_u32_e32 vcc, 8, v4
	v_cndmask_b32_e32 v4, v8, v7, vcc
	v_cndmask_b32_e32 v5, v5, v6, vcc
	v_lshlrev_b32_e32 v6, 16, v2
	v_lshlrev_b32_e32 v5, 20, v5
	v_and_b32_e32 v6, 0x80000000, v6
	v_lshl_add_u32 v4, v4, 23, v0
	v_or3_b32 v11, v6, v4, v5
.LBB4_1295:                             ;   in Loop: Header=BB4_124 Depth=2
	s_or_b64 exec, exec, s[64:65]
.LBB4_1296:                             ;   in Loop: Header=BB4_124 Depth=2
	s_or_b64 exec, exec, s[62:63]
.LBB4_1297:                             ;   in Loop: Header=BB4_124 Depth=2
	s_or_b64 exec, exec, s[60:61]
	v_max_f32_e32 v4, v11, v11
	v_max_f32_e32 v3, v3, v3
	;; [unrolled: 1-line block ×3, first 2 shown]
	s_branch .LBB4_1312
.LBB4_1298:                             ;   in Loop: Header=BB4_124 Depth=2
                                        ; implicit-def: $vgpr3
	s_cbranch_execz .LBB4_1312
; %bb.1299:                             ;   in Loop: Header=BB4_124 Depth=2
	v_mov_b32_e32 v11, 0
	v_mov_b32_e32 v3, 0
	s_and_saveexec_b64 s[60:61], s[24:25]
	s_cbranch_execz .LBB4_1305
; %bb.1300:                             ;   in Loop: Header=BB4_124 Depth=2
	v_cmp_ne_u16_e32 vcc, s75, v14
	v_bfrev_b32_e32 v3, 1
	s_and_saveexec_b64 s[24:25], vcc
	s_cbranch_execz .LBB4_1304
; %bb.1301:                             ;   in Loop: Header=BB4_124 Depth=2
	v_and_b32_e32 v4, 0x7f, v14
	v_cmp_ne_u32_e32 vcc, s76, v4
	v_mov_b32_e32 v3, 0x7f800001
	s_and_saveexec_b64 s[62:63], vcc
	s_cbranch_execz .LBB4_1303
; %bb.1302:                             ;   in Loop: Header=BB4_124 Depth=2
	v_and_b32_e32 v3, 7, v14
	v_ffbh_u32_e32 v6, v3
	v_min_u32_e32 v8, 32, v6
	v_subrev_u32_e32 v6, 28, v8
	v_lshlrev_b64 v[6:7], v6, v[14:15]
	v_lshrrev_b32_e32 v5, 3, v4
	v_sub_u32_e32 v7, 29, v8
	v_and_b32_e32 v6, 7, v6
	v_cmp_gt_u32_e32 vcc, 8, v4
	v_cndmask_b32_e32 v4, v5, v7, vcc
	v_cndmask_b32_e32 v3, v3, v6, vcc
	v_lshlrev_b32_e32 v5, 16, v54
	v_lshlrev_b32_e32 v3, 20, v3
	v_and_b32_e32 v5, 0x80000000, v5
	v_lshl_add_u32 v4, v4, 23, v0
	v_or3_b32 v3, v5, v4, v3
.LBB4_1303:                             ;   in Loop: Header=BB4_124 Depth=2
	s_or_b64 exec, exec, s[62:63]
.LBB4_1304:                             ;   in Loop: Header=BB4_124 Depth=2
	s_or_b64 exec, exec, s[24:25]
.LBB4_1305:                             ;   in Loop: Header=BB4_124 Depth=2
	s_or_b64 exec, exec, s[60:61]
	v_cmp_ne_u16_e32 vcc, 0, v10
	s_and_saveexec_b64 s[24:25], vcc
	s_cbranch_execz .LBB4_1311
; %bb.1306:                             ;   in Loop: Header=BB4_124 Depth=2
	v_cmp_ne_u16_e32 vcc, s75, v10
	v_bfrev_b32_e32 v11, 1
	s_and_saveexec_b64 s[60:61], vcc
	s_cbranch_execz .LBB4_1310
; %bb.1307:                             ;   in Loop: Header=BB4_124 Depth=2
	v_and_b32_e32 v4, 0x7f, v10
	v_cmp_ne_u32_e32 vcc, s76, v4
	v_mov_b32_e32 v11, 0x7f800001
	s_and_saveexec_b64 s[62:63], vcc
	s_cbranch_execz .LBB4_1309
; %bb.1308:                             ;   in Loop: Header=BB4_124 Depth=2
	v_and_b32_e32 v5, 7, v10
	v_ffbh_u32_e32 v6, v5
	v_min_u32_e32 v9, 32, v6
	v_subrev_u32_e32 v6, 28, v9
	v_lshlrev_b64 v[6:7], v6, v[10:11]
	v_lshrrev_b32_e32 v8, 3, v4
	v_sub_u32_e32 v7, 29, v9
	v_and_b32_e32 v6, 7, v6
	v_cmp_gt_u32_e32 vcc, 8, v4
	v_cndmask_b32_e32 v4, v8, v7, vcc
	v_cndmask_b32_e32 v5, v5, v6, vcc
	v_lshlrev_b32_e32 v2, 16, v2
	v_lshlrev_b32_e32 v5, 20, v5
	v_and_b32_e32 v2, 0x80000000, v2
	v_lshl_add_u32 v4, v4, 23, v0
	v_or3_b32 v11, v2, v4, v5
.LBB4_1309:                             ;   in Loop: Header=BB4_124 Depth=2
	s_or_b64 exec, exec, s[62:63]
.LBB4_1310:                             ;   in Loop: Header=BB4_124 Depth=2
	s_or_b64 exec, exec, s[60:61]
.LBB4_1311:                             ;   in Loop: Header=BB4_124 Depth=2
	s_or_b64 exec, exec, s[24:25]
	v_max_f32_e32 v2, v11, v11
	v_max_f32_e32 v3, v3, v3
	v_min_f32_e32 v3, v3, v2
.LBB4_1312:                             ;   in Loop: Header=BB4_124 Depth=2
	v_and_b32_sdwa v10, v3, s75 dst_sel:DWORD dst_unused:UNUSED_PAD src0_sel:BYTE_3 src1_sel:DWORD
	v_and_b32_e32 v4, 0x7f800000, v3
	v_mov_b32_e32 v5, v55
	v_and_b32_e32 v54, 0x7fffff, v3
	v_or_b32_e32 v11, 0x7e, v10
	v_cmp_ne_u64_e32 vcc, s[44:45], v[4:5]
	s_and_saveexec_b64 s[24:25], vcc
	s_xor_b64 s[60:61], exec, s[24:25]
	s_cbranch_execz .LBB4_1322
; %bb.1313:                             ;   in Loop: Header=BB4_124 Depth=2
	v_and_b32_e32 v4, 0x7fffffff, v3
	v_mov_b32_e32 v5, v55
	v_cmp_gt_u64_e32 vcc, s[46:47], v[4:5]
	s_and_saveexec_b64 s[62:63], vcc
	s_cbranch_execz .LBB4_1321
; %bb.1314:                             ;   in Loop: Header=BB4_124 Depth=2
	v_cmp_ne_u32_e32 vcc, 0, v3
	v_mov_b32_e32 v11, 0
	s_and_saveexec_b64 s[64:65], vcc
	s_cbranch_execz .LBB4_1320
; %bb.1315:                             ;   in Loop: Header=BB4_124 Depth=2
	v_bfe_u32 v2, v3, 23, 8
	v_sub_u32_e32 v4, 0x79, v2
	v_cmp_gt_u32_e32 vcc, s78, v2
	v_add_u32_e32 v3, 0xffffff81, v2
	v_cndmask_b32_e32 v4, 0, v4, vcc
	v_cmp_eq_u32_e32 vcc, 0, v2
	v_mov_b32_e32 v2, 0xffffff82
	v_cndmask_b32_e32 v11, v3, v2, vcc
	v_mov_b32_e32 v2, 0x78
	v_or_b32_e32 v5, 0x800000, v54
	v_cndmask_b32_e32 v4, v4, v2, vcc
	v_cndmask_b32_e32 v54, v5, v54, vcc
	v_add_u32_e32 v2, 20, v4
	v_lshlrev_b64 v[2:3], v2, -1
	v_add_u32_e32 v5, 19, v4
	v_lshrrev_b64 v[8:9], v4, v[54:55]
	v_not_b32_e32 v3, v3
	v_not_b32_e32 v2, v2
	v_lshlrev_b64 v[6:7], v5, 1
	v_lshrrev_b32_e32 v5, 23, v8
	v_and_b32_e32 v3, 0, v3
	v_and_b32_e32 v2, v54, v2
	v_add3_u32 v4, v4, v11, v5
	v_bfe_u32 v5, v8, 20, 1
	v_add_u32_e32 v5, -1, v5
	v_cmp_eq_u64_e32 vcc, v[2:3], v[6:7]
	v_cndmask_b32_e32 v2, 0, v5, vcc
	v_add_u32_e32 v2, v2, v8
	v_and_b32_e32 v2, 0xfffff, v2
	v_add_co_u32_e32 v2, vcc, v2, v8
	v_add_u32_e32 v14, 6, v4
	v_addc_co_u32_e32 v3, vcc, 0, v9, vcc
	v_cmp_ne_u32_e32 vcc, 0, v14
                                        ; implicit-def: $vgpr11
	s_and_saveexec_b64 s[24:25], vcc
	s_xor_b64 s[24:25], exec, s[24:25]
; %bb.1316:                             ;   in Loop: Header=BB4_124 Depth=2
	v_add_u32_e32 v4, 7, v4
	v_cmp_lt_u64_e32 vcc, s[50:51], v[2:3]
	v_cndmask_b32_e32 v11, v14, v4, vcc
	v_cndmask_b32_e64 v4, 0, 1, vcc
	v_lshrrev_b64 v[2:3], v4, v[2:3]
; %bb.1317:                             ;   in Loop: Header=BB4_124 Depth=2
	s_andn2_saveexec_b64 s[24:25], s[24:25]
; %bb.1318:                             ;   in Loop: Header=BB4_124 Depth=2
	v_bfe_u32 v11, v2, 23, 1
; %bb.1319:                             ;   in Loop: Header=BB4_124 Depth=2
	s_or_b64 exec, exec, s[24:25]
	v_lshrrev_b64 v[2:3], 20, v[2:3]
	v_cmp_gt_i32_e32 vcc, 16, v11
	v_cndmask_b32_e32 v3, 0, v3, vcc
	v_cndmask_b32_e32 v2, 7, v2, vcc
	v_cmp_eq_u64_e64 s[24:25], 0, v[2:3]
	v_min_i32_e32 v3, 15, v11
	v_cmp_eq_u32_e32 vcc, 0, v11
	v_lshlrev_b32_e32 v3, 3, v3
	v_and_or_b32 v2, v2, 7, v3
	s_and_b64 s[24:25], vcc, s[24:25]
	v_cndmask_b32_e64 v2, v2, 0, s[24:25]
	v_or_b32_e32 v11, v2, v10
.LBB4_1320:                             ;   in Loop: Header=BB4_124 Depth=2
	s_or_b64 exec, exec, s[64:65]
.LBB4_1321:                             ;   in Loop: Header=BB4_124 Depth=2
	s_or_b64 exec, exec, s[62:63]
                                        ; implicit-def: $vgpr3
.LBB4_1322:                             ;   in Loop: Header=BB4_124 Depth=2
	s_andn2_saveexec_b64 s[24:25], s[60:61]
; %bb.1323:                             ;   in Loop: Header=BB4_124 Depth=2
	v_or_b32_sdwa v2, v3, s76 dst_sel:DWORD dst_unused:UNUSED_PAD src0_sel:BYTE_3 src1_sel:DWORD
	v_cmp_eq_u64_e32 vcc, 0, v[54:55]
	v_cndmask_b32_e32 v11, v2, v11, vcc
; %bb.1324:                             ;   in Loop: Header=BB4_124 Depth=2
	s_or_b64 exec, exec, s[24:25]
	v_lshrrev_b32_e32 v10, 16, v17
	v_lshrrev_b32_e32 v2, 16, v13
	s_and_b64 vcc, exec, s[22:23]
	v_cmp_ne_u16_sdwa s[24:25], v10, v55 src0_sel:BYTE_0 src1_sel:DWORD
	s_cbranch_vccnz .LBB4_1338
; %bb.1325:                             ;   in Loop: Header=BB4_124 Depth=2
	v_mov_b32_e32 v14, 0
	v_mov_b32_e32 v3, 0
	s_and_saveexec_b64 s[60:61], s[24:25]
	s_cbranch_execz .LBB4_1331
; %bb.1326:                             ;   in Loop: Header=BB4_124 Depth=2
	v_cmp_ne_u16_sdwa vcc, v10, s75 src0_sel:BYTE_0 src1_sel:DWORD
	v_bfrev_b32_e32 v3, 1
	s_and_saveexec_b64 s[62:63], vcc
	s_cbranch_execz .LBB4_1330
; %bb.1327:                             ;   in Loop: Header=BB4_124 Depth=2
	v_bfe_u32 v4, v17, 16, 7
	v_cmp_ne_u32_e32 vcc, s76, v4
	v_mov_b32_e32 v3, 0x7f800001
	s_and_saveexec_b64 s[64:65], vcc
	s_cbranch_execz .LBB4_1329
; %bb.1328:                             ;   in Loop: Header=BB4_124 Depth=2
	v_and_b32_e32 v3, 7, v10
	v_ffbh_u32_e32 v6, v3
	v_min_u32_e32 v8, 32, v6
	v_subrev_u32_e32 v6, 28, v8
	v_lshlrev_b64 v[6:7], v6, v[10:11]
	v_lshrrev_b32_e32 v5, 3, v4
	v_sub_u32_e32 v7, 29, v8
	v_and_b32_e32 v6, 7, v6
	v_cmp_gt_u32_e32 vcc, 8, v4
	v_cndmask_b32_e32 v4, v5, v7, vcc
	v_cndmask_b32_e32 v3, v3, v6, vcc
	v_lshlrev_b32_e32 v5, 24, v10
	v_lshlrev_b32_e32 v3, 20, v3
	v_and_b32_e32 v5, 0x80000000, v5
	v_lshl_add_u32 v4, v4, 23, v0
	v_or3_b32 v3, v5, v4, v3
.LBB4_1329:                             ;   in Loop: Header=BB4_124 Depth=2
	s_or_b64 exec, exec, s[64:65]
.LBB4_1330:                             ;   in Loop: Header=BB4_124 Depth=2
	s_or_b64 exec, exec, s[62:63]
.LBB4_1331:                             ;   in Loop: Header=BB4_124 Depth=2
	s_or_b64 exec, exec, s[60:61]
	v_cmp_ne_u16_sdwa vcc, v2, v55 src0_sel:BYTE_0 src1_sel:DWORD
	s_and_saveexec_b64 s[60:61], vcc
	s_cbranch_execz .LBB4_1337
; %bb.1332:                             ;   in Loop: Header=BB4_124 Depth=2
	v_cmp_ne_u16_sdwa vcc, v2, s75 src0_sel:BYTE_0 src1_sel:DWORD
	v_bfrev_b32_e32 v14, 1
	s_and_saveexec_b64 s[62:63], vcc
	s_cbranch_execz .LBB4_1336
; %bb.1333:                             ;   in Loop: Header=BB4_124 Depth=2
	v_bfe_u32 v4, v13, 16, 7
	v_cmp_ne_u32_e32 vcc, s76, v4
	v_mov_b32_e32 v14, 0x7f800001
	s_and_saveexec_b64 s[64:65], vcc
	s_cbranch_execz .LBB4_1335
; %bb.1334:                             ;   in Loop: Header=BB4_124 Depth=2
	v_and_b32_e32 v5, 7, v2
	v_ffbh_u32_e32 v6, v5
	v_min_u32_e32 v9, 32, v6
	v_subrev_u32_e32 v6, 28, v9
	v_lshlrev_b64 v[6:7], v6, v[2:3]
	v_lshrrev_b32_e32 v8, 3, v4
	v_sub_u32_e32 v7, 29, v9
	v_and_b32_e32 v6, 7, v6
	v_cmp_gt_u32_e32 vcc, 8, v4
	v_cndmask_b32_e32 v4, v8, v7, vcc
	v_cndmask_b32_e32 v5, v5, v6, vcc
	v_lshlrev_b32_e32 v6, 24, v2
	v_lshlrev_b32_e32 v5, 20, v5
	v_and_b32_e32 v6, 0x80000000, v6
	v_lshl_add_u32 v4, v4, 23, v0
	v_or3_b32 v14, v6, v4, v5
.LBB4_1335:                             ;   in Loop: Header=BB4_124 Depth=2
	s_or_b64 exec, exec, s[64:65]
.LBB4_1336:                             ;   in Loop: Header=BB4_124 Depth=2
	s_or_b64 exec, exec, s[62:63]
.LBB4_1337:                             ;   in Loop: Header=BB4_124 Depth=2
	s_or_b64 exec, exec, s[60:61]
	v_max_f32_e32 v4, v14, v14
	v_max_f32_e32 v3, v3, v3
	;; [unrolled: 1-line block ×3, first 2 shown]
	s_branch .LBB4_1352
.LBB4_1338:                             ;   in Loop: Header=BB4_124 Depth=2
                                        ; implicit-def: $vgpr3
	s_cbranch_execz .LBB4_1352
; %bb.1339:                             ;   in Loop: Header=BB4_124 Depth=2
	v_mov_b32_e32 v14, 0
	v_mov_b32_e32 v3, 0
	s_and_saveexec_b64 s[60:61], s[24:25]
	s_cbranch_execz .LBB4_1345
; %bb.1340:                             ;   in Loop: Header=BB4_124 Depth=2
	v_cmp_ne_u16_sdwa vcc, v10, s75 src0_sel:BYTE_0 src1_sel:DWORD
	v_bfrev_b32_e32 v3, 1
	s_and_saveexec_b64 s[24:25], vcc
	s_cbranch_execz .LBB4_1344
; %bb.1341:                             ;   in Loop: Header=BB4_124 Depth=2
	v_bfe_u32 v4, v17, 16, 7
	v_cmp_ne_u32_e32 vcc, s76, v4
	v_mov_b32_e32 v3, 0x7f800001
	s_and_saveexec_b64 s[62:63], vcc
	s_cbranch_execz .LBB4_1343
; %bb.1342:                             ;   in Loop: Header=BB4_124 Depth=2
	v_and_b32_e32 v3, 7, v10
	v_ffbh_u32_e32 v6, v3
	v_min_u32_e32 v8, 32, v6
	v_subrev_u32_e32 v6, 28, v8
	v_lshlrev_b64 v[6:7], v6, v[10:11]
	v_lshrrev_b32_e32 v5, 3, v4
	v_sub_u32_e32 v7, 29, v8
	v_and_b32_e32 v6, 7, v6
	v_cmp_gt_u32_e32 vcc, 8, v4
	v_cndmask_b32_e32 v4, v5, v7, vcc
	v_cndmask_b32_e32 v3, v3, v6, vcc
	v_lshlrev_b32_e32 v5, 24, v10
	v_lshlrev_b32_e32 v3, 20, v3
	v_and_b32_e32 v5, 0x80000000, v5
	v_lshl_add_u32 v4, v4, 23, v0
	v_or3_b32 v3, v5, v4, v3
.LBB4_1343:                             ;   in Loop: Header=BB4_124 Depth=2
	s_or_b64 exec, exec, s[62:63]
.LBB4_1344:                             ;   in Loop: Header=BB4_124 Depth=2
	s_or_b64 exec, exec, s[24:25]
.LBB4_1345:                             ;   in Loop: Header=BB4_124 Depth=2
	s_or_b64 exec, exec, s[60:61]
	v_cmp_ne_u16_sdwa vcc, v2, v55 src0_sel:BYTE_0 src1_sel:DWORD
	s_and_saveexec_b64 s[24:25], vcc
	s_cbranch_execz .LBB4_1351
; %bb.1346:                             ;   in Loop: Header=BB4_124 Depth=2
	v_cmp_ne_u16_sdwa vcc, v2, s75 src0_sel:BYTE_0 src1_sel:DWORD
	v_bfrev_b32_e32 v14, 1
	s_and_saveexec_b64 s[60:61], vcc
	s_cbranch_execz .LBB4_1350
; %bb.1347:                             ;   in Loop: Header=BB4_124 Depth=2
	v_bfe_u32 v4, v13, 16, 7
	v_cmp_ne_u32_e32 vcc, s76, v4
	v_mov_b32_e32 v14, 0x7f800001
	s_and_saveexec_b64 s[62:63], vcc
	s_cbranch_execz .LBB4_1349
; %bb.1348:                             ;   in Loop: Header=BB4_124 Depth=2
	v_and_b32_e32 v5, 7, v2
	v_ffbh_u32_e32 v6, v5
	v_min_u32_e32 v9, 32, v6
	v_subrev_u32_e32 v6, 28, v9
	v_lshlrev_b64 v[6:7], v6, v[2:3]
	v_lshrrev_b32_e32 v8, 3, v4
	v_sub_u32_e32 v7, 29, v9
	v_and_b32_e32 v6, 7, v6
	v_cmp_gt_u32_e32 vcc, 8, v4
	v_cndmask_b32_e32 v4, v8, v7, vcc
	v_cndmask_b32_e32 v5, v5, v6, vcc
	v_lshlrev_b32_e32 v2, 24, v2
	v_lshlrev_b32_e32 v5, 20, v5
	v_and_b32_e32 v2, 0x80000000, v2
	v_lshl_add_u32 v4, v4, 23, v0
	v_or3_b32 v14, v2, v4, v5
.LBB4_1349:                             ;   in Loop: Header=BB4_124 Depth=2
	s_or_b64 exec, exec, s[62:63]
.LBB4_1350:                             ;   in Loop: Header=BB4_124 Depth=2
	s_or_b64 exec, exec, s[60:61]
.LBB4_1351:                             ;   in Loop: Header=BB4_124 Depth=2
	s_or_b64 exec, exec, s[24:25]
	v_max_f32_e32 v2, v14, v14
	v_max_f32_e32 v3, v3, v3
	v_min_f32_e32 v3, v3, v2
.LBB4_1352:                             ;   in Loop: Header=BB4_124 Depth=2
	v_and_b32_sdwa v10, v3, s75 dst_sel:DWORD dst_unused:UNUSED_PAD src0_sel:BYTE_3 src1_sel:DWORD
	v_and_b32_e32 v4, 0x7f800000, v3
	v_mov_b32_e32 v5, v55
	v_and_b32_e32 v54, 0x7fffff, v3
	v_or_b32_e32 v14, 0x7e, v10
	v_cmp_ne_u64_e32 vcc, s[44:45], v[4:5]
	s_and_saveexec_b64 s[24:25], vcc
	s_xor_b64 s[60:61], exec, s[24:25]
	s_cbranch_execz .LBB4_1362
; %bb.1353:                             ;   in Loop: Header=BB4_124 Depth=2
	v_and_b32_e32 v4, 0x7fffffff, v3
	v_mov_b32_e32 v5, v55
	v_cmp_gt_u64_e32 vcc, s[46:47], v[4:5]
	s_and_saveexec_b64 s[62:63], vcc
	s_cbranch_execz .LBB4_1361
; %bb.1354:                             ;   in Loop: Header=BB4_124 Depth=2
	v_cmp_ne_u32_e32 vcc, 0, v3
	v_mov_b32_e32 v14, 0
	s_and_saveexec_b64 s[64:65], vcc
	s_cbranch_execz .LBB4_1360
; %bb.1355:                             ;   in Loop: Header=BB4_124 Depth=2
	v_bfe_u32 v2, v3, 23, 8
	v_sub_u32_e32 v4, 0x79, v2
	v_cmp_gt_u32_e32 vcc, s78, v2
	v_add_u32_e32 v3, 0xffffff81, v2
	v_cndmask_b32_e32 v4, 0, v4, vcc
	v_cmp_eq_u32_e32 vcc, 0, v2
	v_mov_b32_e32 v2, 0xffffff82
	v_cndmask_b32_e32 v14, v3, v2, vcc
	v_mov_b32_e32 v2, 0x78
	v_or_b32_e32 v5, 0x800000, v54
	v_cndmask_b32_e32 v4, v4, v2, vcc
	v_cndmask_b32_e32 v54, v5, v54, vcc
	v_add_u32_e32 v2, 20, v4
	v_lshlrev_b64 v[2:3], v2, -1
	v_add_u32_e32 v5, 19, v4
	v_lshrrev_b64 v[8:9], v4, v[54:55]
	v_not_b32_e32 v3, v3
	v_not_b32_e32 v2, v2
	v_lshlrev_b64 v[6:7], v5, 1
	v_lshrrev_b32_e32 v5, 23, v8
	v_and_b32_e32 v3, 0, v3
	v_and_b32_e32 v2, v54, v2
	v_add3_u32 v4, v4, v14, v5
	v_bfe_u32 v5, v8, 20, 1
	v_add_u32_e32 v5, -1, v5
	v_cmp_eq_u64_e32 vcc, v[2:3], v[6:7]
	v_cndmask_b32_e32 v2, 0, v5, vcc
	v_add_u32_e32 v2, v2, v8
	v_and_b32_e32 v2, 0xfffff, v2
	v_add_co_u32_e32 v2, vcc, v2, v8
	v_add_u32_e32 v54, 6, v4
	v_addc_co_u32_e32 v3, vcc, 0, v9, vcc
	v_cmp_ne_u32_e32 vcc, 0, v54
                                        ; implicit-def: $vgpr14
	s_and_saveexec_b64 s[24:25], vcc
	s_xor_b64 s[24:25], exec, s[24:25]
; %bb.1356:                             ;   in Loop: Header=BB4_124 Depth=2
	v_add_u32_e32 v4, 7, v4
	v_cmp_lt_u64_e32 vcc, s[50:51], v[2:3]
	v_cndmask_b32_e32 v14, v54, v4, vcc
	v_cndmask_b32_e64 v4, 0, 1, vcc
	v_lshrrev_b64 v[2:3], v4, v[2:3]
; %bb.1357:                             ;   in Loop: Header=BB4_124 Depth=2
	s_andn2_saveexec_b64 s[24:25], s[24:25]
; %bb.1358:                             ;   in Loop: Header=BB4_124 Depth=2
	v_bfe_u32 v14, v2, 23, 1
; %bb.1359:                             ;   in Loop: Header=BB4_124 Depth=2
	s_or_b64 exec, exec, s[24:25]
	v_lshrrev_b64 v[2:3], 20, v[2:3]
	v_cmp_gt_i32_e32 vcc, 16, v14
	v_cndmask_b32_e32 v3, 0, v3, vcc
	v_cndmask_b32_e32 v2, 7, v2, vcc
	v_cmp_eq_u64_e64 s[24:25], 0, v[2:3]
	v_min_i32_e32 v3, 15, v14
	v_lshlrev_b32_e32 v3, 3, v3
	v_cmp_eq_u32_e32 vcc, 0, v14
	v_and_b32_e32 v3, 0xf8, v3
	v_and_or_b32 v2, v2, 7, v3
	s_and_b64 s[24:25], vcc, s[24:25]
	v_cndmask_b32_e64 v2, v2, 0, s[24:25]
	v_or_b32_e32 v14, v2, v10
.LBB4_1360:                             ;   in Loop: Header=BB4_124 Depth=2
	s_or_b64 exec, exec, s[64:65]
.LBB4_1361:                             ;   in Loop: Header=BB4_124 Depth=2
	s_or_b64 exec, exec, s[62:63]
                                        ; implicit-def: $vgpr3
.LBB4_1362:                             ;   in Loop: Header=BB4_124 Depth=2
	s_andn2_saveexec_b64 s[24:25], s[60:61]
; %bb.1363:                             ;   in Loop: Header=BB4_124 Depth=2
	v_or_b32_sdwa v2, v3, s76 dst_sel:DWORD dst_unused:UNUSED_PAD src0_sel:BYTE_3 src1_sel:DWORD
	v_cmp_eq_u64_e32 vcc, 0, v[54:55]
	v_cndmask_b32_e32 v14, v2, v14, vcc
; %bb.1364:                             ;   in Loop: Header=BB4_124 Depth=2
	s_or_b64 exec, exec, s[24:25]
	v_lshrrev_b32_e32 v10, 24, v17
	v_lshrrev_b32_e32 v2, 24, v13
	s_and_b64 vcc, exec, s[22:23]
	v_cmp_lt_u64_e64 s[22:23], s[48:49], v[16:17]
	s_cbranch_vccnz .LBB4_1378
; %bb.1365:                             ;   in Loop: Header=BB4_124 Depth=2
	v_mov_b32_e32 v16, 0
	v_mov_b32_e32 v3, 0
	s_and_saveexec_b64 s[24:25], s[22:23]
	s_cbranch_execz .LBB4_1371
; %bb.1366:                             ;   in Loop: Header=BB4_124 Depth=2
	v_cmp_ne_u32_e32 vcc, s75, v10
	v_bfrev_b32_e32 v3, 1
	s_and_saveexec_b64 s[60:61], vcc
	s_cbranch_execz .LBB4_1370
; %bb.1367:                             ;   in Loop: Header=BB4_124 Depth=2
	v_bfe_u32 v4, v17, 24, 7
	v_cmp_ne_u32_e32 vcc, s76, v4
	v_mov_b32_e32 v3, 0x7f800001
	s_and_saveexec_b64 s[62:63], vcc
	s_cbranch_execz .LBB4_1369
; %bb.1368:                             ;   in Loop: Header=BB4_124 Depth=2
	v_and_b32_e32 v3, 7, v10
	v_ffbh_u32_e32 v6, v3
	v_min_u32_e32 v8, 32, v6
	v_subrev_u32_e32 v6, 28, v8
	v_lshlrev_b64 v[6:7], v6, v[10:11]
	v_lshrrev_b32_e32 v5, 3, v4
	v_sub_u32_e32 v7, 29, v8
	v_and_b32_e32 v6, 7, v6
	v_cmp_gt_u32_e32 vcc, 8, v4
	v_cndmask_b32_e32 v4, v5, v7, vcc
	v_cndmask_b32_e32 v3, v3, v6, vcc
	v_lshlrev_b32_e32 v5, 24, v10
	v_lshlrev_b32_e32 v3, 20, v3
	v_and_b32_e32 v5, 0x80000000, v5
	v_lshl_add_u32 v4, v4, 23, v0
	v_or3_b32 v3, v5, v4, v3
.LBB4_1369:                             ;   in Loop: Header=BB4_124 Depth=2
	s_or_b64 exec, exec, s[62:63]
.LBB4_1370:                             ;   in Loop: Header=BB4_124 Depth=2
	s_or_b64 exec, exec, s[60:61]
.LBB4_1371:                             ;   in Loop: Header=BB4_124 Depth=2
	s_or_b64 exec, exec, s[24:25]
	v_cmp_lt_u64_e32 vcc, s[48:49], v[12:13]
	s_and_saveexec_b64 s[24:25], vcc
	s_cbranch_execz .LBB4_1377
; %bb.1372:                             ;   in Loop: Header=BB4_124 Depth=2
	v_cmp_ne_u32_e32 vcc, s75, v2
	v_bfrev_b32_e32 v16, 1
	s_and_saveexec_b64 s[60:61], vcc
	s_cbranch_execz .LBB4_1376
; %bb.1373:                             ;   in Loop: Header=BB4_124 Depth=2
	v_bfe_u32 v4, v13, 24, 7
	v_cmp_ne_u32_e32 vcc, s76, v4
	v_mov_b32_e32 v16, 0x7f800001
	s_and_saveexec_b64 s[62:63], vcc
	s_cbranch_execz .LBB4_1375
; %bb.1374:                             ;   in Loop: Header=BB4_124 Depth=2
	v_and_b32_e32 v5, 7, v2
	v_ffbh_u32_e32 v6, v5
	v_min_u32_e32 v9, 32, v6
	v_subrev_u32_e32 v6, 28, v9
	v_lshlrev_b64 v[6:7], v6, v[2:3]
	v_lshrrev_b32_e32 v8, 3, v4
	v_sub_u32_e32 v7, 29, v9
	v_and_b32_e32 v6, 7, v6
	v_cmp_gt_u32_e32 vcc, 8, v4
	v_cndmask_b32_e32 v4, v8, v7, vcc
	v_cndmask_b32_e32 v5, v5, v6, vcc
	v_lshlrev_b32_e32 v6, 24, v2
	v_lshlrev_b32_e32 v5, 20, v5
	v_and_b32_e32 v6, 0x80000000, v6
	v_lshl_add_u32 v4, v4, 23, v0
	v_or3_b32 v16, v6, v4, v5
.LBB4_1375:                             ;   in Loop: Header=BB4_124 Depth=2
	s_or_b64 exec, exec, s[62:63]
.LBB4_1376:                             ;   in Loop: Header=BB4_124 Depth=2
	s_or_b64 exec, exec, s[60:61]
.LBB4_1377:                             ;   in Loop: Header=BB4_124 Depth=2
	s_or_b64 exec, exec, s[24:25]
	v_max_f32_e32 v4, v16, v16
	v_max_f32_e32 v3, v3, v3
	;; [unrolled: 1-line block ×3, first 2 shown]
	s_branch .LBB4_1392
.LBB4_1378:                             ;   in Loop: Header=BB4_124 Depth=2
                                        ; implicit-def: $vgpr3
	s_cbranch_execz .LBB4_1392
; %bb.1379:                             ;   in Loop: Header=BB4_124 Depth=2
	v_mov_b32_e32 v16, 0
	v_mov_b32_e32 v3, 0
	s_and_saveexec_b64 s[24:25], s[22:23]
	s_cbranch_execz .LBB4_1385
; %bb.1380:                             ;   in Loop: Header=BB4_124 Depth=2
	v_cmp_ne_u32_e32 vcc, s75, v10
	v_bfrev_b32_e32 v3, 1
	s_and_saveexec_b64 s[22:23], vcc
	s_cbranch_execz .LBB4_1384
; %bb.1381:                             ;   in Loop: Header=BB4_124 Depth=2
	v_bfe_u32 v4, v17, 24, 7
	v_cmp_ne_u32_e32 vcc, s76, v4
	v_mov_b32_e32 v3, 0x7f800001
	s_and_saveexec_b64 s[60:61], vcc
	s_cbranch_execz .LBB4_1383
; %bb.1382:                             ;   in Loop: Header=BB4_124 Depth=2
	v_and_b32_e32 v3, 7, v10
	v_ffbh_u32_e32 v6, v3
	v_min_u32_e32 v8, 32, v6
	v_subrev_u32_e32 v6, 28, v8
	v_lshlrev_b64 v[6:7], v6, v[10:11]
	v_lshrrev_b32_e32 v5, 3, v4
	v_sub_u32_e32 v7, 29, v8
	v_and_b32_e32 v6, 7, v6
	v_cmp_gt_u32_e32 vcc, 8, v4
	v_cndmask_b32_e32 v4, v5, v7, vcc
	v_cndmask_b32_e32 v3, v3, v6, vcc
	v_lshlrev_b32_e32 v5, 24, v10
	v_lshlrev_b32_e32 v3, 20, v3
	v_and_b32_e32 v5, 0x80000000, v5
	v_lshl_add_u32 v4, v4, 23, v0
	v_or3_b32 v3, v5, v4, v3
.LBB4_1383:                             ;   in Loop: Header=BB4_124 Depth=2
	s_or_b64 exec, exec, s[60:61]
.LBB4_1384:                             ;   in Loop: Header=BB4_124 Depth=2
	s_or_b64 exec, exec, s[22:23]
.LBB4_1385:                             ;   in Loop: Header=BB4_124 Depth=2
	s_or_b64 exec, exec, s[24:25]
	v_cmp_lt_u64_e32 vcc, s[48:49], v[12:13]
	s_and_saveexec_b64 s[22:23], vcc
	s_cbranch_execz .LBB4_1391
; %bb.1386:                             ;   in Loop: Header=BB4_124 Depth=2
	v_cmp_ne_u32_e32 vcc, s75, v2
	v_bfrev_b32_e32 v16, 1
	s_and_saveexec_b64 s[24:25], vcc
	s_cbranch_execz .LBB4_1390
; %bb.1387:                             ;   in Loop: Header=BB4_124 Depth=2
	v_bfe_u32 v4, v13, 24, 7
	v_cmp_ne_u32_e32 vcc, s76, v4
	v_mov_b32_e32 v16, 0x7f800001
	s_and_saveexec_b64 s[60:61], vcc
	s_cbranch_execz .LBB4_1389
; %bb.1388:                             ;   in Loop: Header=BB4_124 Depth=2
	v_and_b32_e32 v5, 7, v2
	v_ffbh_u32_e32 v6, v5
	v_min_u32_e32 v9, 32, v6
	v_subrev_u32_e32 v6, 28, v9
	v_lshlrev_b64 v[6:7], v6, v[2:3]
	v_lshrrev_b32_e32 v8, 3, v4
	v_sub_u32_e32 v7, 29, v9
	v_and_b32_e32 v6, 7, v6
	v_cmp_gt_u32_e32 vcc, 8, v4
	v_cndmask_b32_e32 v4, v8, v7, vcc
	v_cndmask_b32_e32 v5, v5, v6, vcc
	v_lshlrev_b32_e32 v2, 24, v2
	v_lshlrev_b32_e32 v5, 20, v5
	v_and_b32_e32 v2, 0x80000000, v2
	v_lshl_add_u32 v4, v4, 23, v0
	v_or3_b32 v16, v2, v4, v5
.LBB4_1389:                             ;   in Loop: Header=BB4_124 Depth=2
	s_or_b64 exec, exec, s[60:61]
.LBB4_1390:                             ;   in Loop: Header=BB4_124 Depth=2
	s_or_b64 exec, exec, s[24:25]
.LBB4_1391:                             ;   in Loop: Header=BB4_124 Depth=2
	s_or_b64 exec, exec, s[22:23]
	v_max_f32_e32 v2, v16, v16
	v_max_f32_e32 v3, v3, v3
	v_min_f32_e32 v3, v3, v2
.LBB4_1392:                             ;   in Loop: Header=BB4_124 Depth=2
	v_and_b32_sdwa v10, v3, s75 dst_sel:DWORD dst_unused:UNUSED_PAD src0_sel:BYTE_3 src1_sel:DWORD
	v_and_b32_e32 v4, 0x7f800000, v3
	v_mov_b32_e32 v5, v55
	v_and_b32_e32 v54, 0x7fffff, v3
	v_or_b32_e32 v2, 0x7e, v10
	v_cmp_ne_u64_e32 vcc, s[44:45], v[4:5]
	s_and_saveexec_b64 s[22:23], vcc
	s_xor_b64 s[24:25], exec, s[22:23]
	s_cbranch_execz .LBB4_1402
; %bb.1393:                             ;   in Loop: Header=BB4_124 Depth=2
	v_and_b32_e32 v4, 0x7fffffff, v3
	v_mov_b32_e32 v5, v55
	v_cmp_gt_u64_e32 vcc, s[46:47], v[4:5]
	s_and_saveexec_b64 s[60:61], vcc
	s_cbranch_execz .LBB4_1401
; %bb.1394:                             ;   in Loop: Header=BB4_124 Depth=2
	v_cmp_ne_u32_e32 vcc, 0, v3
	v_mov_b32_e32 v2, 0
	s_and_saveexec_b64 s[62:63], vcc
	s_cbranch_execz .LBB4_1400
; %bb.1395:                             ;   in Loop: Header=BB4_124 Depth=2
	v_bfe_u32 v2, v3, 23, 8
	v_sub_u32_e32 v4, 0x79, v2
	v_cmp_gt_u32_e32 vcc, s78, v2
	v_add_u32_e32 v3, 0xffffff81, v2
	v_cndmask_b32_e32 v4, 0, v4, vcc
	v_cmp_eq_u32_e32 vcc, 0, v2
	v_mov_b32_e32 v2, 0xffffff82
	v_cndmask_b32_e32 v12, v3, v2, vcc
	v_mov_b32_e32 v2, 0x78
	v_or_b32_e32 v5, 0x800000, v54
	v_cndmask_b32_e32 v4, v4, v2, vcc
	v_cndmask_b32_e32 v54, v5, v54, vcc
	v_add_u32_e32 v2, 20, v4
	v_lshlrev_b64 v[2:3], v2, -1
	v_add_u32_e32 v5, 19, v4
	v_lshrrev_b64 v[8:9], v4, v[54:55]
	v_not_b32_e32 v3, v3
	v_not_b32_e32 v2, v2
	v_lshlrev_b64 v[6:7], v5, 1
	v_lshrrev_b32_e32 v5, 23, v8
	v_and_b32_e32 v3, 0, v3
	v_and_b32_e32 v2, v54, v2
	v_add3_u32 v4, v4, v12, v5
	v_bfe_u32 v5, v8, 20, 1
	v_add_u32_e32 v5, -1, v5
	v_cmp_eq_u64_e32 vcc, v[2:3], v[6:7]
	v_cndmask_b32_e32 v2, 0, v5, vcc
	v_add_u32_e32 v2, v2, v8
	v_and_b32_e32 v2, 0xfffff, v2
	v_add_co_u32_e32 v2, vcc, v2, v8
	v_add_u32_e32 v13, 6, v4
	v_addc_co_u32_e32 v3, vcc, 0, v9, vcc
	v_cmp_ne_u32_e32 vcc, 0, v13
                                        ; implicit-def: $vgpr12
	s_and_saveexec_b64 s[22:23], vcc
	s_xor_b64 s[22:23], exec, s[22:23]
; %bb.1396:                             ;   in Loop: Header=BB4_124 Depth=2
	v_add_u32_e32 v4, 7, v4
	v_cmp_lt_u64_e32 vcc, s[50:51], v[2:3]
	v_cndmask_b32_e32 v12, v13, v4, vcc
	v_cndmask_b32_e64 v4, 0, 1, vcc
	v_lshrrev_b64 v[2:3], v4, v[2:3]
; %bb.1397:                             ;   in Loop: Header=BB4_124 Depth=2
	s_andn2_saveexec_b64 s[22:23], s[22:23]
; %bb.1398:                             ;   in Loop: Header=BB4_124 Depth=2
	v_bfe_u32 v12, v2, 23, 1
; %bb.1399:                             ;   in Loop: Header=BB4_124 Depth=2
	s_or_b64 exec, exec, s[22:23]
	v_lshrrev_b64 v[2:3], 20, v[2:3]
	v_cmp_gt_i32_e32 vcc, 16, v12
	v_cndmask_b32_e32 v3, 0, v3, vcc
	v_cndmask_b32_e32 v2, 7, v2, vcc
	v_cmp_eq_u64_e64 s[22:23], 0, v[2:3]
	v_min_i32_e32 v3, 15, v12
	v_lshlrev_b32_e32 v3, 3, v3
	v_cmp_eq_u32_e32 vcc, 0, v12
	v_and_b32_e32 v3, 0xf8, v3
	v_and_or_b32 v2, v2, 7, v3
	s_and_b64 s[22:23], vcc, s[22:23]
	v_cndmask_b32_e64 v2, v2, 0, s[22:23]
	v_or_b32_e32 v2, v2, v10
.LBB4_1400:                             ;   in Loop: Header=BB4_124 Depth=2
	s_or_b64 exec, exec, s[62:63]
.LBB4_1401:                             ;   in Loop: Header=BB4_124 Depth=2
	s_or_b64 exec, exec, s[60:61]
                                        ; implicit-def: $vgpr3
.LBB4_1402:                             ;   in Loop: Header=BB4_124 Depth=2
	s_andn2_saveexec_b64 s[22:23], s[24:25]
	s_cbranch_execz .LBB4_123
; %bb.1403:                             ;   in Loop: Header=BB4_124 Depth=2
	v_or_b32_sdwa v3, v3, s76 dst_sel:DWORD dst_unused:UNUSED_PAD src0_sel:BYTE_3 src1_sel:DWORD
	v_cmp_eq_u64_e32 vcc, 0, v[54:55]
	v_cndmask_b32_e32 v2, v3, v2, vcc
	s_branch .LBB4_123
.LBB4_1404:                             ;   in Loop: Header=BB4_49 Depth=1
	s_or_b64 exec, exec, s[56:57]
	v_accvgpr_read_b32 v41, a5
	v_accvgpr_read_b32 v61, a25
	v_mov_b32_e32 v46, v39
	v_accvgpr_read_b32 v47, a0
	v_accvgpr_read_b32 v56, a1
	;; [unrolled: 1-line block ×9, first 2 shown]
.LBB4_1405:                             ;   in Loop: Header=BB4_49 Depth=1
	s_or_b64 exec, exec, s[26:27]
	v_accvgpr_read_b32 v1, a39
	v_and_b32_e32 v3, 0x3ffff800, v1
	v_cmp_ne_u32_e32 vcc, v3, v1
	s_mov_b64 s[22:23], 0
	v_mov_b32_e32 v1, 0
                                        ; implicit-def: $vgpr17
                                        ; implicit-def: $vgpr18
                                        ; implicit-def: $vgpr2
	s_and_saveexec_b64 s[26:27], vcc
	s_cbranch_execz .LBB4_2053
; %bb.1406:                             ;   in Loop: Header=BB4_49 Depth=1
	v_lshlrev_b32_e32 v1, 6, v57
	v_accvgpr_read_b32 v4, a17
	v_sub_u32_e32 v1, v4, v1
	v_ashrrev_i32_e32 v4, 31, v1
	v_lshrrev_b32_e32 v4, 26, v4
	v_add_u32_e32 v4, v1, v4
	v_accvgpr_read_b32 v6, a39
	v_ashrrev_i32_e32 v5, 6, v4
	v_and_b32_e32 v4, 0xffffffc0, v4
	v_and_b32_e32 v2, 0x7ff, v6
	v_sub_u32_e32 v30, v1, v4
	v_bfe_u32 v4, v6, 10, 1
	v_and_b32_e32 v6, 0x400, v6
	v_lshlrev_b32_e32 v1, 4, v30
	v_sub_u32_e32 v34, v2, v6
	v_lshl_add_u32 v1, v5, 10, v1
	v_cmp_lt_i32_e64 s[22:23], 15, v34
	v_sub_u32_e32 v35, v2, v1
	v_addc_co_u32_e64 v2, vcc, 0, v4, s[22:23]
	v_sub_u32_e32 v31, v2, v5
	v_cmp_lt_i32_e32 vcc, 15, v35
	s_mov_b64 s[56:57], exec
	s_and_b64 s[24:25], s[56:57], vcc
	v_accvgpr_read_b32 v57, a34
	s_mov_b64 exec, s[24:25]
	s_cbranch_execz .LBB4_2050
; %bb.1407:                             ;   in Loop: Header=BB4_49 Depth=1
	s_trap 2
	ds_read_b128 v[4:7], v0
	v_add_u32_e32 v1, v1, v3
	ds_read_b64 v[2:3], v0
	v_ashrrev_i32_e32 v8, 31, v1
	s_bitcmp1_b32 s68, 0
	s_waitcnt lgkmcnt(0)
	v_add_co_u32_e32 v18, vcc, v4, v1
	v_addc_co_u32_e32 v19, vcc, v5, v8, vcc
	v_add_co_u32_e32 v20, vcc, v6, v1
	v_addc_co_u32_e32 v21, vcc, v7, v8, vcc
	;; [unrolled: 2-line block ×3, first 2 shown]
	s_mov_b64 s[58:59], 0
	s_cselect_b64 s[60:61], -1, 0
	s_branch .LBB4_1409
.LBB4_1408:                             ;   in Loop: Header=BB4_1409 Depth=2
	s_or_b64 exec, exec, s[24:25]
	v_lshlrev_b32_e32 v3, 8, v28
	v_perm_b32 v3, v3, v25, s79
	v_lshl_or_b32 v3, v52, 16, v3
	v_lshl_or_b32 v5, v15, 24, v3
	v_and_b32_e32 v3, 0xff, v29
	v_lshlrev_b32_e32 v4, 8, v51
	v_lshlrev_b32_e32 v1, 24, v1
	;; [unrolled: 1-line block ×3, first 2 shown]
	v_perm_b32 v4, v4, v50, s79
	v_or3_b32 v4, v1, v3, v4
	v_and_b32_e32 v1, 0xff, v27
	v_lshlrev_b32_e32 v6, 8, v26
	v_lshlrev_b32_e32 v3, 24, v48
	;; [unrolled: 1-line block ×3, first 2 shown]
	v_perm_b32 v6, v6, v24, s79
	v_or3_b32 v6, v3, v1, v6
	v_lshlrev_b32_e32 v1, 8, v14
	v_add_co_u32_e32 v18, vcc, v18, v59
	v_perm_b32 v1, v1, v11, s79
	v_addc_co_u32_e32 v19, vcc, v19, v57, vcc
	v_lshl_or_b32 v1, v49, 16, v1
	v_add_co_u32_e32 v20, vcc, v20, v59
	v_lshl_or_b32 v7, v2, 24, v1
	v_addc_co_u32_e32 v21, vcc, v21, v57, vcc
	global_store_dwordx4 v[22:23], v[4:7], off glc slc
	v_add_co_u32_e32 v22, vcc, v22, v59
	v_addc_co_u32_e32 v23, vcc, v23, v57, vcc
	v_sub_u32_e32 v35, v35, v43
	v_cmp_gt_i32_e32 vcc, 16, v35
	s_or_b64 s[58:59], vcc, s[58:59]
	v_sub_u32_e32 v31, v31, v42
	s_andn2_b64 exec, exec, s[58:59]
	s_cbranch_execz .LBB4_2049
.LBB4_1409:                             ;   Parent Loop BB4_49 Depth=1
                                        ; =>  This Inner Loop Header: Depth=2
	global_load_dwordx4 v[14:17], v[18:19], off glc slc
	global_load_dwordx4 v[10:13], v[20:21], off glc slc
	s_and_b64 vcc, exec, s[60:61]
	s_waitcnt vmcnt(0)
	v_cmp_ne_u16_sdwa s[24:25], v14, v55 src0_sel:BYTE_0 src1_sel:DWORD
	s_cbranch_vccz .LBB4_1423
; %bb.1410:                             ;   in Loop: Header=BB4_1409 Depth=2
	v_mov_b32_e32 v2, 0
	v_mov_b32_e32 v1, 0
	s_and_saveexec_b64 s[62:63], s[24:25]
	s_cbranch_execz .LBB4_1416
; %bb.1411:                             ;   in Loop: Header=BB4_1409 Depth=2
	v_cmp_ne_u16_sdwa vcc, v14, s75 src0_sel:BYTE_0 src1_sel:DWORD
	v_bfrev_b32_e32 v1, 1
	s_and_saveexec_b64 s[64:65], vcc
	s_cbranch_execz .LBB4_1415
; %bb.1412:                             ;   in Loop: Header=BB4_1409 Depth=2
	v_and_b32_e32 v3, 0x7f, v14
	v_cmp_ne_u32_e32 vcc, s76, v3
	v_mov_b32_e32 v1, 0x7f800001
	s_and_saveexec_b64 s[66:67], vcc
	s_cbranch_execz .LBB4_1414
; %bb.1413:                             ;   in Loop: Header=BB4_1409 Depth=2
	v_and_b32_e32 v1, 7, v14
	v_ffbh_u32_e32 v1, v1
	v_min_u32_e32 v1, 32, v1
	v_subrev_u32_e32 v5, 28, v1
	v_cmp_gt_u32_e32 vcc, 8, v3
	v_lshrrev_b32_e32 v4, 3, v3
	v_sub_u32_e32 v1, 29, v1
	v_cndmask_b32_e32 v3, 0, v5, vcc
	v_cndmask_b32_e32 v1, v4, v1, vcc
	v_lshlrev_b64 v[4:5], v3, v[14:15]
	v_lshlrev_b32_e32 v3, 20, v4
	v_lshlrev_b32_e32 v4, 24, v14
	v_and_b32_e32 v3, 0x700000, v3
	v_and_b32_e32 v4, 0x80000000, v4
	v_lshl_add_u32 v1, v1, 23, v0
	v_or3_b32 v1, v4, v1, v3
.LBB4_1414:                             ;   in Loop: Header=BB4_1409 Depth=2
	s_or_b64 exec, exec, s[66:67]
.LBB4_1415:                             ;   in Loop: Header=BB4_1409 Depth=2
	s_or_b64 exec, exec, s[64:65]
.LBB4_1416:                             ;   in Loop: Header=BB4_1409 Depth=2
	s_or_b64 exec, exec, s[62:63]
	v_cmp_ne_u16_sdwa vcc, v10, v55 src0_sel:BYTE_0 src1_sel:DWORD
	s_and_saveexec_b64 s[62:63], vcc
	s_cbranch_execz .LBB4_1422
; %bb.1417:                             ;   in Loop: Header=BB4_1409 Depth=2
	v_cmp_ne_u16_sdwa vcc, v10, s75 src0_sel:BYTE_0 src1_sel:DWORD
	v_bfrev_b32_e32 v2, 1
	s_and_saveexec_b64 s[64:65], vcc
	s_cbranch_execz .LBB4_1421
; %bb.1418:                             ;   in Loop: Header=BB4_1409 Depth=2
	v_and_b32_e32 v3, 0x7f, v10
	v_cmp_ne_u32_e32 vcc, s76, v3
	v_mov_b32_e32 v2, 0x7f800001
	s_and_saveexec_b64 s[66:67], vcc
	s_cbranch_execz .LBB4_1420
; %bb.1419:                             ;   in Loop: Header=BB4_1409 Depth=2
	v_and_b32_e32 v2, 7, v10
	v_ffbh_u32_e32 v2, v2
	v_min_u32_e32 v2, 32, v2
	v_lshrrev_b32_e32 v4, 3, v3
	v_subrev_u32_e32 v5, 28, v2
	v_sub_u32_e32 v2, 29, v2
	v_cmp_gt_u32_e32 vcc, 8, v3
	v_cndmask_b32_e32 v4, v4, v2, vcc
	v_cndmask_b32_e32 v2, 0, v5, vcc
	v_lshlrev_b64 v[2:3], v2, v[10:11]
	v_lshlrev_b32_e32 v2, 20, v2
	v_lshlrev_b32_e32 v3, 24, v10
	v_and_b32_e32 v2, 0x700000, v2
	v_and_b32_e32 v3, 0x80000000, v3
	v_lshl_add_u32 v4, v4, 23, v0
	v_or3_b32 v2, v3, v4, v2
.LBB4_1420:                             ;   in Loop: Header=BB4_1409 Depth=2
	s_or_b64 exec, exec, s[66:67]
.LBB4_1421:                             ;   in Loop: Header=BB4_1409 Depth=2
	s_or_b64 exec, exec, s[64:65]
.LBB4_1422:                             ;   in Loop: Header=BB4_1409 Depth=2
	s_or_b64 exec, exec, s[62:63]
	v_max_f32_e32 v2, v2, v2
	v_max_f32_e32 v1, v1, v1
	;; [unrolled: 1-line block ×3, first 2 shown]
	s_branch .LBB4_1437
.LBB4_1423:                             ;   in Loop: Header=BB4_1409 Depth=2
                                        ; implicit-def: $vgpr2
	s_cbranch_execz .LBB4_1437
; %bb.1424:                             ;   in Loop: Header=BB4_1409 Depth=2
	v_mov_b32_e32 v2, 0
	v_mov_b32_e32 v1, 0
	s_and_saveexec_b64 s[62:63], s[24:25]
	s_cbranch_execz .LBB4_1430
; %bb.1425:                             ;   in Loop: Header=BB4_1409 Depth=2
	v_cmp_ne_u16_sdwa vcc, v14, s75 src0_sel:BYTE_0 src1_sel:DWORD
	v_bfrev_b32_e32 v1, 1
	s_and_saveexec_b64 s[24:25], vcc
	s_cbranch_execz .LBB4_1429
; %bb.1426:                             ;   in Loop: Header=BB4_1409 Depth=2
	v_and_b32_e32 v3, 0x7f, v14
	v_cmp_ne_u32_e32 vcc, s76, v3
	v_mov_b32_e32 v1, 0x7f800001
	s_and_saveexec_b64 s[64:65], vcc
	s_cbranch_execz .LBB4_1428
; %bb.1427:                             ;   in Loop: Header=BB4_1409 Depth=2
	v_and_b32_e32 v1, 7, v14
	v_ffbh_u32_e32 v1, v1
	v_min_u32_e32 v1, 32, v1
	v_subrev_u32_e32 v5, 28, v1
	v_cmp_gt_u32_e32 vcc, 8, v3
	v_lshrrev_b32_e32 v4, 3, v3
	v_sub_u32_e32 v1, 29, v1
	v_cndmask_b32_e32 v3, 0, v5, vcc
	v_cndmask_b32_e32 v1, v4, v1, vcc
	v_lshlrev_b64 v[4:5], v3, v[14:15]
	v_lshlrev_b32_e32 v3, 20, v4
	v_lshlrev_b32_e32 v4, 24, v14
	v_and_b32_e32 v3, 0x700000, v3
	v_and_b32_e32 v4, 0x80000000, v4
	v_lshl_add_u32 v1, v1, 23, v0
	v_or3_b32 v1, v4, v1, v3
.LBB4_1428:                             ;   in Loop: Header=BB4_1409 Depth=2
	s_or_b64 exec, exec, s[64:65]
.LBB4_1429:                             ;   in Loop: Header=BB4_1409 Depth=2
	s_or_b64 exec, exec, s[24:25]
.LBB4_1430:                             ;   in Loop: Header=BB4_1409 Depth=2
	s_or_b64 exec, exec, s[62:63]
	v_cmp_ne_u16_sdwa vcc, v10, v55 src0_sel:BYTE_0 src1_sel:DWORD
	s_and_saveexec_b64 s[24:25], vcc
	s_cbranch_execz .LBB4_1436
; %bb.1431:                             ;   in Loop: Header=BB4_1409 Depth=2
	v_cmp_ne_u16_sdwa vcc, v10, s75 src0_sel:BYTE_0 src1_sel:DWORD
	v_bfrev_b32_e32 v2, 1
	s_and_saveexec_b64 s[62:63], vcc
	s_cbranch_execz .LBB4_1435
; %bb.1432:                             ;   in Loop: Header=BB4_1409 Depth=2
	v_and_b32_e32 v3, 0x7f, v10
	v_cmp_ne_u32_e32 vcc, s76, v3
	v_mov_b32_e32 v2, 0x7f800001
	s_and_saveexec_b64 s[64:65], vcc
	s_cbranch_execz .LBB4_1434
; %bb.1433:                             ;   in Loop: Header=BB4_1409 Depth=2
	v_and_b32_e32 v2, 7, v10
	v_ffbh_u32_e32 v2, v2
	v_min_u32_e32 v2, 32, v2
	v_lshrrev_b32_e32 v4, 3, v3
	v_subrev_u32_e32 v5, 28, v2
	v_sub_u32_e32 v2, 29, v2
	v_cmp_gt_u32_e32 vcc, 8, v3
	v_cndmask_b32_e32 v4, v4, v2, vcc
	v_cndmask_b32_e32 v2, 0, v5, vcc
	v_lshlrev_b64 v[2:3], v2, v[10:11]
	v_lshlrev_b32_e32 v2, 20, v2
	v_lshlrev_b32_e32 v3, 24, v10
	v_and_b32_e32 v2, 0x700000, v2
	v_and_b32_e32 v3, 0x80000000, v3
	v_lshl_add_u32 v4, v4, 23, v0
	v_or3_b32 v2, v3, v4, v2
.LBB4_1434:                             ;   in Loop: Header=BB4_1409 Depth=2
	s_or_b64 exec, exec, s[64:65]
.LBB4_1435:                             ;   in Loop: Header=BB4_1409 Depth=2
	s_or_b64 exec, exec, s[62:63]
.LBB4_1436:                             ;   in Loop: Header=BB4_1409 Depth=2
	s_or_b64 exec, exec, s[24:25]
	v_max_f32_e32 v2, v2, v2
	v_max_f32_e32 v1, v1, v1
	v_min_f32_e32 v2, v1, v2
.LBB4_1437:                             ;   in Loop: Header=BB4_1409 Depth=2
	v_and_b32_sdwa v1, v2, s75 dst_sel:DWORD dst_unused:UNUSED_PAD src0_sel:BYTE_3 src1_sel:DWORD
	v_and_b32_e32 v4, 0x7f800000, v2
	v_mov_b32_e32 v5, v55
	v_and_b32_e32 v54, 0x7fffff, v2
	v_or_b32_e32 v50, 0x7e, v1
	v_cmp_ne_u64_e32 vcc, s[44:45], v[4:5]
	s_and_saveexec_b64 s[24:25], vcc
	s_xor_b64 s[62:63], exec, s[24:25]
	s_cbranch_execz .LBB4_1447
; %bb.1438:                             ;   in Loop: Header=BB4_1409 Depth=2
	v_and_b32_e32 v4, 0x7fffffff, v2
	v_mov_b32_e32 v5, v55
	v_cmp_gt_u64_e32 vcc, s[46:47], v[4:5]
	s_and_saveexec_b64 s[64:65], vcc
	s_cbranch_execz .LBB4_1446
; %bb.1439:                             ;   in Loop: Header=BB4_1409 Depth=2
	v_cmp_ne_u32_e32 vcc, 0, v2
	v_mov_b32_e32 v50, 0
	s_and_saveexec_b64 s[66:67], vcc
	s_cbranch_execz .LBB4_1445
; %bb.1440:                             ;   in Loop: Header=BB4_1409 Depth=2
	v_bfe_u32 v2, v2, 23, 8
	v_sub_u32_e32 v4, 0x79, v2
	v_cmp_gt_u32_e32 vcc, s78, v2
	v_add_u32_e32 v3, 0xffffff81, v2
	v_cndmask_b32_e32 v4, 0, v4, vcc
	v_cmp_eq_u32_e32 vcc, 0, v2
	v_mov_b32_e32 v2, 0xffffff82
	v_cndmask_b32_e32 v24, v3, v2, vcc
	v_mov_b32_e32 v2, 0x78
	v_or_b32_e32 v5, 0x800000, v54
	v_cndmask_b32_e32 v4, v4, v2, vcc
	v_cndmask_b32_e32 v54, v5, v54, vcc
	v_add_u32_e32 v2, 20, v4
	v_lshlrev_b64 v[2:3], v2, -1
	v_add_u32_e32 v5, 19, v4
	v_lshrrev_b64 v[8:9], v4, v[54:55]
	v_not_b32_e32 v3, v3
	v_not_b32_e32 v2, v2
	v_lshlrev_b64 v[6:7], v5, 1
	v_lshrrev_b32_e32 v5, 23, v8
	v_and_b32_e32 v3, 0, v3
	v_and_b32_e32 v2, v54, v2
	v_add3_u32 v4, v4, v24, v5
	v_bfe_u32 v5, v8, 20, 1
	v_add_u32_e32 v5, -1, v5
	v_cmp_eq_u64_e32 vcc, v[2:3], v[6:7]
	v_cndmask_b32_e32 v2, 0, v5, vcc
	v_add_u32_e32 v2, v2, v8
	v_and_b32_e32 v2, 0xfffff, v2
	v_add_co_u32_e32 v2, vcc, v2, v8
	v_add_u32_e32 v25, 6, v4
	v_addc_co_u32_e32 v3, vcc, 0, v9, vcc
	v_cmp_ne_u32_e32 vcc, 0, v25
                                        ; implicit-def: $vgpr24
	s_and_saveexec_b64 s[24:25], vcc
	s_xor_b64 s[24:25], exec, s[24:25]
; %bb.1441:                             ;   in Loop: Header=BB4_1409 Depth=2
	v_add_u32_e32 v4, 7, v4
	v_cmp_lt_u64_e32 vcc, s[50:51], v[2:3]
	v_cndmask_b32_e32 v24, v25, v4, vcc
	v_cndmask_b32_e64 v4, 0, 1, vcc
	v_lshrrev_b64 v[2:3], v4, v[2:3]
; %bb.1442:                             ;   in Loop: Header=BB4_1409 Depth=2
	s_andn2_saveexec_b64 s[24:25], s[24:25]
; %bb.1443:                             ;   in Loop: Header=BB4_1409 Depth=2
	v_bfe_u32 v24, v2, 23, 1
; %bb.1444:                             ;   in Loop: Header=BB4_1409 Depth=2
	s_or_b64 exec, exec, s[24:25]
	v_lshrrev_b64 v[2:3], 20, v[2:3]
	v_cmp_gt_i32_e32 vcc, 16, v24
	v_cndmask_b32_e32 v3, 0, v3, vcc
	v_cndmask_b32_e32 v2, 7, v2, vcc
	v_cmp_eq_u64_e64 s[24:25], 0, v[2:3]
	v_min_i32_e32 v3, 15, v24
	v_cmp_eq_u32_e32 vcc, 0, v24
	v_lshlrev_b32_e32 v3, 3, v3
	v_and_or_b32 v2, v2, 7, v3
	s_and_b64 s[24:25], vcc, s[24:25]
	v_cndmask_b32_e64 v2, v2, 0, s[24:25]
	v_or_b32_e32 v50, v2, v1
.LBB4_1445:                             ;   in Loop: Header=BB4_1409 Depth=2
	s_or_b64 exec, exec, s[66:67]
.LBB4_1446:                             ;   in Loop: Header=BB4_1409 Depth=2
	s_or_b64 exec, exec, s[64:65]
                                        ; implicit-def: $vgpr2
.LBB4_1447:                             ;   in Loop: Header=BB4_1409 Depth=2
	s_andn2_saveexec_b64 s[24:25], s[62:63]
; %bb.1448:                             ;   in Loop: Header=BB4_1409 Depth=2
	v_or_b32_sdwa v1, v2, s76 dst_sel:DWORD dst_unused:UNUSED_PAD src0_sel:BYTE_3 src1_sel:DWORD
	v_cmp_eq_u64_e32 vcc, 0, v[54:55]
	v_cndmask_b32_e32 v50, v1, v50, vcc
; %bb.1449:                             ;   in Loop: Header=BB4_1409 Depth=2
	s_or_b64 exec, exec, s[24:25]
	v_lshrrev_b16_e32 v24, 8, v14
	v_lshrrev_b16_e32 v2, 8, v10
	v_cmp_ne_u16_e64 s[24:25], 0, v24
	s_and_b64 vcc, exec, s[60:61]
	s_cbranch_vccz .LBB4_1463
; %bb.1450:                             ;   in Loop: Header=BB4_1409 Depth=2
	v_mov_b32_e32 v3, 0
	v_mov_b32_e32 v1, 0
	s_and_saveexec_b64 s[62:63], s[24:25]
	s_cbranch_execz .LBB4_1456
; %bb.1451:                             ;   in Loop: Header=BB4_1409 Depth=2
	v_cmp_ne_u16_e32 vcc, s75, v24
	v_bfrev_b32_e32 v1, 1
	s_and_saveexec_b64 s[64:65], vcc
	s_cbranch_execz .LBB4_1455
; %bb.1452:                             ;   in Loop: Header=BB4_1409 Depth=2
	v_and_b32_e32 v4, 0x7f, v24
	v_cmp_ne_u32_e32 vcc, s76, v4
	v_mov_b32_e32 v1, 0x7f800001
	s_and_saveexec_b64 s[66:67], vcc
	s_cbranch_execz .LBB4_1454
; %bb.1453:                             ;   in Loop: Header=BB4_1409 Depth=2
	v_and_b32_e32 v1, 7, v24
	v_ffbh_u32_e32 v6, v1
	v_min_u32_e32 v8, 32, v6
	v_subrev_u32_e32 v6, 28, v8
	v_lshlrev_b64 v[6:7], v6, v[24:25]
	v_lshrrev_b32_e32 v5, 3, v4
	v_sub_u32_e32 v7, 29, v8
	v_and_b32_e32 v6, 7, v6
	v_cmp_gt_u32_e32 vcc, 8, v4
	v_cndmask_b32_e32 v4, v5, v7, vcc
	v_cndmask_b32_e32 v1, v1, v6, vcc
	v_lshlrev_b32_e32 v5, 16, v14
	v_lshlrev_b32_e32 v1, 20, v1
	v_and_b32_e32 v5, 0x80000000, v5
	v_lshl_add_u32 v4, v4, 23, v0
	v_or3_b32 v1, v5, v4, v1
.LBB4_1454:                             ;   in Loop: Header=BB4_1409 Depth=2
	s_or_b64 exec, exec, s[66:67]
.LBB4_1455:                             ;   in Loop: Header=BB4_1409 Depth=2
	s_or_b64 exec, exec, s[64:65]
.LBB4_1456:                             ;   in Loop: Header=BB4_1409 Depth=2
	s_or_b64 exec, exec, s[62:63]
	v_cmp_ne_u16_e32 vcc, 0, v2
	s_and_saveexec_b64 s[62:63], vcc
	s_cbranch_execz .LBB4_1462
; %bb.1457:                             ;   in Loop: Header=BB4_1409 Depth=2
	v_cmp_ne_u16_e32 vcc, s75, v2
	v_bfrev_b32_e32 v3, 1
	s_and_saveexec_b64 s[64:65], vcc
	s_cbranch_execz .LBB4_1461
; %bb.1458:                             ;   in Loop: Header=BB4_1409 Depth=2
	v_and_b32_e32 v4, 0x7f, v2
	v_cmp_ne_u32_e32 vcc, s76, v4
	v_mov_b32_e32 v3, 0x7f800001
	s_and_saveexec_b64 s[66:67], vcc
	s_cbranch_execz .LBB4_1460
; %bb.1459:                             ;   in Loop: Header=BB4_1409 Depth=2
	v_and_b32_e32 v3, 7, v2
	v_ffbh_u32_e32 v6, v3
	v_min_u32_e32 v8, 32, v6
	v_subrev_u32_e32 v6, 28, v8
	v_lshlrev_b64 v[6:7], v6, v[2:3]
	v_lshrrev_b32_e32 v5, 3, v4
	v_sub_u32_e32 v7, 29, v8
	v_and_b32_e32 v6, 7, v6
	v_cmp_gt_u32_e32 vcc, 8, v4
	v_cndmask_b32_e32 v4, v5, v7, vcc
	v_cndmask_b32_e32 v3, v3, v6, vcc
	v_lshlrev_b32_e32 v5, 16, v10
	v_lshlrev_b32_e32 v3, 20, v3
	v_and_b32_e32 v5, 0x80000000, v5
	v_lshl_add_u32 v4, v4, 23, v0
	v_or3_b32 v3, v5, v4, v3
.LBB4_1460:                             ;   in Loop: Header=BB4_1409 Depth=2
	s_or_b64 exec, exec, s[66:67]
.LBB4_1461:                             ;   in Loop: Header=BB4_1409 Depth=2
	s_or_b64 exec, exec, s[64:65]
.LBB4_1462:                             ;   in Loop: Header=BB4_1409 Depth=2
	s_or_b64 exec, exec, s[62:63]
	v_max_f32_e32 v3, v3, v3
	v_max_f32_e32 v1, v1, v1
	;; [unrolled: 1-line block ×3, first 2 shown]
	s_branch .LBB4_1477
.LBB4_1463:                             ;   in Loop: Header=BB4_1409 Depth=2
                                        ; implicit-def: $vgpr3
	s_cbranch_execz .LBB4_1477
; %bb.1464:                             ;   in Loop: Header=BB4_1409 Depth=2
	v_mov_b32_e32 v3, 0
	v_mov_b32_e32 v1, 0
	s_and_saveexec_b64 s[62:63], s[24:25]
	s_cbranch_execz .LBB4_1470
; %bb.1465:                             ;   in Loop: Header=BB4_1409 Depth=2
	v_cmp_ne_u16_e32 vcc, s75, v24
	v_bfrev_b32_e32 v1, 1
	s_and_saveexec_b64 s[24:25], vcc
	s_cbranch_execz .LBB4_1469
; %bb.1466:                             ;   in Loop: Header=BB4_1409 Depth=2
	v_and_b32_e32 v4, 0x7f, v24
	v_cmp_ne_u32_e32 vcc, s76, v4
	v_mov_b32_e32 v1, 0x7f800001
	s_and_saveexec_b64 s[64:65], vcc
	s_cbranch_execz .LBB4_1468
; %bb.1467:                             ;   in Loop: Header=BB4_1409 Depth=2
	v_and_b32_e32 v1, 7, v24
	v_ffbh_u32_e32 v6, v1
	v_min_u32_e32 v8, 32, v6
	v_subrev_u32_e32 v6, 28, v8
	v_lshlrev_b64 v[6:7], v6, v[24:25]
	v_lshrrev_b32_e32 v5, 3, v4
	v_sub_u32_e32 v7, 29, v8
	v_and_b32_e32 v6, 7, v6
	v_cmp_gt_u32_e32 vcc, 8, v4
	v_cndmask_b32_e32 v4, v5, v7, vcc
	v_cndmask_b32_e32 v1, v1, v6, vcc
	v_lshlrev_b32_e32 v5, 16, v14
	v_lshlrev_b32_e32 v1, 20, v1
	v_and_b32_e32 v5, 0x80000000, v5
	v_lshl_add_u32 v4, v4, 23, v0
	v_or3_b32 v1, v5, v4, v1
.LBB4_1468:                             ;   in Loop: Header=BB4_1409 Depth=2
	s_or_b64 exec, exec, s[64:65]
.LBB4_1469:                             ;   in Loop: Header=BB4_1409 Depth=2
	s_or_b64 exec, exec, s[24:25]
.LBB4_1470:                             ;   in Loop: Header=BB4_1409 Depth=2
	s_or_b64 exec, exec, s[62:63]
	v_cmp_ne_u16_e32 vcc, 0, v2
	s_and_saveexec_b64 s[24:25], vcc
	s_cbranch_execz .LBB4_1476
; %bb.1471:                             ;   in Loop: Header=BB4_1409 Depth=2
	v_cmp_ne_u16_e32 vcc, s75, v2
	v_bfrev_b32_e32 v3, 1
	s_and_saveexec_b64 s[62:63], vcc
	s_cbranch_execz .LBB4_1475
; %bb.1472:                             ;   in Loop: Header=BB4_1409 Depth=2
	v_and_b32_e32 v4, 0x7f, v2
	v_cmp_ne_u32_e32 vcc, s76, v4
	v_mov_b32_e32 v3, 0x7f800001
	s_and_saveexec_b64 s[64:65], vcc
	s_cbranch_execz .LBB4_1474
; %bb.1473:                             ;   in Loop: Header=BB4_1409 Depth=2
	v_and_b32_e32 v5, 7, v2
	v_ffbh_u32_e32 v3, v5
	v_min_u32_e32 v7, 32, v3
	v_subrev_u32_e32 v3, 28, v7
	v_lshlrev_b64 v[2:3], v3, v[2:3]
	v_lshrrev_b32_e32 v6, 3, v4
	v_sub_u32_e32 v3, 29, v7
	v_and_b32_e32 v2, 7, v2
	v_cmp_gt_u32_e32 vcc, 8, v4
	v_cndmask_b32_e32 v3, v6, v3, vcc
	v_cndmask_b32_e32 v2, v5, v2, vcc
	v_lshlrev_b32_e32 v4, 16, v10
	v_lshlrev_b32_e32 v2, 20, v2
	v_and_b32_e32 v4, 0x80000000, v4
	v_lshl_add_u32 v3, v3, 23, v0
	v_or3_b32 v3, v4, v3, v2
.LBB4_1474:                             ;   in Loop: Header=BB4_1409 Depth=2
	s_or_b64 exec, exec, s[64:65]
.LBB4_1475:                             ;   in Loop: Header=BB4_1409 Depth=2
	s_or_b64 exec, exec, s[62:63]
.LBB4_1476:                             ;   in Loop: Header=BB4_1409 Depth=2
	s_or_b64 exec, exec, s[24:25]
	v_max_f32_e32 v2, v3, v3
	v_max_f32_e32 v1, v1, v1
	v_min_f32_e32 v3, v1, v2
.LBB4_1477:                             ;   in Loop: Header=BB4_1409 Depth=2
	v_and_b32_sdwa v1, v3, s75 dst_sel:DWORD dst_unused:UNUSED_PAD src0_sel:BYTE_3 src1_sel:DWORD
	v_and_b32_e32 v4, 0x7f800000, v3
	v_mov_b32_e32 v5, v55
	v_and_b32_e32 v54, 0x7fffff, v3
	v_or_b32_e32 v51, 0x7e, v1
	v_cmp_ne_u64_e32 vcc, s[44:45], v[4:5]
	s_and_saveexec_b64 s[24:25], vcc
	s_xor_b64 s[62:63], exec, s[24:25]
	s_cbranch_execz .LBB4_1487
; %bb.1478:                             ;   in Loop: Header=BB4_1409 Depth=2
	v_and_b32_e32 v4, 0x7fffffff, v3
	v_mov_b32_e32 v5, v55
	v_cmp_gt_u64_e32 vcc, s[46:47], v[4:5]
	s_and_saveexec_b64 s[64:65], vcc
	s_cbranch_execz .LBB4_1486
; %bb.1479:                             ;   in Loop: Header=BB4_1409 Depth=2
	v_cmp_ne_u32_e32 vcc, 0, v3
	v_mov_b32_e32 v51, 0
	s_and_saveexec_b64 s[66:67], vcc
	s_cbranch_execz .LBB4_1485
; %bb.1480:                             ;   in Loop: Header=BB4_1409 Depth=2
	v_bfe_u32 v2, v3, 23, 8
	v_sub_u32_e32 v4, 0x79, v2
	v_cmp_gt_u32_e32 vcc, s78, v2
	v_add_u32_e32 v3, 0xffffff81, v2
	v_cndmask_b32_e32 v4, 0, v4, vcc
	v_cmp_eq_u32_e32 vcc, 0, v2
	v_mov_b32_e32 v2, 0xffffff82
	v_cndmask_b32_e32 v24, v3, v2, vcc
	v_mov_b32_e32 v2, 0x78
	v_or_b32_e32 v5, 0x800000, v54
	v_cndmask_b32_e32 v4, v4, v2, vcc
	v_cndmask_b32_e32 v54, v5, v54, vcc
	v_add_u32_e32 v2, 20, v4
	v_lshlrev_b64 v[2:3], v2, -1
	v_add_u32_e32 v5, 19, v4
	v_lshrrev_b64 v[8:9], v4, v[54:55]
	v_not_b32_e32 v3, v3
	v_not_b32_e32 v2, v2
	v_lshlrev_b64 v[6:7], v5, 1
	v_lshrrev_b32_e32 v5, 23, v8
	v_and_b32_e32 v3, 0, v3
	v_and_b32_e32 v2, v54, v2
	v_add3_u32 v4, v4, v24, v5
	v_bfe_u32 v5, v8, 20, 1
	v_add_u32_e32 v5, -1, v5
	v_cmp_eq_u64_e32 vcc, v[2:3], v[6:7]
	v_cndmask_b32_e32 v2, 0, v5, vcc
	v_add_u32_e32 v2, v2, v8
	v_and_b32_e32 v2, 0xfffff, v2
	v_add_co_u32_e32 v2, vcc, v2, v8
	v_add_u32_e32 v25, 6, v4
	v_addc_co_u32_e32 v3, vcc, 0, v9, vcc
	v_cmp_ne_u32_e32 vcc, 0, v25
                                        ; implicit-def: $vgpr24
	s_and_saveexec_b64 s[24:25], vcc
	s_xor_b64 s[24:25], exec, s[24:25]
; %bb.1481:                             ;   in Loop: Header=BB4_1409 Depth=2
	v_add_u32_e32 v4, 7, v4
	v_cmp_lt_u64_e32 vcc, s[50:51], v[2:3]
	v_cndmask_b32_e32 v24, v25, v4, vcc
	v_cndmask_b32_e64 v4, 0, 1, vcc
	v_lshrrev_b64 v[2:3], v4, v[2:3]
; %bb.1482:                             ;   in Loop: Header=BB4_1409 Depth=2
	s_andn2_saveexec_b64 s[24:25], s[24:25]
; %bb.1483:                             ;   in Loop: Header=BB4_1409 Depth=2
	v_bfe_u32 v24, v2, 23, 1
; %bb.1484:                             ;   in Loop: Header=BB4_1409 Depth=2
	s_or_b64 exec, exec, s[24:25]
	v_lshrrev_b64 v[2:3], 20, v[2:3]
	v_cmp_gt_i32_e32 vcc, 16, v24
	v_cndmask_b32_e32 v3, 0, v3, vcc
	v_cndmask_b32_e32 v2, 7, v2, vcc
	v_cmp_eq_u64_e64 s[24:25], 0, v[2:3]
	v_min_i32_e32 v3, 15, v24
	v_cmp_eq_u32_e32 vcc, 0, v24
	v_lshlrev_b32_e32 v3, 3, v3
	v_and_or_b32 v2, v2, 7, v3
	s_and_b64 s[24:25], vcc, s[24:25]
	v_cndmask_b32_e64 v2, v2, 0, s[24:25]
	v_or_b32_e32 v51, v2, v1
.LBB4_1485:                             ;   in Loop: Header=BB4_1409 Depth=2
	s_or_b64 exec, exec, s[66:67]
.LBB4_1486:                             ;   in Loop: Header=BB4_1409 Depth=2
	s_or_b64 exec, exec, s[64:65]
                                        ; implicit-def: $vgpr3
.LBB4_1487:                             ;   in Loop: Header=BB4_1409 Depth=2
	s_andn2_saveexec_b64 s[24:25], s[62:63]
; %bb.1488:                             ;   in Loop: Header=BB4_1409 Depth=2
	v_or_b32_sdwa v1, v3, s76 dst_sel:DWORD dst_unused:UNUSED_PAD src0_sel:BYTE_3 src1_sel:DWORD
	v_cmp_eq_u64_e32 vcc, 0, v[54:55]
	v_cndmask_b32_e32 v51, v1, v51, vcc
; %bb.1489:                             ;   in Loop: Header=BB4_1409 Depth=2
	s_or_b64 exec, exec, s[24:25]
	v_lshrrev_b32_e32 v24, 16, v14
	v_lshrrev_b32_e32 v2, 16, v10
	v_cmp_ne_u16_sdwa s[24:25], v24, v55 src0_sel:BYTE_0 src1_sel:DWORD
	s_and_b64 vcc, exec, s[60:61]
	s_cbranch_vccz .LBB4_1503
; %bb.1490:                             ;   in Loop: Header=BB4_1409 Depth=2
	v_mov_b32_e32 v3, 0
	v_mov_b32_e32 v1, 0
	s_and_saveexec_b64 s[62:63], s[24:25]
	s_cbranch_execz .LBB4_1496
; %bb.1491:                             ;   in Loop: Header=BB4_1409 Depth=2
	v_cmp_ne_u16_sdwa vcc, v24, s75 src0_sel:BYTE_0 src1_sel:DWORD
	v_bfrev_b32_e32 v1, 1
	s_and_saveexec_b64 s[64:65], vcc
	s_cbranch_execz .LBB4_1495
; %bb.1492:                             ;   in Loop: Header=BB4_1409 Depth=2
	v_bfe_u32 v4, v14, 16, 7
	v_cmp_ne_u32_e32 vcc, s76, v4
	v_mov_b32_e32 v1, 0x7f800001
	s_and_saveexec_b64 s[66:67], vcc
	s_cbranch_execz .LBB4_1494
; %bb.1493:                             ;   in Loop: Header=BB4_1409 Depth=2
	v_and_b32_e32 v1, 7, v24
	v_ffbh_u32_e32 v6, v1
	v_min_u32_e32 v8, 32, v6
	v_subrev_u32_e32 v6, 28, v8
	v_lshlrev_b64 v[6:7], v6, v[24:25]
	v_lshrrev_b32_e32 v5, 3, v4
	v_sub_u32_e32 v7, 29, v8
	v_and_b32_e32 v6, 7, v6
	v_cmp_gt_u32_e32 vcc, 8, v4
	v_cndmask_b32_e32 v4, v5, v7, vcc
	v_cndmask_b32_e32 v1, v1, v6, vcc
	v_lshlrev_b32_e32 v5, 24, v24
	v_lshlrev_b32_e32 v1, 20, v1
	v_and_b32_e32 v5, 0x80000000, v5
	v_lshl_add_u32 v4, v4, 23, v0
	v_or3_b32 v1, v5, v4, v1
.LBB4_1494:                             ;   in Loop: Header=BB4_1409 Depth=2
	s_or_b64 exec, exec, s[66:67]
.LBB4_1495:                             ;   in Loop: Header=BB4_1409 Depth=2
	s_or_b64 exec, exec, s[64:65]
.LBB4_1496:                             ;   in Loop: Header=BB4_1409 Depth=2
	s_or_b64 exec, exec, s[62:63]
	v_cmp_ne_u16_sdwa vcc, v2, v55 src0_sel:BYTE_0 src1_sel:DWORD
	s_and_saveexec_b64 s[62:63], vcc
	s_cbranch_execz .LBB4_1502
; %bb.1497:                             ;   in Loop: Header=BB4_1409 Depth=2
	v_cmp_ne_u16_sdwa vcc, v2, s75 src0_sel:BYTE_0 src1_sel:DWORD
	v_bfrev_b32_e32 v3, 1
	s_and_saveexec_b64 s[64:65], vcc
	s_cbranch_execz .LBB4_1501
; %bb.1498:                             ;   in Loop: Header=BB4_1409 Depth=2
	v_bfe_u32 v4, v10, 16, 7
	v_cmp_ne_u32_e32 vcc, s76, v4
	v_mov_b32_e32 v3, 0x7f800001
	s_and_saveexec_b64 s[66:67], vcc
	s_cbranch_execz .LBB4_1500
; %bb.1499:                             ;   in Loop: Header=BB4_1409 Depth=2
	v_and_b32_e32 v3, 7, v2
	v_ffbh_u32_e32 v6, v3
	v_min_u32_e32 v8, 32, v6
	v_subrev_u32_e32 v6, 28, v8
	v_lshlrev_b64 v[6:7], v6, v[2:3]
	v_lshrrev_b32_e32 v5, 3, v4
	v_sub_u32_e32 v7, 29, v8
	v_and_b32_e32 v6, 7, v6
	v_cmp_gt_u32_e32 vcc, 8, v4
	v_cndmask_b32_e32 v4, v5, v7, vcc
	v_cndmask_b32_e32 v3, v3, v6, vcc
	v_lshlrev_b32_e32 v5, 24, v2
	v_lshlrev_b32_e32 v3, 20, v3
	v_and_b32_e32 v5, 0x80000000, v5
	v_lshl_add_u32 v4, v4, 23, v0
	v_or3_b32 v3, v5, v4, v3
.LBB4_1500:                             ;   in Loop: Header=BB4_1409 Depth=2
	s_or_b64 exec, exec, s[66:67]
.LBB4_1501:                             ;   in Loop: Header=BB4_1409 Depth=2
	s_or_b64 exec, exec, s[64:65]
.LBB4_1502:                             ;   in Loop: Header=BB4_1409 Depth=2
	s_or_b64 exec, exec, s[62:63]
	v_max_f32_e32 v3, v3, v3
	v_max_f32_e32 v1, v1, v1
	;; [unrolled: 1-line block ×3, first 2 shown]
	s_branch .LBB4_1517
.LBB4_1503:                             ;   in Loop: Header=BB4_1409 Depth=2
                                        ; implicit-def: $vgpr3
	s_cbranch_execz .LBB4_1517
; %bb.1504:                             ;   in Loop: Header=BB4_1409 Depth=2
	v_mov_b32_e32 v3, 0
	v_mov_b32_e32 v1, 0
	s_and_saveexec_b64 s[62:63], s[24:25]
	s_cbranch_execz .LBB4_1510
; %bb.1505:                             ;   in Loop: Header=BB4_1409 Depth=2
	v_cmp_ne_u16_sdwa vcc, v24, s75 src0_sel:BYTE_0 src1_sel:DWORD
	v_bfrev_b32_e32 v1, 1
	s_and_saveexec_b64 s[24:25], vcc
	s_cbranch_execz .LBB4_1509
; %bb.1506:                             ;   in Loop: Header=BB4_1409 Depth=2
	v_bfe_u32 v4, v14, 16, 7
	v_cmp_ne_u32_e32 vcc, s76, v4
	v_mov_b32_e32 v1, 0x7f800001
	s_and_saveexec_b64 s[64:65], vcc
	s_cbranch_execz .LBB4_1508
; %bb.1507:                             ;   in Loop: Header=BB4_1409 Depth=2
	v_and_b32_e32 v1, 7, v24
	v_ffbh_u32_e32 v6, v1
	v_min_u32_e32 v8, 32, v6
	v_subrev_u32_e32 v6, 28, v8
	v_lshlrev_b64 v[6:7], v6, v[24:25]
	v_lshrrev_b32_e32 v5, 3, v4
	v_sub_u32_e32 v7, 29, v8
	v_and_b32_e32 v6, 7, v6
	v_cmp_gt_u32_e32 vcc, 8, v4
	v_cndmask_b32_e32 v4, v5, v7, vcc
	v_cndmask_b32_e32 v1, v1, v6, vcc
	v_lshlrev_b32_e32 v5, 24, v24
	v_lshlrev_b32_e32 v1, 20, v1
	v_and_b32_e32 v5, 0x80000000, v5
	v_lshl_add_u32 v4, v4, 23, v0
	v_or3_b32 v1, v5, v4, v1
.LBB4_1508:                             ;   in Loop: Header=BB4_1409 Depth=2
	s_or_b64 exec, exec, s[64:65]
.LBB4_1509:                             ;   in Loop: Header=BB4_1409 Depth=2
	s_or_b64 exec, exec, s[24:25]
.LBB4_1510:                             ;   in Loop: Header=BB4_1409 Depth=2
	s_or_b64 exec, exec, s[62:63]
	v_cmp_ne_u16_sdwa vcc, v2, v55 src0_sel:BYTE_0 src1_sel:DWORD
	s_and_saveexec_b64 s[24:25], vcc
	s_cbranch_execz .LBB4_1516
; %bb.1511:                             ;   in Loop: Header=BB4_1409 Depth=2
	v_cmp_ne_u16_sdwa vcc, v2, s75 src0_sel:BYTE_0 src1_sel:DWORD
	v_bfrev_b32_e32 v3, 1
	s_and_saveexec_b64 s[62:63], vcc
	s_cbranch_execz .LBB4_1515
; %bb.1512:                             ;   in Loop: Header=BB4_1409 Depth=2
	v_bfe_u32 v4, v10, 16, 7
	v_cmp_ne_u32_e32 vcc, s76, v4
	v_mov_b32_e32 v3, 0x7f800001
	s_and_saveexec_b64 s[64:65], vcc
	s_cbranch_execz .LBB4_1514
; %bb.1513:                             ;   in Loop: Header=BB4_1409 Depth=2
	v_and_b32_e32 v3, 7, v2
	v_ffbh_u32_e32 v6, v3
	v_min_u32_e32 v8, 32, v6
	v_subrev_u32_e32 v6, 28, v8
	v_lshlrev_b64 v[6:7], v6, v[2:3]
	v_lshrrev_b32_e32 v5, 3, v4
	v_sub_u32_e32 v7, 29, v8
	v_and_b32_e32 v6, 7, v6
	v_cmp_gt_u32_e32 vcc, 8, v4
	v_cndmask_b32_e32 v4, v5, v7, vcc
	v_cndmask_b32_e32 v3, v3, v6, vcc
	v_lshlrev_b32_e32 v2, 24, v2
	v_lshlrev_b32_e32 v3, 20, v3
	v_and_b32_e32 v2, 0x80000000, v2
	v_lshl_add_u32 v4, v4, 23, v0
	v_or3_b32 v3, v2, v4, v3
.LBB4_1514:                             ;   in Loop: Header=BB4_1409 Depth=2
	s_or_b64 exec, exec, s[64:65]
.LBB4_1515:                             ;   in Loop: Header=BB4_1409 Depth=2
	s_or_b64 exec, exec, s[62:63]
.LBB4_1516:                             ;   in Loop: Header=BB4_1409 Depth=2
	s_or_b64 exec, exec, s[24:25]
	v_max_f32_e32 v2, v3, v3
	v_max_f32_e32 v1, v1, v1
	v_min_f32_e32 v3, v1, v2
.LBB4_1517:                             ;   in Loop: Header=BB4_1409 Depth=2
	v_and_b32_sdwa v1, v3, s75 dst_sel:DWORD dst_unused:UNUSED_PAD src0_sel:BYTE_3 src1_sel:DWORD
	v_and_b32_e32 v4, 0x7f800000, v3
	v_mov_b32_e32 v5, v55
	v_and_b32_e32 v54, 0x7fffff, v3
	v_or_b32_e32 v29, 0x7e, v1
	v_cmp_ne_u64_e32 vcc, s[44:45], v[4:5]
	s_and_saveexec_b64 s[24:25], vcc
	s_xor_b64 s[62:63], exec, s[24:25]
	s_cbranch_execz .LBB4_1527
; %bb.1518:                             ;   in Loop: Header=BB4_1409 Depth=2
	v_and_b32_e32 v4, 0x7fffffff, v3
	v_mov_b32_e32 v5, v55
	v_cmp_gt_u64_e32 vcc, s[46:47], v[4:5]
	s_and_saveexec_b64 s[64:65], vcc
	s_cbranch_execz .LBB4_1526
; %bb.1519:                             ;   in Loop: Header=BB4_1409 Depth=2
	v_cmp_ne_u32_e32 vcc, 0, v3
	v_mov_b32_e32 v29, 0
	s_and_saveexec_b64 s[66:67], vcc
	s_cbranch_execz .LBB4_1525
; %bb.1520:                             ;   in Loop: Header=BB4_1409 Depth=2
	v_bfe_u32 v2, v3, 23, 8
	v_sub_u32_e32 v4, 0x79, v2
	v_cmp_gt_u32_e32 vcc, s78, v2
	v_add_u32_e32 v3, 0xffffff81, v2
	v_cndmask_b32_e32 v4, 0, v4, vcc
	v_cmp_eq_u32_e32 vcc, 0, v2
	v_mov_b32_e32 v2, 0xffffff82
	v_cndmask_b32_e32 v24, v3, v2, vcc
	v_mov_b32_e32 v2, 0x78
	v_or_b32_e32 v5, 0x800000, v54
	v_cndmask_b32_e32 v4, v4, v2, vcc
	v_cndmask_b32_e32 v54, v5, v54, vcc
	v_add_u32_e32 v2, 20, v4
	v_lshlrev_b64 v[2:3], v2, -1
	v_add_u32_e32 v5, 19, v4
	v_lshrrev_b64 v[8:9], v4, v[54:55]
	v_not_b32_e32 v3, v3
	v_not_b32_e32 v2, v2
	v_lshlrev_b64 v[6:7], v5, 1
	v_lshrrev_b32_e32 v5, 23, v8
	v_and_b32_e32 v3, 0, v3
	v_and_b32_e32 v2, v54, v2
	v_add3_u32 v4, v4, v24, v5
	v_bfe_u32 v5, v8, 20, 1
	v_add_u32_e32 v5, -1, v5
	v_cmp_eq_u64_e32 vcc, v[2:3], v[6:7]
	v_cndmask_b32_e32 v2, 0, v5, vcc
	v_add_u32_e32 v2, v2, v8
	v_and_b32_e32 v2, 0xfffff, v2
	v_add_co_u32_e32 v2, vcc, v2, v8
	v_add_u32_e32 v25, 6, v4
	v_addc_co_u32_e32 v3, vcc, 0, v9, vcc
	v_cmp_ne_u32_e32 vcc, 0, v25
                                        ; implicit-def: $vgpr24
	s_and_saveexec_b64 s[24:25], vcc
	s_xor_b64 s[24:25], exec, s[24:25]
; %bb.1521:                             ;   in Loop: Header=BB4_1409 Depth=2
	v_add_u32_e32 v4, 7, v4
	v_cmp_lt_u64_e32 vcc, s[50:51], v[2:3]
	v_cndmask_b32_e32 v24, v25, v4, vcc
	v_cndmask_b32_e64 v4, 0, 1, vcc
	v_lshrrev_b64 v[2:3], v4, v[2:3]
; %bb.1522:                             ;   in Loop: Header=BB4_1409 Depth=2
	s_andn2_saveexec_b64 s[24:25], s[24:25]
; %bb.1523:                             ;   in Loop: Header=BB4_1409 Depth=2
	v_bfe_u32 v24, v2, 23, 1
; %bb.1524:                             ;   in Loop: Header=BB4_1409 Depth=2
	s_or_b64 exec, exec, s[24:25]
	v_lshrrev_b64 v[2:3], 20, v[2:3]
	v_cmp_gt_i32_e32 vcc, 16, v24
	v_cndmask_b32_e32 v3, 0, v3, vcc
	v_cndmask_b32_e32 v2, 7, v2, vcc
	v_cmp_eq_u64_e64 s[24:25], 0, v[2:3]
	v_min_i32_e32 v3, 15, v24
	v_cmp_eq_u32_e32 vcc, 0, v24
	v_lshlrev_b32_e32 v3, 3, v3
	v_and_or_b32 v2, v2, 7, v3
	s_and_b64 s[24:25], vcc, s[24:25]
	v_cndmask_b32_e64 v2, v2, 0, s[24:25]
	v_or_b32_e32 v29, v2, v1
.LBB4_1525:                             ;   in Loop: Header=BB4_1409 Depth=2
	s_or_b64 exec, exec, s[66:67]
.LBB4_1526:                             ;   in Loop: Header=BB4_1409 Depth=2
	s_or_b64 exec, exec, s[64:65]
                                        ; implicit-def: $vgpr3
.LBB4_1527:                             ;   in Loop: Header=BB4_1409 Depth=2
	s_andn2_saveexec_b64 s[24:25], s[62:63]
; %bb.1528:                             ;   in Loop: Header=BB4_1409 Depth=2
	v_or_b32_sdwa v1, v3, s76 dst_sel:DWORD dst_unused:UNUSED_PAD src0_sel:BYTE_3 src1_sel:DWORD
	v_cmp_eq_u64_e32 vcc, 0, v[54:55]
	v_cndmask_b32_e32 v29, v1, v29, vcc
; %bb.1529:                             ;   in Loop: Header=BB4_1409 Depth=2
	s_or_b64 exec, exec, s[24:25]
	v_lshrrev_b32_e32 v24, 24, v14
	v_lshrrev_b32_e32 v2, 24, v10
	v_cmp_lt_u32_e64 s[24:25], s49, v14
	s_and_b64 vcc, exec, s[60:61]
	s_cbranch_vccz .LBB4_1543
; %bb.1530:                             ;   in Loop: Header=BB4_1409 Depth=2
	v_mov_b32_e32 v3, 0
	v_mov_b32_e32 v1, 0
	s_and_saveexec_b64 s[62:63], s[24:25]
	s_cbranch_execz .LBB4_1536
; %bb.1531:                             ;   in Loop: Header=BB4_1409 Depth=2
	v_cmp_ne_u32_e32 vcc, s75, v24
	v_bfrev_b32_e32 v1, 1
	s_and_saveexec_b64 s[64:65], vcc
	s_cbranch_execz .LBB4_1535
; %bb.1532:                             ;   in Loop: Header=BB4_1409 Depth=2
	v_bfe_u32 v4, v14, 24, 7
	v_cmp_ne_u32_e32 vcc, s76, v4
	v_mov_b32_e32 v1, 0x7f800001
	s_and_saveexec_b64 s[66:67], vcc
	s_cbranch_execz .LBB4_1534
; %bb.1533:                             ;   in Loop: Header=BB4_1409 Depth=2
	v_and_b32_e32 v1, 7, v24
	v_ffbh_u32_e32 v6, v1
	v_min_u32_e32 v8, 32, v6
	v_subrev_u32_e32 v6, 28, v8
	v_lshlrev_b64 v[6:7], v6, v[24:25]
	v_lshrrev_b32_e32 v5, 3, v4
	v_sub_u32_e32 v7, 29, v8
	v_and_b32_e32 v6, 7, v6
	v_cmp_gt_u32_e32 vcc, 8, v4
	v_cndmask_b32_e32 v4, v5, v7, vcc
	v_cndmask_b32_e32 v1, v1, v6, vcc
	v_lshlrev_b32_e32 v5, 24, v24
	v_lshlrev_b32_e32 v1, 20, v1
	v_and_b32_e32 v5, 0x80000000, v5
	v_lshl_add_u32 v4, v4, 23, v0
	v_or3_b32 v1, v5, v4, v1
.LBB4_1534:                             ;   in Loop: Header=BB4_1409 Depth=2
	s_or_b64 exec, exec, s[66:67]
.LBB4_1535:                             ;   in Loop: Header=BB4_1409 Depth=2
	s_or_b64 exec, exec, s[64:65]
.LBB4_1536:                             ;   in Loop: Header=BB4_1409 Depth=2
	s_or_b64 exec, exec, s[62:63]
	v_cmp_lt_u32_e32 vcc, s49, v10
	s_and_saveexec_b64 s[62:63], vcc
	s_cbranch_execz .LBB4_1542
; %bb.1537:                             ;   in Loop: Header=BB4_1409 Depth=2
	v_cmp_ne_u32_e32 vcc, s75, v2
	v_bfrev_b32_e32 v3, 1
	s_and_saveexec_b64 s[64:65], vcc
	s_cbranch_execz .LBB4_1541
; %bb.1538:                             ;   in Loop: Header=BB4_1409 Depth=2
	v_bfe_u32 v4, v10, 24, 7
	v_cmp_ne_u32_e32 vcc, s76, v4
	v_mov_b32_e32 v3, 0x7f800001
	s_and_saveexec_b64 s[66:67], vcc
	s_cbranch_execz .LBB4_1540
; %bb.1539:                             ;   in Loop: Header=BB4_1409 Depth=2
	v_and_b32_e32 v3, 7, v2
	v_ffbh_u32_e32 v6, v3
	v_min_u32_e32 v8, 32, v6
	v_subrev_u32_e32 v6, 28, v8
	v_lshlrev_b64 v[6:7], v6, v[2:3]
	v_lshrrev_b32_e32 v5, 3, v4
	v_sub_u32_e32 v7, 29, v8
	v_and_b32_e32 v6, 7, v6
	v_cmp_gt_u32_e32 vcc, 8, v4
	v_cndmask_b32_e32 v4, v5, v7, vcc
	v_cndmask_b32_e32 v3, v3, v6, vcc
	v_lshlrev_b32_e32 v5, 24, v2
	v_lshlrev_b32_e32 v3, 20, v3
	v_and_b32_e32 v5, 0x80000000, v5
	v_lshl_add_u32 v4, v4, 23, v0
	v_or3_b32 v3, v5, v4, v3
.LBB4_1540:                             ;   in Loop: Header=BB4_1409 Depth=2
	s_or_b64 exec, exec, s[66:67]
.LBB4_1541:                             ;   in Loop: Header=BB4_1409 Depth=2
	s_or_b64 exec, exec, s[64:65]
.LBB4_1542:                             ;   in Loop: Header=BB4_1409 Depth=2
	s_or_b64 exec, exec, s[62:63]
	v_max_f32_e32 v3, v3, v3
	v_max_f32_e32 v1, v1, v1
	;; [unrolled: 1-line block ×3, first 2 shown]
	s_branch .LBB4_1557
.LBB4_1543:                             ;   in Loop: Header=BB4_1409 Depth=2
                                        ; implicit-def: $vgpr3
	s_cbranch_execz .LBB4_1557
; %bb.1544:                             ;   in Loop: Header=BB4_1409 Depth=2
	v_mov_b32_e32 v3, 0
	v_mov_b32_e32 v1, 0
	s_and_saveexec_b64 s[62:63], s[24:25]
	s_cbranch_execz .LBB4_1550
; %bb.1545:                             ;   in Loop: Header=BB4_1409 Depth=2
	v_cmp_ne_u32_e32 vcc, s75, v24
	v_bfrev_b32_e32 v1, 1
	s_and_saveexec_b64 s[24:25], vcc
	s_cbranch_execz .LBB4_1549
; %bb.1546:                             ;   in Loop: Header=BB4_1409 Depth=2
	v_bfe_u32 v4, v14, 24, 7
	v_cmp_ne_u32_e32 vcc, s76, v4
	v_mov_b32_e32 v1, 0x7f800001
	s_and_saveexec_b64 s[64:65], vcc
	s_cbranch_execz .LBB4_1548
; %bb.1547:                             ;   in Loop: Header=BB4_1409 Depth=2
	v_and_b32_e32 v1, 7, v24
	v_ffbh_u32_e32 v6, v1
	v_min_u32_e32 v8, 32, v6
	v_subrev_u32_e32 v6, 28, v8
	v_lshlrev_b64 v[6:7], v6, v[24:25]
	v_lshrrev_b32_e32 v5, 3, v4
	v_sub_u32_e32 v7, 29, v8
	v_and_b32_e32 v6, 7, v6
	v_cmp_gt_u32_e32 vcc, 8, v4
	v_cndmask_b32_e32 v4, v5, v7, vcc
	v_cndmask_b32_e32 v1, v1, v6, vcc
	v_lshlrev_b32_e32 v5, 24, v24
	v_lshlrev_b32_e32 v1, 20, v1
	v_and_b32_e32 v5, 0x80000000, v5
	v_lshl_add_u32 v4, v4, 23, v0
	v_or3_b32 v1, v5, v4, v1
.LBB4_1548:                             ;   in Loop: Header=BB4_1409 Depth=2
	s_or_b64 exec, exec, s[64:65]
.LBB4_1549:                             ;   in Loop: Header=BB4_1409 Depth=2
	s_or_b64 exec, exec, s[24:25]
.LBB4_1550:                             ;   in Loop: Header=BB4_1409 Depth=2
	s_or_b64 exec, exec, s[62:63]
	v_cmp_lt_u32_e32 vcc, s49, v10
	s_and_saveexec_b64 s[24:25], vcc
	s_cbranch_execz .LBB4_1556
; %bb.1551:                             ;   in Loop: Header=BB4_1409 Depth=2
	v_cmp_ne_u32_e32 vcc, s75, v2
	v_bfrev_b32_e32 v3, 1
	s_and_saveexec_b64 s[62:63], vcc
	s_cbranch_execz .LBB4_1555
; %bb.1552:                             ;   in Loop: Header=BB4_1409 Depth=2
	v_bfe_u32 v4, v10, 24, 7
	v_cmp_ne_u32_e32 vcc, s76, v4
	v_mov_b32_e32 v3, 0x7f800001
	s_and_saveexec_b64 s[64:65], vcc
	s_cbranch_execz .LBB4_1554
; %bb.1553:                             ;   in Loop: Header=BB4_1409 Depth=2
	v_and_b32_e32 v3, 7, v2
	v_ffbh_u32_e32 v6, v3
	v_min_u32_e32 v8, 32, v6
	v_subrev_u32_e32 v6, 28, v8
	v_lshlrev_b64 v[6:7], v6, v[2:3]
	v_lshrrev_b32_e32 v5, 3, v4
	v_sub_u32_e32 v7, 29, v8
	v_and_b32_e32 v6, 7, v6
	v_cmp_gt_u32_e32 vcc, 8, v4
	v_cndmask_b32_e32 v4, v5, v7, vcc
	v_cndmask_b32_e32 v3, v3, v6, vcc
	v_lshlrev_b32_e32 v2, 24, v2
	v_lshlrev_b32_e32 v3, 20, v3
	v_and_b32_e32 v2, 0x80000000, v2
	v_lshl_add_u32 v4, v4, 23, v0
	v_or3_b32 v3, v2, v4, v3
.LBB4_1554:                             ;   in Loop: Header=BB4_1409 Depth=2
	s_or_b64 exec, exec, s[64:65]
.LBB4_1555:                             ;   in Loop: Header=BB4_1409 Depth=2
	s_or_b64 exec, exec, s[62:63]
.LBB4_1556:                             ;   in Loop: Header=BB4_1409 Depth=2
	s_or_b64 exec, exec, s[24:25]
	v_max_f32_e32 v2, v3, v3
	v_max_f32_e32 v1, v1, v1
	v_min_f32_e32 v3, v1, v2
.LBB4_1557:                             ;   in Loop: Header=BB4_1409 Depth=2
	v_and_b32_sdwa v24, v3, s75 dst_sel:DWORD dst_unused:UNUSED_PAD src0_sel:BYTE_3 src1_sel:DWORD
	v_and_b32_e32 v4, 0x7f800000, v3
	v_mov_b32_e32 v5, v55
	v_and_b32_e32 v54, 0x7fffff, v3
	v_or_b32_e32 v1, 0x7e, v24
	v_cmp_ne_u64_e32 vcc, s[44:45], v[4:5]
	s_and_saveexec_b64 s[24:25], vcc
	s_xor_b64 s[62:63], exec, s[24:25]
	s_cbranch_execz .LBB4_1567
; %bb.1558:                             ;   in Loop: Header=BB4_1409 Depth=2
	v_and_b32_e32 v4, 0x7fffffff, v3
	v_mov_b32_e32 v5, v55
	v_cmp_gt_u64_e32 vcc, s[46:47], v[4:5]
	s_and_saveexec_b64 s[64:65], vcc
	s_cbranch_execz .LBB4_1566
; %bb.1559:                             ;   in Loop: Header=BB4_1409 Depth=2
	v_cmp_ne_u32_e32 vcc, 0, v3
	v_mov_b32_e32 v1, 0
	s_and_saveexec_b64 s[66:67], vcc
	s_cbranch_execz .LBB4_1565
; %bb.1560:                             ;   in Loop: Header=BB4_1409 Depth=2
	v_bfe_u32 v1, v3, 23, 8
	v_sub_u32_e32 v3, 0x79, v1
	v_cmp_gt_u32_e32 vcc, s78, v1
	v_add_u32_e32 v2, 0xffffff81, v1
	v_cndmask_b32_e32 v3, 0, v3, vcc
	v_cmp_eq_u32_e32 vcc, 0, v1
	v_mov_b32_e32 v1, 0xffffff82
	v_cndmask_b32_e32 v1, v2, v1, vcc
	v_mov_b32_e32 v2, 0x78
	v_or_b32_e32 v4, 0x800000, v54
	v_cndmask_b32_e32 v5, v3, v2, vcc
	v_cndmask_b32_e32 v54, v4, v54, vcc
	v_add_u32_e32 v2, 20, v5
	v_lshlrev_b64 v[2:3], v2, -1
	v_add_u32_e32 v4, 19, v5
	v_lshrrev_b64 v[8:9], v5, v[54:55]
	v_not_b32_e32 v3, v3
	v_not_b32_e32 v2, v2
	v_lshlrev_b64 v[6:7], v4, 1
	v_lshrrev_b32_e32 v4, 23, v8
	v_and_b32_e32 v3, 0, v3
	v_and_b32_e32 v2, v54, v2
	v_add3_u32 v4, v5, v1, v4
	v_bfe_u32 v1, v8, 20, 1
	v_add_u32_e32 v1, -1, v1
	v_cmp_eq_u64_e32 vcc, v[2:3], v[6:7]
	v_cndmask_b32_e32 v1, 0, v1, vcc
	v_add_u32_e32 v1, v1, v8
	v_and_b32_e32 v1, 0xfffff, v1
	v_add_co_u32_e32 v2, vcc, v1, v8
	v_add_u32_e32 v25, 6, v4
	v_addc_co_u32_e32 v3, vcc, 0, v9, vcc
	v_cmp_ne_u32_e32 vcc, 0, v25
                                        ; implicit-def: $vgpr1
	s_and_saveexec_b64 s[24:25], vcc
	s_xor_b64 s[24:25], exec, s[24:25]
; %bb.1561:                             ;   in Loop: Header=BB4_1409 Depth=2
	v_cmp_lt_u64_e32 vcc, s[50:51], v[2:3]
	v_add_u32_e32 v1, 7, v4
	v_cndmask_b32_e64 v4, 0, 1, vcc
	v_cndmask_b32_e32 v1, v25, v1, vcc
	v_lshrrev_b64 v[2:3], v4, v[2:3]
; %bb.1562:                             ;   in Loop: Header=BB4_1409 Depth=2
	s_andn2_saveexec_b64 s[24:25], s[24:25]
; %bb.1563:                             ;   in Loop: Header=BB4_1409 Depth=2
	v_bfe_u32 v1, v2, 23, 1
; %bb.1564:                             ;   in Loop: Header=BB4_1409 Depth=2
	s_or_b64 exec, exec, s[24:25]
	v_lshrrev_b64 v[2:3], 20, v[2:3]
	v_cmp_gt_i32_e32 vcc, 16, v1
	v_cndmask_b32_e32 v3, 0, v3, vcc
	v_cndmask_b32_e32 v2, 7, v2, vcc
	v_cmp_eq_u32_e32 vcc, 0, v1
	v_min_i32_e32 v1, 15, v1
	v_cmp_eq_u64_e64 s[24:25], 0, v[2:3]
	v_lshlrev_b32_e32 v1, 3, v1
	v_and_or_b32 v1, v2, 7, v1
	s_and_b64 s[24:25], vcc, s[24:25]
	v_cndmask_b32_e64 v1, v1, 0, s[24:25]
	v_or_b32_e32 v1, v1, v24
.LBB4_1565:                             ;   in Loop: Header=BB4_1409 Depth=2
	s_or_b64 exec, exec, s[66:67]
.LBB4_1566:                             ;   in Loop: Header=BB4_1409 Depth=2
	s_or_b64 exec, exec, s[64:65]
                                        ; implicit-def: $vgpr3
.LBB4_1567:                             ;   in Loop: Header=BB4_1409 Depth=2
	s_andn2_saveexec_b64 s[24:25], s[62:63]
; %bb.1568:                             ;   in Loop: Header=BB4_1409 Depth=2
	v_or_b32_sdwa v2, v3, s76 dst_sel:DWORD dst_unused:UNUSED_PAD src0_sel:BYTE_3 src1_sel:DWORD
	v_cmp_eq_u64_e32 vcc, 0, v[54:55]
	v_cndmask_b32_e32 v1, v2, v1, vcc
; %bb.1569:                             ;   in Loop: Header=BB4_1409 Depth=2
	s_or_b64 exec, exec, s[24:25]
	v_mov_b32_e32 v54, v15
	v_mov_b32_e32 v24, v11
	;; [unrolled: 1-line block ×3, first 2 shown]
	v_cmp_ne_u16_sdwa s[24:25], v15, v55 src0_sel:BYTE_0 src1_sel:DWORD
	s_and_b64 vcc, exec, s[60:61]
	s_cbranch_vccz .LBB4_1583
; %bb.1570:                             ;   in Loop: Header=BB4_1409 Depth=2
	v_mov_b32_e32 v3, 0
	v_mov_b32_e32 v2, 0
	s_and_saveexec_b64 s[62:63], s[24:25]
	s_cbranch_execz .LBB4_1576
; %bb.1571:                             ;   in Loop: Header=BB4_1409 Depth=2
	v_cmp_ne_u16_sdwa vcc, v15, s75 src0_sel:BYTE_0 src1_sel:DWORD
	v_bfrev_b32_e32 v2, 1
	s_and_saveexec_b64 s[64:65], vcc
	s_cbranch_execz .LBB4_1575
; %bb.1572:                             ;   in Loop: Header=BB4_1409 Depth=2
	v_and_b32_e32 v4, 0x7f, v15
	v_cmp_ne_u32_e32 vcc, s76, v4
	v_mov_b32_e32 v2, 0x7f800001
	s_and_saveexec_b64 s[66:67], vcc
	s_cbranch_execz .LBB4_1574
; %bb.1573:                             ;   in Loop: Header=BB4_1409 Depth=2
	v_and_b32_e32 v2, 7, v15
	v_ffbh_u32_e32 v2, v2
	v_min_u32_e32 v2, 32, v2
	v_subrev_u32_e32 v6, 28, v2
	v_cmp_gt_u32_e32 vcc, 8, v4
	v_lshrrev_b32_e32 v5, 3, v4
	v_sub_u32_e32 v2, 29, v2
	v_cndmask_b32_e32 v4, 0, v6, vcc
	v_cndmask_b32_e32 v2, v5, v2, vcc
	v_lshlrev_b64 v[4:5], v4, v[54:55]
	v_lshlrev_b32_e32 v4, 20, v4
	v_lshlrev_b32_e32 v5, 24, v54
	v_and_b32_e32 v4, 0x700000, v4
	v_and_b32_e32 v5, 0x80000000, v5
	v_lshl_add_u32 v2, v2, 23, v0
	v_or3_b32 v2, v5, v2, v4
.LBB4_1574:                             ;   in Loop: Header=BB4_1409 Depth=2
	s_or_b64 exec, exec, s[66:67]
.LBB4_1575:                             ;   in Loop: Header=BB4_1409 Depth=2
	s_or_b64 exec, exec, s[64:65]
.LBB4_1576:                             ;   in Loop: Header=BB4_1409 Depth=2
	s_or_b64 exec, exec, s[62:63]
	v_cmp_ne_u16_sdwa vcc, v11, v55 src0_sel:BYTE_0 src1_sel:DWORD
	s_and_saveexec_b64 s[62:63], vcc
	s_cbranch_execz .LBB4_1582
; %bb.1577:                             ;   in Loop: Header=BB4_1409 Depth=2
	v_cmp_ne_u16_sdwa vcc, v11, s75 src0_sel:BYTE_0 src1_sel:DWORD
	v_bfrev_b32_e32 v3, 1
	s_and_saveexec_b64 s[64:65], vcc
	s_cbranch_execz .LBB4_1581
; %bb.1578:                             ;   in Loop: Header=BB4_1409 Depth=2
	v_and_b32_e32 v4, 0x7f, v11
	v_cmp_ne_u32_e32 vcc, s76, v4
	v_mov_b32_e32 v3, 0x7f800001
	s_and_saveexec_b64 s[66:67], vcc
	s_cbranch_execz .LBB4_1580
; %bb.1579:                             ;   in Loop: Header=BB4_1409 Depth=2
	v_and_b32_e32 v3, 7, v11
	v_ffbh_u32_e32 v3, v3
	v_min_u32_e32 v3, 32, v3
	v_subrev_u32_e32 v6, 28, v3
	v_cmp_gt_u32_e32 vcc, 8, v4
	v_lshrrev_b32_e32 v5, 3, v4
	v_sub_u32_e32 v3, 29, v3
	v_cndmask_b32_e32 v4, 0, v6, vcc
	v_cndmask_b32_e32 v3, v5, v3, vcc
	v_lshlrev_b64 v[4:5], v4, v[24:25]
	v_lshlrev_b32_e32 v4, 20, v4
	v_lshlrev_b32_e32 v5, 24, v24
	v_and_b32_e32 v4, 0x700000, v4
	v_and_b32_e32 v5, 0x80000000, v5
	v_lshl_add_u32 v3, v3, 23, v0
	v_or3_b32 v3, v5, v3, v4
.LBB4_1580:                             ;   in Loop: Header=BB4_1409 Depth=2
	s_or_b64 exec, exec, s[66:67]
.LBB4_1581:                             ;   in Loop: Header=BB4_1409 Depth=2
	s_or_b64 exec, exec, s[64:65]
.LBB4_1582:                             ;   in Loop: Header=BB4_1409 Depth=2
	s_or_b64 exec, exec, s[62:63]
	v_max_f32_e32 v3, v3, v3
	v_max_f32_e32 v2, v2, v2
	;; [unrolled: 1-line block ×3, first 2 shown]
	s_branch .LBB4_1597
.LBB4_1583:                             ;   in Loop: Header=BB4_1409 Depth=2
                                        ; implicit-def: $vgpr27
	s_cbranch_execz .LBB4_1597
; %bb.1584:                             ;   in Loop: Header=BB4_1409 Depth=2
	v_mov_b32_e32 v3, 0
	v_mov_b32_e32 v2, 0
	s_and_saveexec_b64 s[62:63], s[24:25]
	s_cbranch_execz .LBB4_1590
; %bb.1585:                             ;   in Loop: Header=BB4_1409 Depth=2
	v_cmp_ne_u16_sdwa vcc, v15, s75 src0_sel:BYTE_0 src1_sel:DWORD
	v_bfrev_b32_e32 v2, 1
	s_and_saveexec_b64 s[24:25], vcc
	s_cbranch_execz .LBB4_1589
; %bb.1586:                             ;   in Loop: Header=BB4_1409 Depth=2
	v_and_b32_e32 v4, 0x7f, v15
	v_cmp_ne_u32_e32 vcc, s76, v4
	v_mov_b32_e32 v2, 0x7f800001
	s_and_saveexec_b64 s[64:65], vcc
	s_cbranch_execz .LBB4_1588
; %bb.1587:                             ;   in Loop: Header=BB4_1409 Depth=2
	v_and_b32_e32 v2, 7, v15
	v_ffbh_u32_e32 v2, v2
	v_min_u32_e32 v2, 32, v2
	v_subrev_u32_e32 v6, 28, v2
	v_cmp_gt_u32_e32 vcc, 8, v4
	v_lshrrev_b32_e32 v5, 3, v4
	v_sub_u32_e32 v2, 29, v2
	v_cndmask_b32_e32 v4, 0, v6, vcc
	v_cndmask_b32_e32 v2, v5, v2, vcc
	v_lshlrev_b64 v[4:5], v4, v[54:55]
	v_lshlrev_b32_e32 v4, 20, v4
	v_lshlrev_b32_e32 v5, 24, v54
	v_and_b32_e32 v4, 0x700000, v4
	v_and_b32_e32 v5, 0x80000000, v5
	v_lshl_add_u32 v2, v2, 23, v0
	v_or3_b32 v2, v5, v2, v4
.LBB4_1588:                             ;   in Loop: Header=BB4_1409 Depth=2
	s_or_b64 exec, exec, s[64:65]
.LBB4_1589:                             ;   in Loop: Header=BB4_1409 Depth=2
	s_or_b64 exec, exec, s[24:25]
.LBB4_1590:                             ;   in Loop: Header=BB4_1409 Depth=2
	s_or_b64 exec, exec, s[62:63]
	v_cmp_ne_u16_sdwa vcc, v11, v55 src0_sel:BYTE_0 src1_sel:DWORD
	s_and_saveexec_b64 s[24:25], vcc
	s_cbranch_execz .LBB4_1596
; %bb.1591:                             ;   in Loop: Header=BB4_1409 Depth=2
	v_cmp_ne_u16_sdwa vcc, v11, s75 src0_sel:BYTE_0 src1_sel:DWORD
	v_bfrev_b32_e32 v3, 1
	s_and_saveexec_b64 s[62:63], vcc
	s_cbranch_execz .LBB4_1595
; %bb.1592:                             ;   in Loop: Header=BB4_1409 Depth=2
	v_and_b32_e32 v4, 0x7f, v11
	v_cmp_ne_u32_e32 vcc, s76, v4
	v_mov_b32_e32 v3, 0x7f800001
	s_and_saveexec_b64 s[64:65], vcc
	s_cbranch_execz .LBB4_1594
; %bb.1593:                             ;   in Loop: Header=BB4_1409 Depth=2
	v_and_b32_e32 v3, 7, v11
	v_ffbh_u32_e32 v3, v3
	v_min_u32_e32 v3, 32, v3
	v_subrev_u32_e32 v6, 28, v3
	v_cmp_gt_u32_e32 vcc, 8, v4
	v_lshrrev_b32_e32 v5, 3, v4
	v_sub_u32_e32 v3, 29, v3
	v_cndmask_b32_e32 v4, 0, v6, vcc
	v_cndmask_b32_e32 v3, v5, v3, vcc
	v_lshlrev_b64 v[4:5], v4, v[24:25]
	v_lshlrev_b32_e32 v4, 20, v4
	v_lshlrev_b32_e32 v5, 24, v24
	v_and_b32_e32 v4, 0x700000, v4
	v_and_b32_e32 v5, 0x80000000, v5
	v_lshl_add_u32 v3, v3, 23, v0
	v_or3_b32 v3, v5, v3, v4
.LBB4_1594:                             ;   in Loop: Header=BB4_1409 Depth=2
	s_or_b64 exec, exec, s[64:65]
.LBB4_1595:                             ;   in Loop: Header=BB4_1409 Depth=2
	s_or_b64 exec, exec, s[62:63]
.LBB4_1596:                             ;   in Loop: Header=BB4_1409 Depth=2
	s_or_b64 exec, exec, s[24:25]
	v_max_f32_e32 v3, v3, v3
	v_max_f32_e32 v2, v2, v2
	v_min_f32_e32 v27, v2, v3
.LBB4_1597:                             ;   in Loop: Header=BB4_1409 Depth=2
	v_and_b32_sdwa v26, v27, s75 dst_sel:DWORD dst_unused:UNUSED_PAD src0_sel:BYTE_3 src1_sel:DWORD
	v_and_b32_e32 v4, 0x7f800000, v27
	v_mov_b32_e32 v5, v55
	v_and_b32_e32 v2, 0x7fffff, v27
	v_mov_b32_e32 v3, v55
	v_or_b32_e32 v25, 0x7e, v26
	v_cmp_ne_u64_e32 vcc, s[44:45], v[4:5]
	s_and_saveexec_b64 s[24:25], vcc
	s_xor_b64 s[62:63], exec, s[24:25]
	s_cbranch_execz .LBB4_1607
; %bb.1598:                             ;   in Loop: Header=BB4_1409 Depth=2
	v_and_b32_e32 v4, 0x7fffffff, v27
	v_mov_b32_e32 v5, v55
	v_cmp_gt_u64_e32 vcc, s[46:47], v[4:5]
	s_and_saveexec_b64 s[64:65], vcc
	s_cbranch_execz .LBB4_1606
; %bb.1599:                             ;   in Loop: Header=BB4_1409 Depth=2
	v_cmp_ne_u32_e32 vcc, 0, v27
	v_mov_b32_e32 v25, 0
	s_and_saveexec_b64 s[66:67], vcc
	s_cbranch_execz .LBB4_1605
; %bb.1600:                             ;   in Loop: Header=BB4_1409 Depth=2
	v_bfe_u32 v4, v27, 23, 8
	v_sub_u32_e32 v6, 0x79, v4
	v_cmp_gt_u32_e32 vcc, s78, v4
	v_add_u32_e32 v5, 0xffffff81, v4
	v_cndmask_b32_e32 v6, 0, v6, vcc
	v_cmp_eq_u32_e32 vcc, 0, v4
	v_mov_b32_e32 v4, 0xffffff82
	v_cndmask_b32_e32 v25, v5, v4, vcc
	v_mov_b32_e32 v4, 0x78
	v_cndmask_b32_e32 v27, v6, v4, vcc
	v_add_u32_e32 v4, 20, v27
	v_or_b32_e32 v7, 0x800000, v2
	v_lshlrev_b64 v[4:5], v4, -1
	v_cndmask_b32_e32 v2, v7, v2, vcc
	v_not_b32_e32 v4, v4
	v_not_b32_e32 v5, v5
	v_and_b32_e32 v6, v2, v4
	v_add_u32_e32 v4, 19, v27
	v_lshrrev_b64 v[2:3], v27, v[2:3]
	v_and_b32_e32 v7, 0, v5
	v_lshlrev_b64 v[8:9], v4, 1
	v_bfe_u32 v5, v2, 20, 1
	v_add_u32_e32 v5, -1, v5
	v_cmp_eq_u64_e32 vcc, v[6:7], v[8:9]
	v_cndmask_b32_e32 v5, 0, v5, vcc
	v_add_u32_e32 v5, v5, v2
	v_lshrrev_b32_e32 v4, 23, v2
	v_and_b32_e32 v5, 0xfffff, v5
	v_add3_u32 v4, v27, v25, v4
	v_add_co_u32_e32 v2, vcc, v5, v2
	v_add_u32_e32 v27, 6, v4
	v_addc_co_u32_e32 v3, vcc, 0, v3, vcc
	v_cmp_ne_u32_e32 vcc, 0, v27
                                        ; implicit-def: $vgpr25
	s_and_saveexec_b64 s[24:25], vcc
	s_xor_b64 s[24:25], exec, s[24:25]
; %bb.1601:                             ;   in Loop: Header=BB4_1409 Depth=2
	v_add_u32_e32 v4, 7, v4
	v_cmp_lt_u64_e32 vcc, s[50:51], v[2:3]
	v_cndmask_b32_e32 v25, v27, v4, vcc
	v_cndmask_b32_e64 v4, 0, 1, vcc
	v_lshrrev_b64 v[2:3], v4, v[2:3]
; %bb.1602:                             ;   in Loop: Header=BB4_1409 Depth=2
	s_andn2_saveexec_b64 s[24:25], s[24:25]
; %bb.1603:                             ;   in Loop: Header=BB4_1409 Depth=2
	v_bfe_u32 v25, v2, 23, 1
; %bb.1604:                             ;   in Loop: Header=BB4_1409 Depth=2
	s_or_b64 exec, exec, s[24:25]
	v_lshrrev_b64 v[2:3], 20, v[2:3]
	v_cmp_gt_i32_e32 vcc, 16, v25
	v_cndmask_b32_e32 v3, 0, v3, vcc
	v_cndmask_b32_e32 v2, 7, v2, vcc
	v_cmp_eq_u64_e64 s[24:25], 0, v[2:3]
	v_min_i32_e32 v3, 15, v25
	v_cmp_eq_u32_e32 vcc, 0, v25
	v_lshlrev_b32_e32 v3, 3, v3
	v_and_or_b32 v2, v2, 7, v3
	s_and_b64 s[24:25], vcc, s[24:25]
	v_cndmask_b32_e64 v2, v2, 0, s[24:25]
	v_or_b32_e32 v25, v2, v26
.LBB4_1605:                             ;   in Loop: Header=BB4_1409 Depth=2
	s_or_b64 exec, exec, s[66:67]
.LBB4_1606:                             ;   in Loop: Header=BB4_1409 Depth=2
	s_or_b64 exec, exec, s[64:65]
                                        ; implicit-def: $vgpr27
                                        ; implicit-def: $vgpr2_vgpr3
.LBB4_1607:                             ;   in Loop: Header=BB4_1409 Depth=2
	s_andn2_saveexec_b64 s[24:25], s[62:63]
; %bb.1608:                             ;   in Loop: Header=BB4_1409 Depth=2
	v_or_b32_sdwa v4, v27, s76 dst_sel:DWORD dst_unused:UNUSED_PAD src0_sel:BYTE_3 src1_sel:DWORD
	v_cmp_eq_u64_e32 vcc, 0, v[2:3]
	v_cndmask_b32_e32 v25, v4, v25, vcc
; %bb.1609:                             ;   in Loop: Header=BB4_1409 Depth=2
	s_or_b64 exec, exec, s[24:25]
	v_lshrrev_b16_e32 v28, 8, v54
	v_lshrrev_b16_e32 v2, 8, v24
	v_cmp_ne_u16_e64 s[24:25], 0, v28
	s_and_b64 vcc, exec, s[60:61]
	s_cbranch_vccz .LBB4_1623
; %bb.1610:                             ;   in Loop: Header=BB4_1409 Depth=2
	v_mov_b32_e32 v26, 0
	v_mov_b32_e32 v3, 0
	s_and_saveexec_b64 s[62:63], s[24:25]
	s_cbranch_execz .LBB4_1616
; %bb.1611:                             ;   in Loop: Header=BB4_1409 Depth=2
	v_cmp_ne_u16_e32 vcc, s75, v28
	v_bfrev_b32_e32 v3, 1
	s_and_saveexec_b64 s[64:65], vcc
	s_cbranch_execz .LBB4_1615
; %bb.1612:                             ;   in Loop: Header=BB4_1409 Depth=2
	v_and_b32_e32 v4, 0x7f, v28
	v_cmp_ne_u32_e32 vcc, s76, v4
	v_mov_b32_e32 v3, 0x7f800001
	s_and_saveexec_b64 s[66:67], vcc
	s_cbranch_execz .LBB4_1614
; %bb.1613:                             ;   in Loop: Header=BB4_1409 Depth=2
	v_and_b32_e32 v3, 7, v28
	v_ffbh_u32_e32 v6, v3
	v_min_u32_e32 v8, 32, v6
	v_subrev_u32_e32 v6, 28, v8
	v_lshlrev_b64 v[6:7], v6, v[28:29]
	v_lshrrev_b32_e32 v5, 3, v4
	v_sub_u32_e32 v7, 29, v8
	v_and_b32_e32 v6, 7, v6
	v_cmp_gt_u32_e32 vcc, 8, v4
	v_cndmask_b32_e32 v4, v5, v7, vcc
	v_cndmask_b32_e32 v3, v3, v6, vcc
	v_lshlrev_b32_e32 v5, 16, v54
	v_lshlrev_b32_e32 v3, 20, v3
	v_and_b32_e32 v5, 0x80000000, v5
	v_lshl_add_u32 v4, v4, 23, v0
	v_or3_b32 v3, v5, v4, v3
.LBB4_1614:                             ;   in Loop: Header=BB4_1409 Depth=2
	s_or_b64 exec, exec, s[66:67]
.LBB4_1615:                             ;   in Loop: Header=BB4_1409 Depth=2
	s_or_b64 exec, exec, s[64:65]
.LBB4_1616:                             ;   in Loop: Header=BB4_1409 Depth=2
	s_or_b64 exec, exec, s[62:63]
	v_cmp_ne_u16_e32 vcc, 0, v2
	s_and_saveexec_b64 s[62:63], vcc
	s_cbranch_execz .LBB4_1622
; %bb.1617:                             ;   in Loop: Header=BB4_1409 Depth=2
	v_cmp_ne_u16_e32 vcc, s75, v2
	v_bfrev_b32_e32 v26, 1
	s_and_saveexec_b64 s[64:65], vcc
	s_cbranch_execz .LBB4_1621
; %bb.1618:                             ;   in Loop: Header=BB4_1409 Depth=2
	v_and_b32_e32 v4, 0x7f, v2
	v_cmp_ne_u32_e32 vcc, s76, v4
	v_mov_b32_e32 v26, 0x7f800001
	s_and_saveexec_b64 s[66:67], vcc
	s_cbranch_execz .LBB4_1620
; %bb.1619:                             ;   in Loop: Header=BB4_1409 Depth=2
	v_and_b32_e32 v5, 7, v2
	v_ffbh_u32_e32 v6, v5
	v_min_u32_e32 v9, 32, v6
	v_subrev_u32_e32 v6, 28, v9
	v_lshlrev_b64 v[6:7], v6, v[2:3]
	v_lshrrev_b32_e32 v8, 3, v4
	v_sub_u32_e32 v7, 29, v9
	v_and_b32_e32 v6, 7, v6
	v_cmp_gt_u32_e32 vcc, 8, v4
	v_cndmask_b32_e32 v4, v8, v7, vcc
	v_cndmask_b32_e32 v5, v5, v6, vcc
	v_lshlrev_b32_e32 v6, 16, v24
	v_lshlrev_b32_e32 v5, 20, v5
	v_and_b32_e32 v6, 0x80000000, v6
	v_lshl_add_u32 v4, v4, 23, v0
	v_or3_b32 v26, v6, v4, v5
.LBB4_1620:                             ;   in Loop: Header=BB4_1409 Depth=2
	s_or_b64 exec, exec, s[66:67]
.LBB4_1621:                             ;   in Loop: Header=BB4_1409 Depth=2
	s_or_b64 exec, exec, s[64:65]
.LBB4_1622:                             ;   in Loop: Header=BB4_1409 Depth=2
	s_or_b64 exec, exec, s[62:63]
	v_max_f32_e32 v4, v26, v26
	v_max_f32_e32 v3, v3, v3
	;; [unrolled: 1-line block ×3, first 2 shown]
	s_branch .LBB4_1637
.LBB4_1623:                             ;   in Loop: Header=BB4_1409 Depth=2
                                        ; implicit-def: $vgpr3
	s_cbranch_execz .LBB4_1637
; %bb.1624:                             ;   in Loop: Header=BB4_1409 Depth=2
	v_mov_b32_e32 v26, 0
	v_mov_b32_e32 v3, 0
	s_and_saveexec_b64 s[62:63], s[24:25]
	s_cbranch_execz .LBB4_1630
; %bb.1625:                             ;   in Loop: Header=BB4_1409 Depth=2
	v_cmp_ne_u16_e32 vcc, s75, v28
	v_bfrev_b32_e32 v3, 1
	s_and_saveexec_b64 s[24:25], vcc
	s_cbranch_execz .LBB4_1629
; %bb.1626:                             ;   in Loop: Header=BB4_1409 Depth=2
	v_and_b32_e32 v4, 0x7f, v28
	v_cmp_ne_u32_e32 vcc, s76, v4
	v_mov_b32_e32 v3, 0x7f800001
	s_and_saveexec_b64 s[64:65], vcc
	s_cbranch_execz .LBB4_1628
; %bb.1627:                             ;   in Loop: Header=BB4_1409 Depth=2
	v_and_b32_e32 v3, 7, v28
	v_ffbh_u32_e32 v6, v3
	v_min_u32_e32 v8, 32, v6
	v_subrev_u32_e32 v6, 28, v8
	v_lshlrev_b64 v[6:7], v6, v[28:29]
	v_lshrrev_b32_e32 v5, 3, v4
	v_sub_u32_e32 v7, 29, v8
	v_and_b32_e32 v6, 7, v6
	v_cmp_gt_u32_e32 vcc, 8, v4
	v_cndmask_b32_e32 v4, v5, v7, vcc
	v_cndmask_b32_e32 v3, v3, v6, vcc
	v_lshlrev_b32_e32 v5, 16, v54
	v_lshlrev_b32_e32 v3, 20, v3
	v_and_b32_e32 v5, 0x80000000, v5
	v_lshl_add_u32 v4, v4, 23, v0
	v_or3_b32 v3, v5, v4, v3
.LBB4_1628:                             ;   in Loop: Header=BB4_1409 Depth=2
	s_or_b64 exec, exec, s[64:65]
.LBB4_1629:                             ;   in Loop: Header=BB4_1409 Depth=2
	s_or_b64 exec, exec, s[24:25]
.LBB4_1630:                             ;   in Loop: Header=BB4_1409 Depth=2
	s_or_b64 exec, exec, s[62:63]
	v_cmp_ne_u16_e32 vcc, 0, v2
	s_and_saveexec_b64 s[24:25], vcc
	s_cbranch_execz .LBB4_1636
; %bb.1631:                             ;   in Loop: Header=BB4_1409 Depth=2
	v_cmp_ne_u16_e32 vcc, s75, v2
	v_bfrev_b32_e32 v26, 1
	s_and_saveexec_b64 s[62:63], vcc
	s_cbranch_execz .LBB4_1635
; %bb.1632:                             ;   in Loop: Header=BB4_1409 Depth=2
	v_and_b32_e32 v4, 0x7f, v2
	v_cmp_ne_u32_e32 vcc, s76, v4
	v_mov_b32_e32 v26, 0x7f800001
	s_and_saveexec_b64 s[64:65], vcc
	s_cbranch_execz .LBB4_1634
; %bb.1633:                             ;   in Loop: Header=BB4_1409 Depth=2
	v_and_b32_e32 v5, 7, v2
	v_ffbh_u32_e32 v6, v5
	v_min_u32_e32 v9, 32, v6
	v_subrev_u32_e32 v6, 28, v9
	v_lshlrev_b64 v[6:7], v6, v[2:3]
	v_lshrrev_b32_e32 v8, 3, v4
	v_sub_u32_e32 v2, 29, v9
	v_and_b32_e32 v6, 7, v6
	v_cmp_gt_u32_e32 vcc, 8, v4
	v_cndmask_b32_e32 v2, v8, v2, vcc
	v_cndmask_b32_e32 v4, v5, v6, vcc
	v_lshlrev_b32_e32 v5, 16, v24
	v_lshlrev_b32_e32 v4, 20, v4
	v_and_b32_e32 v5, 0x80000000, v5
	v_lshl_add_u32 v2, v2, 23, v0
	v_or3_b32 v26, v5, v2, v4
.LBB4_1634:                             ;   in Loop: Header=BB4_1409 Depth=2
	s_or_b64 exec, exec, s[64:65]
.LBB4_1635:                             ;   in Loop: Header=BB4_1409 Depth=2
	s_or_b64 exec, exec, s[62:63]
.LBB4_1636:                             ;   in Loop: Header=BB4_1409 Depth=2
	s_or_b64 exec, exec, s[24:25]
	v_max_f32_e32 v2, v26, v26
	v_max_f32_e32 v3, v3, v3
	v_min_f32_e32 v3, v3, v2
.LBB4_1637:                             ;   in Loop: Header=BB4_1409 Depth=2
	v_and_b32_sdwa v24, v3, s75 dst_sel:DWORD dst_unused:UNUSED_PAD src0_sel:BYTE_3 src1_sel:DWORD
	v_and_b32_e32 v4, 0x7f800000, v3
	v_mov_b32_e32 v5, v55
	v_and_b32_e32 v54, 0x7fffff, v3
	v_or_b32_e32 v28, 0x7e, v24
	v_cmp_ne_u64_e32 vcc, s[44:45], v[4:5]
	s_and_saveexec_b64 s[24:25], vcc
	s_xor_b64 s[62:63], exec, s[24:25]
	s_cbranch_execz .LBB4_1647
; %bb.1638:                             ;   in Loop: Header=BB4_1409 Depth=2
	v_and_b32_e32 v4, 0x7fffffff, v3
	v_mov_b32_e32 v5, v55
	v_cmp_gt_u64_e32 vcc, s[46:47], v[4:5]
	s_and_saveexec_b64 s[64:65], vcc
	s_cbranch_execz .LBB4_1646
; %bb.1639:                             ;   in Loop: Header=BB4_1409 Depth=2
	v_cmp_ne_u32_e32 vcc, 0, v3
	v_mov_b32_e32 v28, 0
	s_and_saveexec_b64 s[66:67], vcc
	s_cbranch_execz .LBB4_1645
; %bb.1640:                             ;   in Loop: Header=BB4_1409 Depth=2
	v_bfe_u32 v2, v3, 23, 8
	v_sub_u32_e32 v4, 0x79, v2
	v_cmp_gt_u32_e32 vcc, s78, v2
	v_add_u32_e32 v3, 0xffffff81, v2
	v_cndmask_b32_e32 v4, 0, v4, vcc
	v_cmp_eq_u32_e32 vcc, 0, v2
	v_mov_b32_e32 v2, 0xffffff82
	v_cndmask_b32_e32 v26, v3, v2, vcc
	v_mov_b32_e32 v2, 0x78
	v_or_b32_e32 v5, 0x800000, v54
	v_cndmask_b32_e32 v4, v4, v2, vcc
	v_cndmask_b32_e32 v54, v5, v54, vcc
	v_add_u32_e32 v2, 20, v4
	v_lshlrev_b64 v[2:3], v2, -1
	v_add_u32_e32 v5, 19, v4
	v_lshrrev_b64 v[8:9], v4, v[54:55]
	v_not_b32_e32 v3, v3
	v_not_b32_e32 v2, v2
	v_lshlrev_b64 v[6:7], v5, 1
	v_lshrrev_b32_e32 v5, 23, v8
	v_and_b32_e32 v3, 0, v3
	v_and_b32_e32 v2, v54, v2
	v_add3_u32 v4, v4, v26, v5
	v_bfe_u32 v5, v8, 20, 1
	v_add_u32_e32 v5, -1, v5
	v_cmp_eq_u64_e32 vcc, v[2:3], v[6:7]
	v_cndmask_b32_e32 v2, 0, v5, vcc
	v_add_u32_e32 v2, v2, v8
	v_and_b32_e32 v2, 0xfffff, v2
	v_add_co_u32_e32 v2, vcc, v2, v8
	v_add_u32_e32 v27, 6, v4
	v_addc_co_u32_e32 v3, vcc, 0, v9, vcc
	v_cmp_ne_u32_e32 vcc, 0, v27
                                        ; implicit-def: $vgpr26
	s_and_saveexec_b64 s[24:25], vcc
	s_xor_b64 s[24:25], exec, s[24:25]
; %bb.1641:                             ;   in Loop: Header=BB4_1409 Depth=2
	v_add_u32_e32 v4, 7, v4
	v_cmp_lt_u64_e32 vcc, s[50:51], v[2:3]
	v_cndmask_b32_e32 v26, v27, v4, vcc
	v_cndmask_b32_e64 v4, 0, 1, vcc
	v_lshrrev_b64 v[2:3], v4, v[2:3]
; %bb.1642:                             ;   in Loop: Header=BB4_1409 Depth=2
	s_andn2_saveexec_b64 s[24:25], s[24:25]
; %bb.1643:                             ;   in Loop: Header=BB4_1409 Depth=2
	v_bfe_u32 v26, v2, 23, 1
; %bb.1644:                             ;   in Loop: Header=BB4_1409 Depth=2
	s_or_b64 exec, exec, s[24:25]
	v_lshrrev_b64 v[2:3], 20, v[2:3]
	v_cmp_gt_i32_e32 vcc, 16, v26
	v_cndmask_b32_e32 v3, 0, v3, vcc
	v_cndmask_b32_e32 v2, 7, v2, vcc
	v_cmp_eq_u64_e64 s[24:25], 0, v[2:3]
	v_min_i32_e32 v3, 15, v26
	v_cmp_eq_u32_e32 vcc, 0, v26
	v_lshlrev_b32_e32 v3, 3, v3
	v_and_or_b32 v2, v2, 7, v3
	s_and_b64 s[24:25], vcc, s[24:25]
	v_cndmask_b32_e64 v2, v2, 0, s[24:25]
	v_or_b32_e32 v28, v2, v24
.LBB4_1645:                             ;   in Loop: Header=BB4_1409 Depth=2
	s_or_b64 exec, exec, s[66:67]
.LBB4_1646:                             ;   in Loop: Header=BB4_1409 Depth=2
	s_or_b64 exec, exec, s[64:65]
                                        ; implicit-def: $vgpr3
.LBB4_1647:                             ;   in Loop: Header=BB4_1409 Depth=2
	s_andn2_saveexec_b64 s[24:25], s[62:63]
; %bb.1648:                             ;   in Loop: Header=BB4_1409 Depth=2
	v_or_b32_sdwa v2, v3, s76 dst_sel:DWORD dst_unused:UNUSED_PAD src0_sel:BYTE_3 src1_sel:DWORD
	v_cmp_eq_u64_e32 vcc, 0, v[54:55]
	v_cndmask_b32_e32 v28, v2, v28, vcc
; %bb.1649:                             ;   in Loop: Header=BB4_1409 Depth=2
	s_or_b64 exec, exec, s[24:25]
	v_lshrrev_b32_e32 v24, 16, v15
	v_lshrrev_b32_e32 v2, 16, v11
	v_cmp_ne_u16_sdwa s[24:25], v24, v55 src0_sel:BYTE_0 src1_sel:DWORD
	s_and_b64 vcc, exec, s[60:61]
	s_cbranch_vccz .LBB4_1663
; %bb.1650:                             ;   in Loop: Header=BB4_1409 Depth=2
	v_mov_b32_e32 v26, 0
	v_mov_b32_e32 v3, 0
	s_and_saveexec_b64 s[62:63], s[24:25]
	s_cbranch_execz .LBB4_1656
; %bb.1651:                             ;   in Loop: Header=BB4_1409 Depth=2
	v_cmp_ne_u16_sdwa vcc, v24, s75 src0_sel:BYTE_0 src1_sel:DWORD
	v_bfrev_b32_e32 v3, 1
	s_and_saveexec_b64 s[64:65], vcc
	s_cbranch_execz .LBB4_1655
; %bb.1652:                             ;   in Loop: Header=BB4_1409 Depth=2
	v_bfe_u32 v4, v15, 16, 7
	v_cmp_ne_u32_e32 vcc, s76, v4
	v_mov_b32_e32 v3, 0x7f800001
	s_and_saveexec_b64 s[66:67], vcc
	s_cbranch_execz .LBB4_1654
; %bb.1653:                             ;   in Loop: Header=BB4_1409 Depth=2
	v_and_b32_e32 v3, 7, v24
	v_ffbh_u32_e32 v6, v3
	v_min_u32_e32 v8, 32, v6
	v_subrev_u32_e32 v6, 28, v8
	v_lshlrev_b64 v[6:7], v6, v[24:25]
	v_lshrrev_b32_e32 v5, 3, v4
	v_sub_u32_e32 v7, 29, v8
	v_and_b32_e32 v6, 7, v6
	v_cmp_gt_u32_e32 vcc, 8, v4
	v_cndmask_b32_e32 v4, v5, v7, vcc
	v_cndmask_b32_e32 v3, v3, v6, vcc
	v_lshlrev_b32_e32 v5, 24, v24
	v_lshlrev_b32_e32 v3, 20, v3
	v_and_b32_e32 v5, 0x80000000, v5
	v_lshl_add_u32 v4, v4, 23, v0
	v_or3_b32 v3, v5, v4, v3
.LBB4_1654:                             ;   in Loop: Header=BB4_1409 Depth=2
	s_or_b64 exec, exec, s[66:67]
.LBB4_1655:                             ;   in Loop: Header=BB4_1409 Depth=2
	s_or_b64 exec, exec, s[64:65]
.LBB4_1656:                             ;   in Loop: Header=BB4_1409 Depth=2
	s_or_b64 exec, exec, s[62:63]
	v_cmp_ne_u16_sdwa vcc, v2, v55 src0_sel:BYTE_0 src1_sel:DWORD
	s_and_saveexec_b64 s[62:63], vcc
	s_cbranch_execz .LBB4_1662
; %bb.1657:                             ;   in Loop: Header=BB4_1409 Depth=2
	v_cmp_ne_u16_sdwa vcc, v2, s75 src0_sel:BYTE_0 src1_sel:DWORD
	v_bfrev_b32_e32 v26, 1
	s_and_saveexec_b64 s[64:65], vcc
	s_cbranch_execz .LBB4_1661
; %bb.1658:                             ;   in Loop: Header=BB4_1409 Depth=2
	v_bfe_u32 v4, v11, 16, 7
	v_cmp_ne_u32_e32 vcc, s76, v4
	v_mov_b32_e32 v26, 0x7f800001
	s_and_saveexec_b64 s[66:67], vcc
	s_cbranch_execz .LBB4_1660
; %bb.1659:                             ;   in Loop: Header=BB4_1409 Depth=2
	v_and_b32_e32 v5, 7, v2
	v_ffbh_u32_e32 v6, v5
	v_min_u32_e32 v9, 32, v6
	v_subrev_u32_e32 v6, 28, v9
	v_lshlrev_b64 v[6:7], v6, v[2:3]
	v_lshrrev_b32_e32 v8, 3, v4
	v_sub_u32_e32 v7, 29, v9
	v_and_b32_e32 v6, 7, v6
	v_cmp_gt_u32_e32 vcc, 8, v4
	v_cndmask_b32_e32 v4, v8, v7, vcc
	v_cndmask_b32_e32 v5, v5, v6, vcc
	v_lshlrev_b32_e32 v6, 24, v2
	v_lshlrev_b32_e32 v5, 20, v5
	v_and_b32_e32 v6, 0x80000000, v6
	v_lshl_add_u32 v4, v4, 23, v0
	v_or3_b32 v26, v6, v4, v5
.LBB4_1660:                             ;   in Loop: Header=BB4_1409 Depth=2
	s_or_b64 exec, exec, s[66:67]
.LBB4_1661:                             ;   in Loop: Header=BB4_1409 Depth=2
	s_or_b64 exec, exec, s[64:65]
.LBB4_1662:                             ;   in Loop: Header=BB4_1409 Depth=2
	s_or_b64 exec, exec, s[62:63]
	v_max_f32_e32 v4, v26, v26
	v_max_f32_e32 v3, v3, v3
	;; [unrolled: 1-line block ×3, first 2 shown]
	s_branch .LBB4_1677
.LBB4_1663:                             ;   in Loop: Header=BB4_1409 Depth=2
                                        ; implicit-def: $vgpr3
	s_cbranch_execz .LBB4_1677
; %bb.1664:                             ;   in Loop: Header=BB4_1409 Depth=2
	v_mov_b32_e32 v26, 0
	v_mov_b32_e32 v3, 0
	s_and_saveexec_b64 s[62:63], s[24:25]
	s_cbranch_execz .LBB4_1670
; %bb.1665:                             ;   in Loop: Header=BB4_1409 Depth=2
	v_cmp_ne_u16_sdwa vcc, v24, s75 src0_sel:BYTE_0 src1_sel:DWORD
	v_bfrev_b32_e32 v3, 1
	s_and_saveexec_b64 s[24:25], vcc
	s_cbranch_execz .LBB4_1669
; %bb.1666:                             ;   in Loop: Header=BB4_1409 Depth=2
	v_bfe_u32 v4, v15, 16, 7
	v_cmp_ne_u32_e32 vcc, s76, v4
	v_mov_b32_e32 v3, 0x7f800001
	s_and_saveexec_b64 s[64:65], vcc
	s_cbranch_execz .LBB4_1668
; %bb.1667:                             ;   in Loop: Header=BB4_1409 Depth=2
	v_and_b32_e32 v3, 7, v24
	v_ffbh_u32_e32 v6, v3
	v_min_u32_e32 v8, 32, v6
	v_subrev_u32_e32 v6, 28, v8
	v_lshlrev_b64 v[6:7], v6, v[24:25]
	v_lshrrev_b32_e32 v5, 3, v4
	v_sub_u32_e32 v7, 29, v8
	v_and_b32_e32 v6, 7, v6
	v_cmp_gt_u32_e32 vcc, 8, v4
	v_cndmask_b32_e32 v4, v5, v7, vcc
	v_cndmask_b32_e32 v3, v3, v6, vcc
	v_lshlrev_b32_e32 v5, 24, v24
	v_lshlrev_b32_e32 v3, 20, v3
	v_and_b32_e32 v5, 0x80000000, v5
	v_lshl_add_u32 v4, v4, 23, v0
	v_or3_b32 v3, v5, v4, v3
.LBB4_1668:                             ;   in Loop: Header=BB4_1409 Depth=2
	s_or_b64 exec, exec, s[64:65]
.LBB4_1669:                             ;   in Loop: Header=BB4_1409 Depth=2
	s_or_b64 exec, exec, s[24:25]
.LBB4_1670:                             ;   in Loop: Header=BB4_1409 Depth=2
	s_or_b64 exec, exec, s[62:63]
	v_cmp_ne_u16_sdwa vcc, v2, v55 src0_sel:BYTE_0 src1_sel:DWORD
	s_and_saveexec_b64 s[24:25], vcc
	s_cbranch_execz .LBB4_1676
; %bb.1671:                             ;   in Loop: Header=BB4_1409 Depth=2
	v_cmp_ne_u16_sdwa vcc, v2, s75 src0_sel:BYTE_0 src1_sel:DWORD
	v_bfrev_b32_e32 v26, 1
	s_and_saveexec_b64 s[62:63], vcc
	s_cbranch_execz .LBB4_1675
; %bb.1672:                             ;   in Loop: Header=BB4_1409 Depth=2
	v_bfe_u32 v4, v11, 16, 7
	v_cmp_ne_u32_e32 vcc, s76, v4
	v_mov_b32_e32 v26, 0x7f800001
	s_and_saveexec_b64 s[64:65], vcc
	s_cbranch_execz .LBB4_1674
; %bb.1673:                             ;   in Loop: Header=BB4_1409 Depth=2
	v_and_b32_e32 v5, 7, v2
	v_ffbh_u32_e32 v6, v5
	v_min_u32_e32 v9, 32, v6
	v_subrev_u32_e32 v6, 28, v9
	v_lshlrev_b64 v[6:7], v6, v[2:3]
	v_lshrrev_b32_e32 v8, 3, v4
	v_sub_u32_e32 v7, 29, v9
	v_and_b32_e32 v6, 7, v6
	v_cmp_gt_u32_e32 vcc, 8, v4
	v_cndmask_b32_e32 v4, v8, v7, vcc
	v_cndmask_b32_e32 v5, v5, v6, vcc
	v_lshlrev_b32_e32 v2, 24, v2
	v_lshlrev_b32_e32 v5, 20, v5
	v_and_b32_e32 v2, 0x80000000, v2
	v_lshl_add_u32 v4, v4, 23, v0
	v_or3_b32 v26, v2, v4, v5
.LBB4_1674:                             ;   in Loop: Header=BB4_1409 Depth=2
	s_or_b64 exec, exec, s[64:65]
.LBB4_1675:                             ;   in Loop: Header=BB4_1409 Depth=2
	s_or_b64 exec, exec, s[62:63]
.LBB4_1676:                             ;   in Loop: Header=BB4_1409 Depth=2
	s_or_b64 exec, exec, s[24:25]
	v_max_f32_e32 v2, v26, v26
	v_max_f32_e32 v3, v3, v3
	v_min_f32_e32 v3, v3, v2
.LBB4_1677:                             ;   in Loop: Header=BB4_1409 Depth=2
	v_and_b32_sdwa v24, v3, s75 dst_sel:DWORD dst_unused:UNUSED_PAD src0_sel:BYTE_3 src1_sel:DWORD
	v_and_b32_e32 v4, 0x7f800000, v3
	v_mov_b32_e32 v5, v55
	v_and_b32_e32 v54, 0x7fffff, v3
	v_or_b32_e32 v52, 0x7e, v24
	v_cmp_ne_u64_e32 vcc, s[44:45], v[4:5]
	s_and_saveexec_b64 s[24:25], vcc
	s_xor_b64 s[62:63], exec, s[24:25]
	s_cbranch_execz .LBB4_1687
; %bb.1678:                             ;   in Loop: Header=BB4_1409 Depth=2
	v_and_b32_e32 v4, 0x7fffffff, v3
	v_mov_b32_e32 v5, v55
	v_cmp_gt_u64_e32 vcc, s[46:47], v[4:5]
	s_and_saveexec_b64 s[64:65], vcc
	s_cbranch_execz .LBB4_1686
; %bb.1679:                             ;   in Loop: Header=BB4_1409 Depth=2
	v_cmp_ne_u32_e32 vcc, 0, v3
	v_mov_b32_e32 v52, 0
	s_and_saveexec_b64 s[66:67], vcc
	s_cbranch_execz .LBB4_1685
; %bb.1680:                             ;   in Loop: Header=BB4_1409 Depth=2
	v_bfe_u32 v2, v3, 23, 8
	v_sub_u32_e32 v4, 0x79, v2
	v_cmp_gt_u32_e32 vcc, s78, v2
	v_add_u32_e32 v3, 0xffffff81, v2
	v_cndmask_b32_e32 v4, 0, v4, vcc
	v_cmp_eq_u32_e32 vcc, 0, v2
	v_mov_b32_e32 v2, 0xffffff82
	v_cndmask_b32_e32 v26, v3, v2, vcc
	v_mov_b32_e32 v2, 0x78
	v_or_b32_e32 v5, 0x800000, v54
	v_cndmask_b32_e32 v4, v4, v2, vcc
	v_cndmask_b32_e32 v54, v5, v54, vcc
	v_add_u32_e32 v2, 20, v4
	v_lshlrev_b64 v[2:3], v2, -1
	v_add_u32_e32 v5, 19, v4
	v_lshrrev_b64 v[8:9], v4, v[54:55]
	v_not_b32_e32 v3, v3
	v_not_b32_e32 v2, v2
	v_lshlrev_b64 v[6:7], v5, 1
	v_lshrrev_b32_e32 v5, 23, v8
	v_and_b32_e32 v3, 0, v3
	v_and_b32_e32 v2, v54, v2
	v_add3_u32 v4, v4, v26, v5
	v_bfe_u32 v5, v8, 20, 1
	v_add_u32_e32 v5, -1, v5
	v_cmp_eq_u64_e32 vcc, v[2:3], v[6:7]
	v_cndmask_b32_e32 v2, 0, v5, vcc
	v_add_u32_e32 v2, v2, v8
	v_and_b32_e32 v2, 0xfffff, v2
	v_add_co_u32_e32 v2, vcc, v2, v8
	v_add_u32_e32 v27, 6, v4
	v_addc_co_u32_e32 v3, vcc, 0, v9, vcc
	v_cmp_ne_u32_e32 vcc, 0, v27
                                        ; implicit-def: $vgpr26
	s_and_saveexec_b64 s[24:25], vcc
	s_xor_b64 s[24:25], exec, s[24:25]
; %bb.1681:                             ;   in Loop: Header=BB4_1409 Depth=2
	v_add_u32_e32 v4, 7, v4
	v_cmp_lt_u64_e32 vcc, s[50:51], v[2:3]
	v_cndmask_b32_e32 v26, v27, v4, vcc
	v_cndmask_b32_e64 v4, 0, 1, vcc
	v_lshrrev_b64 v[2:3], v4, v[2:3]
; %bb.1682:                             ;   in Loop: Header=BB4_1409 Depth=2
	s_andn2_saveexec_b64 s[24:25], s[24:25]
; %bb.1683:                             ;   in Loop: Header=BB4_1409 Depth=2
	v_bfe_u32 v26, v2, 23, 1
; %bb.1684:                             ;   in Loop: Header=BB4_1409 Depth=2
	s_or_b64 exec, exec, s[24:25]
	v_lshrrev_b64 v[2:3], 20, v[2:3]
	v_cmp_gt_i32_e32 vcc, 16, v26
	v_cndmask_b32_e32 v3, 0, v3, vcc
	v_cndmask_b32_e32 v2, 7, v2, vcc
	v_cmp_eq_u64_e64 s[24:25], 0, v[2:3]
	v_min_i32_e32 v3, 15, v26
	v_lshlrev_b32_e32 v3, 3, v3
	v_cmp_eq_u32_e32 vcc, 0, v26
	v_and_b32_e32 v3, 0xf8, v3
	v_and_or_b32 v2, v2, 7, v3
	s_and_b64 s[24:25], vcc, s[24:25]
	v_cndmask_b32_e64 v2, v2, 0, s[24:25]
	v_or_b32_e32 v52, v2, v24
.LBB4_1685:                             ;   in Loop: Header=BB4_1409 Depth=2
	s_or_b64 exec, exec, s[66:67]
.LBB4_1686:                             ;   in Loop: Header=BB4_1409 Depth=2
	s_or_b64 exec, exec, s[64:65]
                                        ; implicit-def: $vgpr3
.LBB4_1687:                             ;   in Loop: Header=BB4_1409 Depth=2
	s_andn2_saveexec_b64 s[24:25], s[62:63]
; %bb.1688:                             ;   in Loop: Header=BB4_1409 Depth=2
	v_or_b32_sdwa v2, v3, s76 dst_sel:DWORD dst_unused:UNUSED_PAD src0_sel:BYTE_3 src1_sel:DWORD
	v_cmp_eq_u64_e32 vcc, 0, v[54:55]
	v_cndmask_b32_e32 v52, v2, v52, vcc
; %bb.1689:                             ;   in Loop: Header=BB4_1409 Depth=2
	s_or_b64 exec, exec, s[24:25]
	v_lshrrev_b32_e32 v24, 24, v15
	v_lshrrev_b32_e32 v2, 24, v11
	v_cmp_lt_u64_e64 s[24:25], s[48:49], v[14:15]
	s_and_b64 vcc, exec, s[60:61]
	s_cbranch_vccz .LBB4_1703
; %bb.1690:                             ;   in Loop: Header=BB4_1409 Depth=2
	v_mov_b32_e32 v14, 0
	v_mov_b32_e32 v3, 0
	s_and_saveexec_b64 s[62:63], s[24:25]
	s_cbranch_execz .LBB4_1696
; %bb.1691:                             ;   in Loop: Header=BB4_1409 Depth=2
	v_cmp_ne_u32_e32 vcc, s75, v24
	v_bfrev_b32_e32 v3, 1
	s_and_saveexec_b64 s[64:65], vcc
	s_cbranch_execz .LBB4_1695
; %bb.1692:                             ;   in Loop: Header=BB4_1409 Depth=2
	v_bfe_u32 v4, v15, 24, 7
	v_cmp_ne_u32_e32 vcc, s76, v4
	v_mov_b32_e32 v3, 0x7f800001
	s_and_saveexec_b64 s[66:67], vcc
	s_cbranch_execz .LBB4_1694
; %bb.1693:                             ;   in Loop: Header=BB4_1409 Depth=2
	v_and_b32_e32 v3, 7, v24
	v_ffbh_u32_e32 v6, v3
	v_min_u32_e32 v8, 32, v6
	v_subrev_u32_e32 v6, 28, v8
	v_lshlrev_b64 v[6:7], v6, v[24:25]
	v_lshrrev_b32_e32 v5, 3, v4
	v_sub_u32_e32 v7, 29, v8
	v_and_b32_e32 v6, 7, v6
	v_cmp_gt_u32_e32 vcc, 8, v4
	v_cndmask_b32_e32 v4, v5, v7, vcc
	v_cndmask_b32_e32 v3, v3, v6, vcc
	v_lshlrev_b32_e32 v5, 24, v24
	v_lshlrev_b32_e32 v3, 20, v3
	v_and_b32_e32 v5, 0x80000000, v5
	v_lshl_add_u32 v4, v4, 23, v0
	v_or3_b32 v3, v5, v4, v3
.LBB4_1694:                             ;   in Loop: Header=BB4_1409 Depth=2
	s_or_b64 exec, exec, s[66:67]
.LBB4_1695:                             ;   in Loop: Header=BB4_1409 Depth=2
	s_or_b64 exec, exec, s[64:65]
.LBB4_1696:                             ;   in Loop: Header=BB4_1409 Depth=2
	s_or_b64 exec, exec, s[62:63]
	v_cmp_lt_u64_e32 vcc, s[48:49], v[10:11]
	s_and_saveexec_b64 s[62:63], vcc
	s_cbranch_execz .LBB4_1702
; %bb.1697:                             ;   in Loop: Header=BB4_1409 Depth=2
	v_cmp_ne_u32_e32 vcc, s75, v2
	v_bfrev_b32_e32 v14, 1
	s_and_saveexec_b64 s[64:65], vcc
	s_cbranch_execz .LBB4_1701
; %bb.1698:                             ;   in Loop: Header=BB4_1409 Depth=2
	v_bfe_u32 v4, v11, 24, 7
	v_cmp_ne_u32_e32 vcc, s76, v4
	v_mov_b32_e32 v14, 0x7f800001
	s_and_saveexec_b64 s[66:67], vcc
	s_cbranch_execz .LBB4_1700
; %bb.1699:                             ;   in Loop: Header=BB4_1409 Depth=2
	v_and_b32_e32 v5, 7, v2
	v_ffbh_u32_e32 v6, v5
	v_min_u32_e32 v9, 32, v6
	v_subrev_u32_e32 v6, 28, v9
	v_lshlrev_b64 v[6:7], v6, v[2:3]
	v_lshrrev_b32_e32 v8, 3, v4
	v_sub_u32_e32 v7, 29, v9
	v_and_b32_e32 v6, 7, v6
	v_cmp_gt_u32_e32 vcc, 8, v4
	v_cndmask_b32_e32 v4, v8, v7, vcc
	v_cndmask_b32_e32 v5, v5, v6, vcc
	v_lshlrev_b32_e32 v6, 24, v2
	v_lshlrev_b32_e32 v5, 20, v5
	v_and_b32_e32 v6, 0x80000000, v6
	v_lshl_add_u32 v4, v4, 23, v0
	v_or3_b32 v14, v6, v4, v5
.LBB4_1700:                             ;   in Loop: Header=BB4_1409 Depth=2
	s_or_b64 exec, exec, s[66:67]
.LBB4_1701:                             ;   in Loop: Header=BB4_1409 Depth=2
	s_or_b64 exec, exec, s[64:65]
.LBB4_1702:                             ;   in Loop: Header=BB4_1409 Depth=2
	s_or_b64 exec, exec, s[62:63]
	v_max_f32_e32 v4, v14, v14
	v_max_f32_e32 v3, v3, v3
	;; [unrolled: 1-line block ×3, first 2 shown]
	s_branch .LBB4_1717
.LBB4_1703:                             ;   in Loop: Header=BB4_1409 Depth=2
                                        ; implicit-def: $vgpr3
	s_cbranch_execz .LBB4_1717
; %bb.1704:                             ;   in Loop: Header=BB4_1409 Depth=2
	v_mov_b32_e32 v14, 0
	v_mov_b32_e32 v3, 0
	s_and_saveexec_b64 s[62:63], s[24:25]
	s_cbranch_execz .LBB4_1710
; %bb.1705:                             ;   in Loop: Header=BB4_1409 Depth=2
	v_cmp_ne_u32_e32 vcc, s75, v24
	v_bfrev_b32_e32 v3, 1
	s_and_saveexec_b64 s[24:25], vcc
	s_cbranch_execz .LBB4_1709
; %bb.1706:                             ;   in Loop: Header=BB4_1409 Depth=2
	v_bfe_u32 v4, v15, 24, 7
	v_cmp_ne_u32_e32 vcc, s76, v4
	v_mov_b32_e32 v3, 0x7f800001
	s_and_saveexec_b64 s[64:65], vcc
	s_cbranch_execz .LBB4_1708
; %bb.1707:                             ;   in Loop: Header=BB4_1409 Depth=2
	v_and_b32_e32 v3, 7, v24
	v_ffbh_u32_e32 v6, v3
	v_min_u32_e32 v8, 32, v6
	v_subrev_u32_e32 v6, 28, v8
	v_lshlrev_b64 v[6:7], v6, v[24:25]
	v_lshrrev_b32_e32 v5, 3, v4
	v_sub_u32_e32 v7, 29, v8
	v_and_b32_e32 v6, 7, v6
	v_cmp_gt_u32_e32 vcc, 8, v4
	v_cndmask_b32_e32 v4, v5, v7, vcc
	v_cndmask_b32_e32 v3, v3, v6, vcc
	v_lshlrev_b32_e32 v5, 24, v24
	v_lshlrev_b32_e32 v3, 20, v3
	v_and_b32_e32 v5, 0x80000000, v5
	v_lshl_add_u32 v4, v4, 23, v0
	v_or3_b32 v3, v5, v4, v3
.LBB4_1708:                             ;   in Loop: Header=BB4_1409 Depth=2
	s_or_b64 exec, exec, s[64:65]
.LBB4_1709:                             ;   in Loop: Header=BB4_1409 Depth=2
	s_or_b64 exec, exec, s[24:25]
.LBB4_1710:                             ;   in Loop: Header=BB4_1409 Depth=2
	s_or_b64 exec, exec, s[62:63]
	v_cmp_lt_u64_e32 vcc, s[48:49], v[10:11]
	s_and_saveexec_b64 s[24:25], vcc
	s_cbranch_execz .LBB4_1716
; %bb.1711:                             ;   in Loop: Header=BB4_1409 Depth=2
	v_cmp_ne_u32_e32 vcc, s75, v2
	v_bfrev_b32_e32 v14, 1
	s_and_saveexec_b64 s[62:63], vcc
	s_cbranch_execz .LBB4_1715
; %bb.1712:                             ;   in Loop: Header=BB4_1409 Depth=2
	v_bfe_u32 v4, v11, 24, 7
	v_cmp_ne_u32_e32 vcc, s76, v4
	v_mov_b32_e32 v14, 0x7f800001
	s_and_saveexec_b64 s[64:65], vcc
	s_cbranch_execz .LBB4_1714
; %bb.1713:                             ;   in Loop: Header=BB4_1409 Depth=2
	v_and_b32_e32 v5, 7, v2
	v_ffbh_u32_e32 v6, v5
	v_min_u32_e32 v9, 32, v6
	v_subrev_u32_e32 v6, 28, v9
	v_lshlrev_b64 v[6:7], v6, v[2:3]
	v_lshrrev_b32_e32 v8, 3, v4
	v_sub_u32_e32 v7, 29, v9
	v_and_b32_e32 v6, 7, v6
	v_cmp_gt_u32_e32 vcc, 8, v4
	v_cndmask_b32_e32 v4, v8, v7, vcc
	v_cndmask_b32_e32 v5, v5, v6, vcc
	v_lshlrev_b32_e32 v2, 24, v2
	v_lshlrev_b32_e32 v5, 20, v5
	v_and_b32_e32 v2, 0x80000000, v2
	v_lshl_add_u32 v4, v4, 23, v0
	v_or3_b32 v14, v2, v4, v5
.LBB4_1714:                             ;   in Loop: Header=BB4_1409 Depth=2
	s_or_b64 exec, exec, s[64:65]
.LBB4_1715:                             ;   in Loop: Header=BB4_1409 Depth=2
	s_or_b64 exec, exec, s[62:63]
.LBB4_1716:                             ;   in Loop: Header=BB4_1409 Depth=2
	s_or_b64 exec, exec, s[24:25]
	v_max_f32_e32 v2, v14, v14
	v_max_f32_e32 v3, v3, v3
	v_min_f32_e32 v3, v3, v2
.LBB4_1717:                             ;   in Loop: Header=BB4_1409 Depth=2
	v_and_b32_sdwa v10, v3, s75 dst_sel:DWORD dst_unused:UNUSED_PAD src0_sel:BYTE_3 src1_sel:DWORD
	v_and_b32_e32 v4, 0x7f800000, v3
	v_mov_b32_e32 v5, v55
	v_and_b32_e32 v54, 0x7fffff, v3
	v_or_b32_e32 v15, 0x7e, v10
	v_cmp_ne_u64_e32 vcc, s[44:45], v[4:5]
	s_and_saveexec_b64 s[24:25], vcc
	s_xor_b64 s[62:63], exec, s[24:25]
	s_cbranch_execnz .LBB4_1733
; %bb.1718:                             ;   in Loop: Header=BB4_1409 Depth=2
	s_andn2_saveexec_b64 s[24:25], s[62:63]
	s_cbranch_execnz .LBB4_1742
.LBB4_1719:                             ;   in Loop: Header=BB4_1409 Depth=2
	s_or_b64 exec, exec, s[24:25]
	v_cmp_ne_u16_sdwa s[24:25], v16, v55 src0_sel:BYTE_0 src1_sel:DWORD
	s_and_b64 vcc, exec, s[60:61]
	s_cbranch_vccz .LBB4_1743
.LBB4_1720:                             ;   in Loop: Header=BB4_1409 Depth=2
	v_mov_b32_e32 v3, 0
	v_mov_b32_e32 v2, 0
	s_and_saveexec_b64 s[62:63], s[24:25]
	s_cbranch_execz .LBB4_1726
; %bb.1721:                             ;   in Loop: Header=BB4_1409 Depth=2
	v_cmp_ne_u16_sdwa vcc, v16, s75 src0_sel:BYTE_0 src1_sel:DWORD
	v_bfrev_b32_e32 v2, 1
	s_and_saveexec_b64 s[64:65], vcc
	s_cbranch_execz .LBB4_1725
; %bb.1722:                             ;   in Loop: Header=BB4_1409 Depth=2
	v_and_b32_e32 v4, 0x7f, v16
	v_cmp_ne_u32_e32 vcc, s76, v4
	v_mov_b32_e32 v2, 0x7f800001
	s_and_saveexec_b64 s[66:67], vcc
	s_cbranch_execz .LBB4_1724
; %bb.1723:                             ;   in Loop: Header=BB4_1409 Depth=2
	v_and_b32_e32 v2, 7, v16
	v_ffbh_u32_e32 v2, v2
	v_min_u32_e32 v2, 32, v2
	v_subrev_u32_e32 v6, 28, v2
	v_cmp_gt_u32_e32 vcc, 8, v4
	v_lshrrev_b32_e32 v5, 3, v4
	v_sub_u32_e32 v2, 29, v2
	v_cndmask_b32_e32 v4, 0, v6, vcc
	v_cndmask_b32_e32 v2, v5, v2, vcc
	v_lshlrev_b64 v[4:5], v4, v[16:17]
	v_lshlrev_b32_e32 v4, 20, v4
	v_lshlrev_b32_e32 v5, 24, v16
	v_and_b32_e32 v4, 0x700000, v4
	v_and_b32_e32 v5, 0x80000000, v5
	v_lshl_add_u32 v2, v2, 23, v0
	v_or3_b32 v2, v5, v2, v4
.LBB4_1724:                             ;   in Loop: Header=BB4_1409 Depth=2
	s_or_b64 exec, exec, s[66:67]
.LBB4_1725:                             ;   in Loop: Header=BB4_1409 Depth=2
	s_or_b64 exec, exec, s[64:65]
.LBB4_1726:                             ;   in Loop: Header=BB4_1409 Depth=2
	s_or_b64 exec, exec, s[62:63]
	v_cmp_ne_u16_sdwa vcc, v12, v55 src0_sel:BYTE_0 src1_sel:DWORD
	s_and_saveexec_b64 s[62:63], vcc
	s_cbranch_execz .LBB4_1732
; %bb.1727:                             ;   in Loop: Header=BB4_1409 Depth=2
	v_cmp_ne_u16_sdwa vcc, v12, s75 src0_sel:BYTE_0 src1_sel:DWORD
	v_bfrev_b32_e32 v3, 1
	s_and_saveexec_b64 s[64:65], vcc
	s_cbranch_execz .LBB4_1731
; %bb.1728:                             ;   in Loop: Header=BB4_1409 Depth=2
	v_and_b32_e32 v4, 0x7f, v12
	v_cmp_ne_u32_e32 vcc, s76, v4
	v_mov_b32_e32 v3, 0x7f800001
	s_and_saveexec_b64 s[66:67], vcc
	s_cbranch_execz .LBB4_1730
; %bb.1729:                             ;   in Loop: Header=BB4_1409 Depth=2
	v_and_b32_e32 v3, 7, v12
	v_ffbh_u32_e32 v3, v3
	v_min_u32_e32 v3, 32, v3
	v_subrev_u32_e32 v6, 28, v3
	v_cmp_gt_u32_e32 vcc, 8, v4
	v_lshrrev_b32_e32 v5, 3, v4
	v_sub_u32_e32 v3, 29, v3
	v_cndmask_b32_e32 v4, 0, v6, vcc
	v_cndmask_b32_e32 v3, v5, v3, vcc
	v_lshlrev_b64 v[4:5], v4, v[12:13]
	v_lshlrev_b32_e32 v4, 20, v4
	v_lshlrev_b32_e32 v5, 24, v12
	v_and_b32_e32 v4, 0x700000, v4
	v_and_b32_e32 v5, 0x80000000, v5
	v_lshl_add_u32 v3, v3, 23, v0
	v_or3_b32 v3, v5, v3, v4
.LBB4_1730:                             ;   in Loop: Header=BB4_1409 Depth=2
	s_or_b64 exec, exec, s[66:67]
.LBB4_1731:                             ;   in Loop: Header=BB4_1409 Depth=2
	s_or_b64 exec, exec, s[64:65]
.LBB4_1732:                             ;   in Loop: Header=BB4_1409 Depth=2
	s_or_b64 exec, exec, s[62:63]
	v_max_f32_e32 v3, v3, v3
	v_max_f32_e32 v2, v2, v2
	;; [unrolled: 1-line block ×3, first 2 shown]
	s_branch .LBB4_1757
.LBB4_1733:                             ;   in Loop: Header=BB4_1409 Depth=2
	v_and_b32_e32 v4, 0x7fffffff, v3
	v_mov_b32_e32 v5, v55
	v_cmp_gt_u64_e32 vcc, s[46:47], v[4:5]
	s_and_saveexec_b64 s[64:65], vcc
	s_cbranch_execz .LBB4_1741
; %bb.1734:                             ;   in Loop: Header=BB4_1409 Depth=2
	v_cmp_ne_u32_e32 vcc, 0, v3
	v_mov_b32_e32 v15, 0
	s_and_saveexec_b64 s[66:67], vcc
	s_cbranch_execz .LBB4_1740
; %bb.1735:                             ;   in Loop: Header=BB4_1409 Depth=2
	v_bfe_u32 v2, v3, 23, 8
	v_sub_u32_e32 v4, 0x79, v2
	v_cmp_gt_u32_e32 vcc, s78, v2
	v_add_u32_e32 v3, 0xffffff81, v2
	v_cndmask_b32_e32 v4, 0, v4, vcc
	v_cmp_eq_u32_e32 vcc, 0, v2
	v_mov_b32_e32 v2, 0xffffff82
	v_cndmask_b32_e32 v11, v3, v2, vcc
	v_mov_b32_e32 v2, 0x78
	v_or_b32_e32 v5, 0x800000, v54
	v_cndmask_b32_e32 v4, v4, v2, vcc
	v_cndmask_b32_e32 v54, v5, v54, vcc
	v_add_u32_e32 v2, 20, v4
	v_lshlrev_b64 v[2:3], v2, -1
	v_add_u32_e32 v5, 19, v4
	v_lshrrev_b64 v[8:9], v4, v[54:55]
	v_not_b32_e32 v3, v3
	v_not_b32_e32 v2, v2
	v_lshlrev_b64 v[6:7], v5, 1
	v_lshrrev_b32_e32 v5, 23, v8
	v_and_b32_e32 v3, 0, v3
	v_and_b32_e32 v2, v54, v2
	v_add3_u32 v4, v4, v11, v5
	v_bfe_u32 v5, v8, 20, 1
	v_add_u32_e32 v5, -1, v5
	v_cmp_eq_u64_e32 vcc, v[2:3], v[6:7]
	v_cndmask_b32_e32 v2, 0, v5, vcc
	v_add_u32_e32 v2, v2, v8
	v_and_b32_e32 v2, 0xfffff, v2
	v_add_co_u32_e32 v2, vcc, v2, v8
	v_add_u32_e32 v14, 6, v4
	v_addc_co_u32_e32 v3, vcc, 0, v9, vcc
	v_cmp_ne_u32_e32 vcc, 0, v14
                                        ; implicit-def: $vgpr11
	s_and_saveexec_b64 s[24:25], vcc
	s_xor_b64 s[24:25], exec, s[24:25]
; %bb.1736:                             ;   in Loop: Header=BB4_1409 Depth=2
	v_add_u32_e32 v4, 7, v4
	v_cmp_lt_u64_e32 vcc, s[50:51], v[2:3]
	v_cndmask_b32_e32 v11, v14, v4, vcc
	v_cndmask_b32_e64 v4, 0, 1, vcc
	v_lshrrev_b64 v[2:3], v4, v[2:3]
; %bb.1737:                             ;   in Loop: Header=BB4_1409 Depth=2
	s_andn2_saveexec_b64 s[24:25], s[24:25]
; %bb.1738:                             ;   in Loop: Header=BB4_1409 Depth=2
	v_bfe_u32 v11, v2, 23, 1
; %bb.1739:                             ;   in Loop: Header=BB4_1409 Depth=2
	s_or_b64 exec, exec, s[24:25]
	v_lshrrev_b64 v[2:3], 20, v[2:3]
	v_cmp_gt_i32_e32 vcc, 16, v11
	v_cndmask_b32_e32 v3, 0, v3, vcc
	v_cndmask_b32_e32 v2, 7, v2, vcc
	v_cmp_eq_u64_e64 s[24:25], 0, v[2:3]
	v_min_i32_e32 v3, 15, v11
	v_lshlrev_b32_e32 v3, 3, v3
	v_cmp_eq_u32_e32 vcc, 0, v11
	v_and_b32_e32 v3, 0xf8, v3
	v_and_or_b32 v2, v2, 7, v3
	s_and_b64 s[24:25], vcc, s[24:25]
	v_cndmask_b32_e64 v2, v2, 0, s[24:25]
	v_or_b32_e32 v15, v2, v10
.LBB4_1740:                             ;   in Loop: Header=BB4_1409 Depth=2
	s_or_b64 exec, exec, s[66:67]
.LBB4_1741:                             ;   in Loop: Header=BB4_1409 Depth=2
	s_or_b64 exec, exec, s[64:65]
                                        ; implicit-def: $vgpr3
	s_andn2_saveexec_b64 s[24:25], s[62:63]
	s_cbranch_execz .LBB4_1719
.LBB4_1742:                             ;   in Loop: Header=BB4_1409 Depth=2
	v_or_b32_sdwa v2, v3, s76 dst_sel:DWORD dst_unused:UNUSED_PAD src0_sel:BYTE_3 src1_sel:DWORD
	v_cmp_eq_u64_e32 vcc, 0, v[54:55]
	v_cndmask_b32_e32 v15, v2, v15, vcc
	s_or_b64 exec, exec, s[24:25]
	v_cmp_ne_u16_sdwa s[24:25], v16, v55 src0_sel:BYTE_0 src1_sel:DWORD
	s_and_b64 vcc, exec, s[60:61]
	s_cbranch_vccnz .LBB4_1720
.LBB4_1743:                             ;   in Loop: Header=BB4_1409 Depth=2
                                        ; implicit-def: $vgpr2
	s_cbranch_execz .LBB4_1757
; %bb.1744:                             ;   in Loop: Header=BB4_1409 Depth=2
	v_mov_b32_e32 v3, 0
	v_mov_b32_e32 v2, 0
	s_and_saveexec_b64 s[62:63], s[24:25]
	s_cbranch_execz .LBB4_1750
; %bb.1745:                             ;   in Loop: Header=BB4_1409 Depth=2
	v_cmp_ne_u16_sdwa vcc, v16, s75 src0_sel:BYTE_0 src1_sel:DWORD
	v_bfrev_b32_e32 v2, 1
	s_and_saveexec_b64 s[24:25], vcc
	s_cbranch_execz .LBB4_1749
; %bb.1746:                             ;   in Loop: Header=BB4_1409 Depth=2
	v_and_b32_e32 v4, 0x7f, v16
	v_cmp_ne_u32_e32 vcc, s76, v4
	v_mov_b32_e32 v2, 0x7f800001
	s_and_saveexec_b64 s[64:65], vcc
	s_cbranch_execz .LBB4_1748
; %bb.1747:                             ;   in Loop: Header=BB4_1409 Depth=2
	v_and_b32_e32 v2, 7, v16
	v_ffbh_u32_e32 v2, v2
	v_min_u32_e32 v2, 32, v2
	v_subrev_u32_e32 v6, 28, v2
	v_cmp_gt_u32_e32 vcc, 8, v4
	v_lshrrev_b32_e32 v5, 3, v4
	v_sub_u32_e32 v2, 29, v2
	v_cndmask_b32_e32 v4, 0, v6, vcc
	v_cndmask_b32_e32 v2, v5, v2, vcc
	v_lshlrev_b64 v[4:5], v4, v[16:17]
	v_lshlrev_b32_e32 v4, 20, v4
	v_lshlrev_b32_e32 v5, 24, v16
	v_and_b32_e32 v4, 0x700000, v4
	v_and_b32_e32 v5, 0x80000000, v5
	v_lshl_add_u32 v2, v2, 23, v0
	v_or3_b32 v2, v5, v2, v4
.LBB4_1748:                             ;   in Loop: Header=BB4_1409 Depth=2
	s_or_b64 exec, exec, s[64:65]
.LBB4_1749:                             ;   in Loop: Header=BB4_1409 Depth=2
	s_or_b64 exec, exec, s[24:25]
.LBB4_1750:                             ;   in Loop: Header=BB4_1409 Depth=2
	s_or_b64 exec, exec, s[62:63]
	v_cmp_ne_u16_sdwa vcc, v12, v55 src0_sel:BYTE_0 src1_sel:DWORD
	s_and_saveexec_b64 s[24:25], vcc
	s_cbranch_execz .LBB4_1756
; %bb.1751:                             ;   in Loop: Header=BB4_1409 Depth=2
	v_cmp_ne_u16_sdwa vcc, v12, s75 src0_sel:BYTE_0 src1_sel:DWORD
	v_bfrev_b32_e32 v3, 1
	s_and_saveexec_b64 s[62:63], vcc
	s_cbranch_execz .LBB4_1755
; %bb.1752:                             ;   in Loop: Header=BB4_1409 Depth=2
	v_and_b32_e32 v4, 0x7f, v12
	v_cmp_ne_u32_e32 vcc, s76, v4
	v_mov_b32_e32 v3, 0x7f800001
	s_and_saveexec_b64 s[64:65], vcc
	s_cbranch_execz .LBB4_1754
; %bb.1753:                             ;   in Loop: Header=BB4_1409 Depth=2
	v_and_b32_e32 v3, 7, v12
	v_ffbh_u32_e32 v3, v3
	v_min_u32_e32 v3, 32, v3
	v_subrev_u32_e32 v6, 28, v3
	v_cmp_gt_u32_e32 vcc, 8, v4
	v_lshrrev_b32_e32 v5, 3, v4
	v_sub_u32_e32 v3, 29, v3
	v_cndmask_b32_e32 v4, 0, v6, vcc
	v_cndmask_b32_e32 v3, v5, v3, vcc
	v_lshlrev_b64 v[4:5], v4, v[12:13]
	v_lshlrev_b32_e32 v4, 20, v4
	v_lshlrev_b32_e32 v5, 24, v12
	v_and_b32_e32 v4, 0x700000, v4
	v_and_b32_e32 v5, 0x80000000, v5
	v_lshl_add_u32 v3, v3, 23, v0
	v_or3_b32 v3, v5, v3, v4
.LBB4_1754:                             ;   in Loop: Header=BB4_1409 Depth=2
	s_or_b64 exec, exec, s[64:65]
.LBB4_1755:                             ;   in Loop: Header=BB4_1409 Depth=2
	s_or_b64 exec, exec, s[62:63]
.LBB4_1756:                             ;   in Loop: Header=BB4_1409 Depth=2
	s_or_b64 exec, exec, s[24:25]
	v_max_f32_e32 v3, v3, v3
	v_max_f32_e32 v2, v2, v2
	v_min_f32_e32 v2, v2, v3
.LBB4_1757:                             ;   in Loop: Header=BB4_1409 Depth=2
	v_and_b32_sdwa v10, v2, s75 dst_sel:DWORD dst_unused:UNUSED_PAD src0_sel:BYTE_3 src1_sel:DWORD
	v_and_b32_e32 v4, 0x7f800000, v2
	v_mov_b32_e32 v5, v55
	v_and_b32_e32 v54, 0x7fffff, v2
	v_or_b32_e32 v24, 0x7e, v10
	v_cmp_ne_u64_e32 vcc, s[44:45], v[4:5]
	s_and_saveexec_b64 s[24:25], vcc
	s_xor_b64 s[62:63], exec, s[24:25]
	s_cbranch_execz .LBB4_1767
; %bb.1758:                             ;   in Loop: Header=BB4_1409 Depth=2
	v_and_b32_e32 v4, 0x7fffffff, v2
	v_mov_b32_e32 v5, v55
	v_cmp_gt_u64_e32 vcc, s[46:47], v[4:5]
	s_and_saveexec_b64 s[64:65], vcc
	s_cbranch_execz .LBB4_1766
; %bb.1759:                             ;   in Loop: Header=BB4_1409 Depth=2
	v_cmp_ne_u32_e32 vcc, 0, v2
	v_mov_b32_e32 v24, 0
	s_and_saveexec_b64 s[66:67], vcc
	s_cbranch_execz .LBB4_1765
; %bb.1760:                             ;   in Loop: Header=BB4_1409 Depth=2
	v_bfe_u32 v2, v2, 23, 8
	v_sub_u32_e32 v4, 0x79, v2
	v_cmp_gt_u32_e32 vcc, s78, v2
	v_add_u32_e32 v3, 0xffffff81, v2
	v_cndmask_b32_e32 v4, 0, v4, vcc
	v_cmp_eq_u32_e32 vcc, 0, v2
	v_mov_b32_e32 v2, 0xffffff82
	v_cndmask_b32_e32 v11, v3, v2, vcc
	v_mov_b32_e32 v2, 0x78
	v_or_b32_e32 v5, 0x800000, v54
	v_cndmask_b32_e32 v4, v4, v2, vcc
	v_cndmask_b32_e32 v54, v5, v54, vcc
	v_add_u32_e32 v2, 20, v4
	v_lshlrev_b64 v[2:3], v2, -1
	v_add_u32_e32 v5, 19, v4
	v_lshrrev_b64 v[8:9], v4, v[54:55]
	v_not_b32_e32 v3, v3
	v_not_b32_e32 v2, v2
	v_lshlrev_b64 v[6:7], v5, 1
	v_lshrrev_b32_e32 v5, 23, v8
	v_and_b32_e32 v3, 0, v3
	v_and_b32_e32 v2, v54, v2
	v_add3_u32 v4, v4, v11, v5
	v_bfe_u32 v5, v8, 20, 1
	v_add_u32_e32 v5, -1, v5
	v_cmp_eq_u64_e32 vcc, v[2:3], v[6:7]
	v_cndmask_b32_e32 v2, 0, v5, vcc
	v_add_u32_e32 v2, v2, v8
	v_and_b32_e32 v2, 0xfffff, v2
	v_add_co_u32_e32 v2, vcc, v2, v8
	v_add_u32_e32 v14, 6, v4
	v_addc_co_u32_e32 v3, vcc, 0, v9, vcc
	v_cmp_ne_u32_e32 vcc, 0, v14
                                        ; implicit-def: $vgpr11
	s_and_saveexec_b64 s[24:25], vcc
	s_xor_b64 s[24:25], exec, s[24:25]
; %bb.1761:                             ;   in Loop: Header=BB4_1409 Depth=2
	v_add_u32_e32 v4, 7, v4
	v_cmp_lt_u64_e32 vcc, s[50:51], v[2:3]
	v_cndmask_b32_e32 v11, v14, v4, vcc
	v_cndmask_b32_e64 v4, 0, 1, vcc
	v_lshrrev_b64 v[2:3], v4, v[2:3]
; %bb.1762:                             ;   in Loop: Header=BB4_1409 Depth=2
	s_andn2_saveexec_b64 s[24:25], s[24:25]
; %bb.1763:                             ;   in Loop: Header=BB4_1409 Depth=2
	v_bfe_u32 v11, v2, 23, 1
; %bb.1764:                             ;   in Loop: Header=BB4_1409 Depth=2
	s_or_b64 exec, exec, s[24:25]
	v_lshrrev_b64 v[2:3], 20, v[2:3]
	v_cmp_gt_i32_e32 vcc, 16, v11
	v_cndmask_b32_e32 v3, 0, v3, vcc
	v_cndmask_b32_e32 v2, 7, v2, vcc
	v_cmp_eq_u64_e64 s[24:25], 0, v[2:3]
	v_min_i32_e32 v3, 15, v11
	v_cmp_eq_u32_e32 vcc, 0, v11
	v_lshlrev_b32_e32 v3, 3, v3
	v_and_or_b32 v2, v2, 7, v3
	s_and_b64 s[24:25], vcc, s[24:25]
	v_cndmask_b32_e64 v2, v2, 0, s[24:25]
	v_or_b32_e32 v24, v2, v10
.LBB4_1765:                             ;   in Loop: Header=BB4_1409 Depth=2
	s_or_b64 exec, exec, s[66:67]
.LBB4_1766:                             ;   in Loop: Header=BB4_1409 Depth=2
	s_or_b64 exec, exec, s[64:65]
                                        ; implicit-def: $vgpr2
.LBB4_1767:                             ;   in Loop: Header=BB4_1409 Depth=2
	s_andn2_saveexec_b64 s[24:25], s[62:63]
; %bb.1768:                             ;   in Loop: Header=BB4_1409 Depth=2
	v_or_b32_sdwa v2, v2, s76 dst_sel:DWORD dst_unused:UNUSED_PAD src0_sel:BYTE_3 src1_sel:DWORD
	v_cmp_eq_u64_e32 vcc, 0, v[54:55]
	v_cndmask_b32_e32 v24, v2, v24, vcc
; %bb.1769:                             ;   in Loop: Header=BB4_1409 Depth=2
	s_or_b64 exec, exec, s[24:25]
	v_lshrrev_b16_e32 v10, 8, v16
	v_lshrrev_b16_e32 v2, 8, v12
	v_cmp_ne_u16_e64 s[24:25], 0, v10
	s_and_b64 vcc, exec, s[60:61]
	s_cbranch_vccz .LBB4_1783
; %bb.1770:                             ;   in Loop: Header=BB4_1409 Depth=2
	v_mov_b32_e32 v11, 0
	v_mov_b32_e32 v3, 0
	s_and_saveexec_b64 s[62:63], s[24:25]
	s_cbranch_execz .LBB4_1776
; %bb.1771:                             ;   in Loop: Header=BB4_1409 Depth=2
	v_cmp_ne_u16_e32 vcc, s75, v10
	v_bfrev_b32_e32 v3, 1
	s_and_saveexec_b64 s[64:65], vcc
	s_cbranch_execz .LBB4_1775
; %bb.1772:                             ;   in Loop: Header=BB4_1409 Depth=2
	v_and_b32_e32 v4, 0x7f, v10
	v_cmp_ne_u32_e32 vcc, s76, v4
	v_mov_b32_e32 v3, 0x7f800001
	s_and_saveexec_b64 s[66:67], vcc
	s_cbranch_execz .LBB4_1774
; %bb.1773:                             ;   in Loop: Header=BB4_1409 Depth=2
	v_and_b32_e32 v3, 7, v10
	v_ffbh_u32_e32 v6, v3
	v_min_u32_e32 v8, 32, v6
	v_subrev_u32_e32 v6, 28, v8
	v_lshlrev_b64 v[6:7], v6, v[10:11]
	v_lshrrev_b32_e32 v5, 3, v4
	v_sub_u32_e32 v7, 29, v8
	v_and_b32_e32 v6, 7, v6
	v_cmp_gt_u32_e32 vcc, 8, v4
	v_cndmask_b32_e32 v4, v5, v7, vcc
	v_cndmask_b32_e32 v3, v3, v6, vcc
	v_lshlrev_b32_e32 v5, 16, v16
	v_lshlrev_b32_e32 v3, 20, v3
	v_and_b32_e32 v5, 0x80000000, v5
	v_lshl_add_u32 v4, v4, 23, v0
	v_or3_b32 v3, v5, v4, v3
.LBB4_1774:                             ;   in Loop: Header=BB4_1409 Depth=2
	s_or_b64 exec, exec, s[66:67]
.LBB4_1775:                             ;   in Loop: Header=BB4_1409 Depth=2
	s_or_b64 exec, exec, s[64:65]
.LBB4_1776:                             ;   in Loop: Header=BB4_1409 Depth=2
	s_or_b64 exec, exec, s[62:63]
	v_cmp_ne_u16_e32 vcc, 0, v2
	s_and_saveexec_b64 s[62:63], vcc
	s_cbranch_execz .LBB4_1782
; %bb.1777:                             ;   in Loop: Header=BB4_1409 Depth=2
	v_cmp_ne_u16_e32 vcc, s75, v2
	v_bfrev_b32_e32 v11, 1
	s_and_saveexec_b64 s[64:65], vcc
	s_cbranch_execz .LBB4_1781
; %bb.1778:                             ;   in Loop: Header=BB4_1409 Depth=2
	v_and_b32_e32 v4, 0x7f, v2
	v_cmp_ne_u32_e32 vcc, s76, v4
	v_mov_b32_e32 v11, 0x7f800001
	s_and_saveexec_b64 s[66:67], vcc
	s_cbranch_execz .LBB4_1780
; %bb.1779:                             ;   in Loop: Header=BB4_1409 Depth=2
	v_and_b32_e32 v5, 7, v2
	v_ffbh_u32_e32 v6, v5
	v_min_u32_e32 v9, 32, v6
	v_subrev_u32_e32 v6, 28, v9
	v_lshlrev_b64 v[6:7], v6, v[2:3]
	v_lshrrev_b32_e32 v8, 3, v4
	v_sub_u32_e32 v7, 29, v9
	v_and_b32_e32 v6, 7, v6
	v_cmp_gt_u32_e32 vcc, 8, v4
	v_cndmask_b32_e32 v4, v8, v7, vcc
	v_cndmask_b32_e32 v5, v5, v6, vcc
	v_lshlrev_b32_e32 v6, 16, v12
	v_lshlrev_b32_e32 v5, 20, v5
	v_and_b32_e32 v6, 0x80000000, v6
	v_lshl_add_u32 v4, v4, 23, v0
	v_or3_b32 v11, v6, v4, v5
.LBB4_1780:                             ;   in Loop: Header=BB4_1409 Depth=2
	s_or_b64 exec, exec, s[66:67]
.LBB4_1781:                             ;   in Loop: Header=BB4_1409 Depth=2
	s_or_b64 exec, exec, s[64:65]
.LBB4_1782:                             ;   in Loop: Header=BB4_1409 Depth=2
	s_or_b64 exec, exec, s[62:63]
	v_max_f32_e32 v4, v11, v11
	v_max_f32_e32 v3, v3, v3
	;; [unrolled: 1-line block ×3, first 2 shown]
	s_branch .LBB4_1797
.LBB4_1783:                             ;   in Loop: Header=BB4_1409 Depth=2
                                        ; implicit-def: $vgpr3
	s_cbranch_execz .LBB4_1797
; %bb.1784:                             ;   in Loop: Header=BB4_1409 Depth=2
	v_mov_b32_e32 v11, 0
	v_mov_b32_e32 v3, 0
	s_and_saveexec_b64 s[62:63], s[24:25]
	s_cbranch_execz .LBB4_1790
; %bb.1785:                             ;   in Loop: Header=BB4_1409 Depth=2
	v_cmp_ne_u16_e32 vcc, s75, v10
	v_bfrev_b32_e32 v3, 1
	s_and_saveexec_b64 s[24:25], vcc
	s_cbranch_execz .LBB4_1789
; %bb.1786:                             ;   in Loop: Header=BB4_1409 Depth=2
	v_and_b32_e32 v4, 0x7f, v10
	v_cmp_ne_u32_e32 vcc, s76, v4
	v_mov_b32_e32 v3, 0x7f800001
	s_and_saveexec_b64 s[64:65], vcc
	s_cbranch_execz .LBB4_1788
; %bb.1787:                             ;   in Loop: Header=BB4_1409 Depth=2
	v_and_b32_e32 v3, 7, v10
	v_ffbh_u32_e32 v6, v3
	v_min_u32_e32 v8, 32, v6
	v_subrev_u32_e32 v6, 28, v8
	v_lshlrev_b64 v[6:7], v6, v[10:11]
	v_lshrrev_b32_e32 v5, 3, v4
	v_sub_u32_e32 v7, 29, v8
	v_and_b32_e32 v6, 7, v6
	v_cmp_gt_u32_e32 vcc, 8, v4
	v_cndmask_b32_e32 v4, v5, v7, vcc
	v_cndmask_b32_e32 v3, v3, v6, vcc
	v_lshlrev_b32_e32 v5, 16, v16
	v_lshlrev_b32_e32 v3, 20, v3
	v_and_b32_e32 v5, 0x80000000, v5
	v_lshl_add_u32 v4, v4, 23, v0
	v_or3_b32 v3, v5, v4, v3
.LBB4_1788:                             ;   in Loop: Header=BB4_1409 Depth=2
	s_or_b64 exec, exec, s[64:65]
.LBB4_1789:                             ;   in Loop: Header=BB4_1409 Depth=2
	s_or_b64 exec, exec, s[24:25]
.LBB4_1790:                             ;   in Loop: Header=BB4_1409 Depth=2
	s_or_b64 exec, exec, s[62:63]
	v_cmp_ne_u16_e32 vcc, 0, v2
	s_and_saveexec_b64 s[24:25], vcc
	s_cbranch_execz .LBB4_1796
; %bb.1791:                             ;   in Loop: Header=BB4_1409 Depth=2
	v_cmp_ne_u16_e32 vcc, s75, v2
	v_bfrev_b32_e32 v11, 1
	s_and_saveexec_b64 s[62:63], vcc
	s_cbranch_execz .LBB4_1795
; %bb.1792:                             ;   in Loop: Header=BB4_1409 Depth=2
	v_and_b32_e32 v4, 0x7f, v2
	v_cmp_ne_u32_e32 vcc, s76, v4
	v_mov_b32_e32 v11, 0x7f800001
	s_and_saveexec_b64 s[64:65], vcc
	s_cbranch_execz .LBB4_1794
; %bb.1793:                             ;   in Loop: Header=BB4_1409 Depth=2
	v_and_b32_e32 v5, 7, v2
	v_ffbh_u32_e32 v6, v5
	v_min_u32_e32 v9, 32, v6
	v_subrev_u32_e32 v6, 28, v9
	v_lshlrev_b64 v[6:7], v6, v[2:3]
	v_lshrrev_b32_e32 v8, 3, v4
	v_sub_u32_e32 v2, 29, v9
	v_and_b32_e32 v6, 7, v6
	v_cmp_gt_u32_e32 vcc, 8, v4
	v_cndmask_b32_e32 v2, v8, v2, vcc
	v_cndmask_b32_e32 v4, v5, v6, vcc
	v_lshlrev_b32_e32 v5, 16, v12
	v_lshlrev_b32_e32 v4, 20, v4
	v_and_b32_e32 v5, 0x80000000, v5
	v_lshl_add_u32 v2, v2, 23, v0
	v_or3_b32 v11, v5, v2, v4
.LBB4_1794:                             ;   in Loop: Header=BB4_1409 Depth=2
	s_or_b64 exec, exec, s[64:65]
.LBB4_1795:                             ;   in Loop: Header=BB4_1409 Depth=2
	s_or_b64 exec, exec, s[62:63]
.LBB4_1796:                             ;   in Loop: Header=BB4_1409 Depth=2
	s_or_b64 exec, exec, s[24:25]
	v_max_f32_e32 v2, v11, v11
	v_max_f32_e32 v3, v3, v3
	v_min_f32_e32 v3, v3, v2
.LBB4_1797:                             ;   in Loop: Header=BB4_1409 Depth=2
	v_and_b32_sdwa v10, v3, s75 dst_sel:DWORD dst_unused:UNUSED_PAD src0_sel:BYTE_3 src1_sel:DWORD
	v_and_b32_e32 v4, 0x7f800000, v3
	v_mov_b32_e32 v5, v55
	v_and_b32_e32 v54, 0x7fffff, v3
	v_or_b32_e32 v26, 0x7e, v10
	v_cmp_ne_u64_e32 vcc, s[44:45], v[4:5]
	s_and_saveexec_b64 s[24:25], vcc
	s_xor_b64 s[62:63], exec, s[24:25]
	s_cbranch_execz .LBB4_1807
; %bb.1798:                             ;   in Loop: Header=BB4_1409 Depth=2
	v_and_b32_e32 v4, 0x7fffffff, v3
	v_mov_b32_e32 v5, v55
	v_cmp_gt_u64_e32 vcc, s[46:47], v[4:5]
	s_and_saveexec_b64 s[64:65], vcc
	s_cbranch_execz .LBB4_1806
; %bb.1799:                             ;   in Loop: Header=BB4_1409 Depth=2
	v_cmp_ne_u32_e32 vcc, 0, v3
	v_mov_b32_e32 v26, 0
	s_and_saveexec_b64 s[66:67], vcc
	s_cbranch_execz .LBB4_1805
; %bb.1800:                             ;   in Loop: Header=BB4_1409 Depth=2
	v_bfe_u32 v2, v3, 23, 8
	v_sub_u32_e32 v4, 0x79, v2
	v_cmp_gt_u32_e32 vcc, s78, v2
	v_add_u32_e32 v3, 0xffffff81, v2
	v_cndmask_b32_e32 v4, 0, v4, vcc
	v_cmp_eq_u32_e32 vcc, 0, v2
	v_mov_b32_e32 v2, 0xffffff82
	v_cndmask_b32_e32 v11, v3, v2, vcc
	v_mov_b32_e32 v2, 0x78
	v_or_b32_e32 v5, 0x800000, v54
	v_cndmask_b32_e32 v4, v4, v2, vcc
	v_cndmask_b32_e32 v54, v5, v54, vcc
	v_add_u32_e32 v2, 20, v4
	v_lshlrev_b64 v[2:3], v2, -1
	v_add_u32_e32 v5, 19, v4
	v_lshrrev_b64 v[8:9], v4, v[54:55]
	v_not_b32_e32 v3, v3
	v_not_b32_e32 v2, v2
	v_lshlrev_b64 v[6:7], v5, 1
	v_lshrrev_b32_e32 v5, 23, v8
	v_and_b32_e32 v3, 0, v3
	v_and_b32_e32 v2, v54, v2
	v_add3_u32 v4, v4, v11, v5
	v_bfe_u32 v5, v8, 20, 1
	v_add_u32_e32 v5, -1, v5
	v_cmp_eq_u64_e32 vcc, v[2:3], v[6:7]
	v_cndmask_b32_e32 v2, 0, v5, vcc
	v_add_u32_e32 v2, v2, v8
	v_and_b32_e32 v2, 0xfffff, v2
	v_add_co_u32_e32 v2, vcc, v2, v8
	v_add_u32_e32 v14, 6, v4
	v_addc_co_u32_e32 v3, vcc, 0, v9, vcc
	v_cmp_ne_u32_e32 vcc, 0, v14
                                        ; implicit-def: $vgpr11
	s_and_saveexec_b64 s[24:25], vcc
	s_xor_b64 s[24:25], exec, s[24:25]
; %bb.1801:                             ;   in Loop: Header=BB4_1409 Depth=2
	v_add_u32_e32 v4, 7, v4
	v_cmp_lt_u64_e32 vcc, s[50:51], v[2:3]
	v_cndmask_b32_e32 v11, v14, v4, vcc
	v_cndmask_b32_e64 v4, 0, 1, vcc
	v_lshrrev_b64 v[2:3], v4, v[2:3]
; %bb.1802:                             ;   in Loop: Header=BB4_1409 Depth=2
	s_andn2_saveexec_b64 s[24:25], s[24:25]
; %bb.1803:                             ;   in Loop: Header=BB4_1409 Depth=2
	v_bfe_u32 v11, v2, 23, 1
; %bb.1804:                             ;   in Loop: Header=BB4_1409 Depth=2
	s_or_b64 exec, exec, s[24:25]
	v_lshrrev_b64 v[2:3], 20, v[2:3]
	v_cmp_gt_i32_e32 vcc, 16, v11
	v_cndmask_b32_e32 v3, 0, v3, vcc
	v_cndmask_b32_e32 v2, 7, v2, vcc
	v_cmp_eq_u64_e64 s[24:25], 0, v[2:3]
	v_min_i32_e32 v3, 15, v11
	v_cmp_eq_u32_e32 vcc, 0, v11
	v_lshlrev_b32_e32 v3, 3, v3
	v_and_or_b32 v2, v2, 7, v3
	s_and_b64 s[24:25], vcc, s[24:25]
	v_cndmask_b32_e64 v2, v2, 0, s[24:25]
	v_or_b32_e32 v26, v2, v10
.LBB4_1805:                             ;   in Loop: Header=BB4_1409 Depth=2
	s_or_b64 exec, exec, s[66:67]
.LBB4_1806:                             ;   in Loop: Header=BB4_1409 Depth=2
	s_or_b64 exec, exec, s[64:65]
                                        ; implicit-def: $vgpr3
.LBB4_1807:                             ;   in Loop: Header=BB4_1409 Depth=2
	s_andn2_saveexec_b64 s[24:25], s[62:63]
; %bb.1808:                             ;   in Loop: Header=BB4_1409 Depth=2
	v_or_b32_sdwa v2, v3, s76 dst_sel:DWORD dst_unused:UNUSED_PAD src0_sel:BYTE_3 src1_sel:DWORD
	v_cmp_eq_u64_e32 vcc, 0, v[54:55]
	v_cndmask_b32_e32 v26, v2, v26, vcc
; %bb.1809:                             ;   in Loop: Header=BB4_1409 Depth=2
	s_or_b64 exec, exec, s[24:25]
	v_lshrrev_b32_e32 v10, 16, v16
	v_lshrrev_b32_e32 v2, 16, v12
	v_cmp_ne_u16_sdwa s[24:25], v10, v55 src0_sel:BYTE_0 src1_sel:DWORD
	s_and_b64 vcc, exec, s[60:61]
	s_cbranch_vccz .LBB4_1823
; %bb.1810:                             ;   in Loop: Header=BB4_1409 Depth=2
	v_mov_b32_e32 v11, 0
	v_mov_b32_e32 v3, 0
	s_and_saveexec_b64 s[62:63], s[24:25]
	s_cbranch_execz .LBB4_1816
; %bb.1811:                             ;   in Loop: Header=BB4_1409 Depth=2
	v_cmp_ne_u16_sdwa vcc, v10, s75 src0_sel:BYTE_0 src1_sel:DWORD
	v_bfrev_b32_e32 v3, 1
	s_and_saveexec_b64 s[64:65], vcc
	s_cbranch_execz .LBB4_1815
; %bb.1812:                             ;   in Loop: Header=BB4_1409 Depth=2
	v_bfe_u32 v4, v16, 16, 7
	v_cmp_ne_u32_e32 vcc, s76, v4
	v_mov_b32_e32 v3, 0x7f800001
	s_and_saveexec_b64 s[66:67], vcc
	s_cbranch_execz .LBB4_1814
; %bb.1813:                             ;   in Loop: Header=BB4_1409 Depth=2
	v_and_b32_e32 v3, 7, v10
	v_ffbh_u32_e32 v6, v3
	v_min_u32_e32 v8, 32, v6
	v_subrev_u32_e32 v6, 28, v8
	v_lshlrev_b64 v[6:7], v6, v[10:11]
	v_lshrrev_b32_e32 v5, 3, v4
	v_sub_u32_e32 v7, 29, v8
	v_and_b32_e32 v6, 7, v6
	v_cmp_gt_u32_e32 vcc, 8, v4
	v_cndmask_b32_e32 v4, v5, v7, vcc
	v_cndmask_b32_e32 v3, v3, v6, vcc
	v_lshlrev_b32_e32 v5, 24, v10
	v_lshlrev_b32_e32 v3, 20, v3
	v_and_b32_e32 v5, 0x80000000, v5
	v_lshl_add_u32 v4, v4, 23, v0
	v_or3_b32 v3, v5, v4, v3
.LBB4_1814:                             ;   in Loop: Header=BB4_1409 Depth=2
	s_or_b64 exec, exec, s[66:67]
.LBB4_1815:                             ;   in Loop: Header=BB4_1409 Depth=2
	s_or_b64 exec, exec, s[64:65]
.LBB4_1816:                             ;   in Loop: Header=BB4_1409 Depth=2
	s_or_b64 exec, exec, s[62:63]
	v_cmp_ne_u16_sdwa vcc, v2, v55 src0_sel:BYTE_0 src1_sel:DWORD
	s_and_saveexec_b64 s[62:63], vcc
	s_cbranch_execz .LBB4_1822
; %bb.1817:                             ;   in Loop: Header=BB4_1409 Depth=2
	v_cmp_ne_u16_sdwa vcc, v2, s75 src0_sel:BYTE_0 src1_sel:DWORD
	v_bfrev_b32_e32 v11, 1
	s_and_saveexec_b64 s[64:65], vcc
	s_cbranch_execz .LBB4_1821
; %bb.1818:                             ;   in Loop: Header=BB4_1409 Depth=2
	v_bfe_u32 v4, v12, 16, 7
	v_cmp_ne_u32_e32 vcc, s76, v4
	v_mov_b32_e32 v11, 0x7f800001
	s_and_saveexec_b64 s[66:67], vcc
	s_cbranch_execz .LBB4_1820
; %bb.1819:                             ;   in Loop: Header=BB4_1409 Depth=2
	v_and_b32_e32 v5, 7, v2
	v_ffbh_u32_e32 v6, v5
	v_min_u32_e32 v9, 32, v6
	v_subrev_u32_e32 v6, 28, v9
	v_lshlrev_b64 v[6:7], v6, v[2:3]
	v_lshrrev_b32_e32 v8, 3, v4
	v_sub_u32_e32 v7, 29, v9
	v_and_b32_e32 v6, 7, v6
	v_cmp_gt_u32_e32 vcc, 8, v4
	v_cndmask_b32_e32 v4, v8, v7, vcc
	v_cndmask_b32_e32 v5, v5, v6, vcc
	v_lshlrev_b32_e32 v6, 24, v2
	v_lshlrev_b32_e32 v5, 20, v5
	v_and_b32_e32 v6, 0x80000000, v6
	v_lshl_add_u32 v4, v4, 23, v0
	v_or3_b32 v11, v6, v4, v5
.LBB4_1820:                             ;   in Loop: Header=BB4_1409 Depth=2
	s_or_b64 exec, exec, s[66:67]
.LBB4_1821:                             ;   in Loop: Header=BB4_1409 Depth=2
	s_or_b64 exec, exec, s[64:65]
.LBB4_1822:                             ;   in Loop: Header=BB4_1409 Depth=2
	s_or_b64 exec, exec, s[62:63]
	v_max_f32_e32 v4, v11, v11
	v_max_f32_e32 v3, v3, v3
	;; [unrolled: 1-line block ×3, first 2 shown]
	s_branch .LBB4_1837
.LBB4_1823:                             ;   in Loop: Header=BB4_1409 Depth=2
                                        ; implicit-def: $vgpr3
	s_cbranch_execz .LBB4_1837
; %bb.1824:                             ;   in Loop: Header=BB4_1409 Depth=2
	v_mov_b32_e32 v11, 0
	v_mov_b32_e32 v3, 0
	s_and_saveexec_b64 s[62:63], s[24:25]
	s_cbranch_execz .LBB4_1830
; %bb.1825:                             ;   in Loop: Header=BB4_1409 Depth=2
	v_cmp_ne_u16_sdwa vcc, v10, s75 src0_sel:BYTE_0 src1_sel:DWORD
	v_bfrev_b32_e32 v3, 1
	s_and_saveexec_b64 s[24:25], vcc
	s_cbranch_execz .LBB4_1829
; %bb.1826:                             ;   in Loop: Header=BB4_1409 Depth=2
	v_bfe_u32 v4, v16, 16, 7
	v_cmp_ne_u32_e32 vcc, s76, v4
	v_mov_b32_e32 v3, 0x7f800001
	s_and_saveexec_b64 s[64:65], vcc
	s_cbranch_execz .LBB4_1828
; %bb.1827:                             ;   in Loop: Header=BB4_1409 Depth=2
	v_and_b32_e32 v3, 7, v10
	v_ffbh_u32_e32 v6, v3
	v_min_u32_e32 v8, 32, v6
	v_subrev_u32_e32 v6, 28, v8
	v_lshlrev_b64 v[6:7], v6, v[10:11]
	v_lshrrev_b32_e32 v5, 3, v4
	v_sub_u32_e32 v7, 29, v8
	v_and_b32_e32 v6, 7, v6
	v_cmp_gt_u32_e32 vcc, 8, v4
	v_cndmask_b32_e32 v4, v5, v7, vcc
	v_cndmask_b32_e32 v3, v3, v6, vcc
	v_lshlrev_b32_e32 v5, 24, v10
	v_lshlrev_b32_e32 v3, 20, v3
	v_and_b32_e32 v5, 0x80000000, v5
	v_lshl_add_u32 v4, v4, 23, v0
	v_or3_b32 v3, v5, v4, v3
.LBB4_1828:                             ;   in Loop: Header=BB4_1409 Depth=2
	s_or_b64 exec, exec, s[64:65]
.LBB4_1829:                             ;   in Loop: Header=BB4_1409 Depth=2
	s_or_b64 exec, exec, s[24:25]
.LBB4_1830:                             ;   in Loop: Header=BB4_1409 Depth=2
	s_or_b64 exec, exec, s[62:63]
	v_cmp_ne_u16_sdwa vcc, v2, v55 src0_sel:BYTE_0 src1_sel:DWORD
	s_and_saveexec_b64 s[24:25], vcc
	s_cbranch_execz .LBB4_1836
; %bb.1831:                             ;   in Loop: Header=BB4_1409 Depth=2
	v_cmp_ne_u16_sdwa vcc, v2, s75 src0_sel:BYTE_0 src1_sel:DWORD
	v_bfrev_b32_e32 v11, 1
	s_and_saveexec_b64 s[62:63], vcc
	s_cbranch_execz .LBB4_1835
; %bb.1832:                             ;   in Loop: Header=BB4_1409 Depth=2
	v_bfe_u32 v4, v12, 16, 7
	v_cmp_ne_u32_e32 vcc, s76, v4
	v_mov_b32_e32 v11, 0x7f800001
	s_and_saveexec_b64 s[64:65], vcc
	s_cbranch_execz .LBB4_1834
; %bb.1833:                             ;   in Loop: Header=BB4_1409 Depth=2
	v_and_b32_e32 v5, 7, v2
	v_ffbh_u32_e32 v6, v5
	v_min_u32_e32 v9, 32, v6
	v_subrev_u32_e32 v6, 28, v9
	v_lshlrev_b64 v[6:7], v6, v[2:3]
	v_lshrrev_b32_e32 v8, 3, v4
	v_sub_u32_e32 v7, 29, v9
	v_and_b32_e32 v6, 7, v6
	v_cmp_gt_u32_e32 vcc, 8, v4
	v_cndmask_b32_e32 v4, v8, v7, vcc
	v_cndmask_b32_e32 v5, v5, v6, vcc
	v_lshlrev_b32_e32 v2, 24, v2
	v_lshlrev_b32_e32 v5, 20, v5
	v_and_b32_e32 v2, 0x80000000, v2
	v_lshl_add_u32 v4, v4, 23, v0
	v_or3_b32 v11, v2, v4, v5
.LBB4_1834:                             ;   in Loop: Header=BB4_1409 Depth=2
	s_or_b64 exec, exec, s[64:65]
.LBB4_1835:                             ;   in Loop: Header=BB4_1409 Depth=2
	s_or_b64 exec, exec, s[62:63]
.LBB4_1836:                             ;   in Loop: Header=BB4_1409 Depth=2
	s_or_b64 exec, exec, s[24:25]
	v_max_f32_e32 v2, v11, v11
	v_max_f32_e32 v3, v3, v3
	v_min_f32_e32 v3, v3, v2
.LBB4_1837:                             ;   in Loop: Header=BB4_1409 Depth=2
	v_and_b32_sdwa v10, v3, s75 dst_sel:DWORD dst_unused:UNUSED_PAD src0_sel:BYTE_3 src1_sel:DWORD
	v_and_b32_e32 v4, 0x7f800000, v3
	v_mov_b32_e32 v5, v55
	v_and_b32_e32 v54, 0x7fffff, v3
	v_or_b32_e32 v27, 0x7e, v10
	v_cmp_ne_u64_e32 vcc, s[44:45], v[4:5]
	s_and_saveexec_b64 s[24:25], vcc
	s_xor_b64 s[62:63], exec, s[24:25]
	s_cbranch_execz .LBB4_1847
; %bb.1838:                             ;   in Loop: Header=BB4_1409 Depth=2
	v_and_b32_e32 v4, 0x7fffffff, v3
	v_mov_b32_e32 v5, v55
	v_cmp_gt_u64_e32 vcc, s[46:47], v[4:5]
	s_and_saveexec_b64 s[64:65], vcc
	s_cbranch_execz .LBB4_1846
; %bb.1839:                             ;   in Loop: Header=BB4_1409 Depth=2
	v_cmp_ne_u32_e32 vcc, 0, v3
	v_mov_b32_e32 v27, 0
	s_and_saveexec_b64 s[66:67], vcc
	s_cbranch_execz .LBB4_1845
; %bb.1840:                             ;   in Loop: Header=BB4_1409 Depth=2
	v_bfe_u32 v2, v3, 23, 8
	v_sub_u32_e32 v4, 0x79, v2
	v_cmp_gt_u32_e32 vcc, s78, v2
	v_add_u32_e32 v3, 0xffffff81, v2
	v_cndmask_b32_e32 v4, 0, v4, vcc
	v_cmp_eq_u32_e32 vcc, 0, v2
	v_mov_b32_e32 v2, 0xffffff82
	v_cndmask_b32_e32 v11, v3, v2, vcc
	v_mov_b32_e32 v2, 0x78
	v_or_b32_e32 v5, 0x800000, v54
	v_cndmask_b32_e32 v4, v4, v2, vcc
	v_cndmask_b32_e32 v54, v5, v54, vcc
	v_add_u32_e32 v2, 20, v4
	v_lshlrev_b64 v[2:3], v2, -1
	v_add_u32_e32 v5, 19, v4
	v_lshrrev_b64 v[8:9], v4, v[54:55]
	v_not_b32_e32 v3, v3
	v_not_b32_e32 v2, v2
	v_lshlrev_b64 v[6:7], v5, 1
	v_lshrrev_b32_e32 v5, 23, v8
	v_and_b32_e32 v3, 0, v3
	v_and_b32_e32 v2, v54, v2
	v_add3_u32 v4, v4, v11, v5
	v_bfe_u32 v5, v8, 20, 1
	v_add_u32_e32 v5, -1, v5
	v_cmp_eq_u64_e32 vcc, v[2:3], v[6:7]
	v_cndmask_b32_e32 v2, 0, v5, vcc
	v_add_u32_e32 v2, v2, v8
	v_and_b32_e32 v2, 0xfffff, v2
	v_add_co_u32_e32 v2, vcc, v2, v8
	v_add_u32_e32 v14, 6, v4
	v_addc_co_u32_e32 v3, vcc, 0, v9, vcc
	v_cmp_ne_u32_e32 vcc, 0, v14
                                        ; implicit-def: $vgpr11
	s_and_saveexec_b64 s[24:25], vcc
	s_xor_b64 s[24:25], exec, s[24:25]
; %bb.1841:                             ;   in Loop: Header=BB4_1409 Depth=2
	v_add_u32_e32 v4, 7, v4
	v_cmp_lt_u64_e32 vcc, s[50:51], v[2:3]
	v_cndmask_b32_e32 v11, v14, v4, vcc
	v_cndmask_b32_e64 v4, 0, 1, vcc
	v_lshrrev_b64 v[2:3], v4, v[2:3]
; %bb.1842:                             ;   in Loop: Header=BB4_1409 Depth=2
	s_andn2_saveexec_b64 s[24:25], s[24:25]
; %bb.1843:                             ;   in Loop: Header=BB4_1409 Depth=2
	v_bfe_u32 v11, v2, 23, 1
; %bb.1844:                             ;   in Loop: Header=BB4_1409 Depth=2
	s_or_b64 exec, exec, s[24:25]
	v_lshrrev_b64 v[2:3], 20, v[2:3]
	v_cmp_gt_i32_e32 vcc, 16, v11
	v_cndmask_b32_e32 v3, 0, v3, vcc
	v_cndmask_b32_e32 v2, 7, v2, vcc
	v_cmp_eq_u64_e64 s[24:25], 0, v[2:3]
	v_min_i32_e32 v3, 15, v11
	v_cmp_eq_u32_e32 vcc, 0, v11
	v_lshlrev_b32_e32 v3, 3, v3
	v_and_or_b32 v2, v2, 7, v3
	s_and_b64 s[24:25], vcc, s[24:25]
	v_cndmask_b32_e64 v2, v2, 0, s[24:25]
	v_or_b32_e32 v27, v2, v10
.LBB4_1845:                             ;   in Loop: Header=BB4_1409 Depth=2
	s_or_b64 exec, exec, s[66:67]
.LBB4_1846:                             ;   in Loop: Header=BB4_1409 Depth=2
	s_or_b64 exec, exec, s[64:65]
                                        ; implicit-def: $vgpr3
.LBB4_1847:                             ;   in Loop: Header=BB4_1409 Depth=2
	s_andn2_saveexec_b64 s[24:25], s[62:63]
; %bb.1848:                             ;   in Loop: Header=BB4_1409 Depth=2
	v_or_b32_sdwa v2, v3, s76 dst_sel:DWORD dst_unused:UNUSED_PAD src0_sel:BYTE_3 src1_sel:DWORD
	v_cmp_eq_u64_e32 vcc, 0, v[54:55]
	v_cndmask_b32_e32 v27, v2, v27, vcc
; %bb.1849:                             ;   in Loop: Header=BB4_1409 Depth=2
	s_or_b64 exec, exec, s[24:25]
	v_lshrrev_b32_e32 v10, 24, v16
	v_lshrrev_b32_e32 v2, 24, v12
	v_cmp_lt_u32_e64 s[24:25], s49, v16
	s_and_b64 vcc, exec, s[60:61]
	s_cbranch_vccz .LBB4_1863
; %bb.1850:                             ;   in Loop: Header=BB4_1409 Depth=2
	v_mov_b32_e32 v11, 0
	v_mov_b32_e32 v3, 0
	s_and_saveexec_b64 s[62:63], s[24:25]
	s_cbranch_execz .LBB4_1856
; %bb.1851:                             ;   in Loop: Header=BB4_1409 Depth=2
	v_cmp_ne_u32_e32 vcc, s75, v10
	v_bfrev_b32_e32 v3, 1
	s_and_saveexec_b64 s[64:65], vcc
	s_cbranch_execz .LBB4_1855
; %bb.1852:                             ;   in Loop: Header=BB4_1409 Depth=2
	v_bfe_u32 v4, v16, 24, 7
	v_cmp_ne_u32_e32 vcc, s76, v4
	v_mov_b32_e32 v3, 0x7f800001
	s_and_saveexec_b64 s[66:67], vcc
	s_cbranch_execz .LBB4_1854
; %bb.1853:                             ;   in Loop: Header=BB4_1409 Depth=2
	v_and_b32_e32 v3, 7, v10
	v_ffbh_u32_e32 v6, v3
	v_min_u32_e32 v8, 32, v6
	v_subrev_u32_e32 v6, 28, v8
	v_lshlrev_b64 v[6:7], v6, v[10:11]
	v_lshrrev_b32_e32 v5, 3, v4
	v_sub_u32_e32 v7, 29, v8
	v_and_b32_e32 v6, 7, v6
	v_cmp_gt_u32_e32 vcc, 8, v4
	v_cndmask_b32_e32 v4, v5, v7, vcc
	v_cndmask_b32_e32 v3, v3, v6, vcc
	v_lshlrev_b32_e32 v5, 24, v10
	v_lshlrev_b32_e32 v3, 20, v3
	v_and_b32_e32 v5, 0x80000000, v5
	v_lshl_add_u32 v4, v4, 23, v0
	v_or3_b32 v3, v5, v4, v3
.LBB4_1854:                             ;   in Loop: Header=BB4_1409 Depth=2
	s_or_b64 exec, exec, s[66:67]
.LBB4_1855:                             ;   in Loop: Header=BB4_1409 Depth=2
	s_or_b64 exec, exec, s[64:65]
.LBB4_1856:                             ;   in Loop: Header=BB4_1409 Depth=2
	s_or_b64 exec, exec, s[62:63]
	v_cmp_lt_u32_e32 vcc, s49, v12
	s_and_saveexec_b64 s[62:63], vcc
	s_cbranch_execz .LBB4_1862
; %bb.1857:                             ;   in Loop: Header=BB4_1409 Depth=2
	v_cmp_ne_u32_e32 vcc, s75, v2
	v_bfrev_b32_e32 v11, 1
	s_and_saveexec_b64 s[64:65], vcc
	s_cbranch_execz .LBB4_1861
; %bb.1858:                             ;   in Loop: Header=BB4_1409 Depth=2
	v_bfe_u32 v4, v12, 24, 7
	v_cmp_ne_u32_e32 vcc, s76, v4
	v_mov_b32_e32 v11, 0x7f800001
	s_and_saveexec_b64 s[66:67], vcc
	s_cbranch_execz .LBB4_1860
; %bb.1859:                             ;   in Loop: Header=BB4_1409 Depth=2
	v_and_b32_e32 v5, 7, v2
	v_ffbh_u32_e32 v6, v5
	v_min_u32_e32 v9, 32, v6
	v_subrev_u32_e32 v6, 28, v9
	v_lshlrev_b64 v[6:7], v6, v[2:3]
	v_lshrrev_b32_e32 v8, 3, v4
	v_sub_u32_e32 v7, 29, v9
	v_and_b32_e32 v6, 7, v6
	v_cmp_gt_u32_e32 vcc, 8, v4
	v_cndmask_b32_e32 v4, v8, v7, vcc
	v_cndmask_b32_e32 v5, v5, v6, vcc
	v_lshlrev_b32_e32 v6, 24, v2
	v_lshlrev_b32_e32 v5, 20, v5
	v_and_b32_e32 v6, 0x80000000, v6
	v_lshl_add_u32 v4, v4, 23, v0
	v_or3_b32 v11, v6, v4, v5
.LBB4_1860:                             ;   in Loop: Header=BB4_1409 Depth=2
	s_or_b64 exec, exec, s[66:67]
.LBB4_1861:                             ;   in Loop: Header=BB4_1409 Depth=2
	s_or_b64 exec, exec, s[64:65]
.LBB4_1862:                             ;   in Loop: Header=BB4_1409 Depth=2
	s_or_b64 exec, exec, s[62:63]
	v_max_f32_e32 v4, v11, v11
	v_max_f32_e32 v3, v3, v3
	;; [unrolled: 1-line block ×3, first 2 shown]
	s_branch .LBB4_1877
.LBB4_1863:                             ;   in Loop: Header=BB4_1409 Depth=2
                                        ; implicit-def: $vgpr3
	s_cbranch_execz .LBB4_1877
; %bb.1864:                             ;   in Loop: Header=BB4_1409 Depth=2
	v_mov_b32_e32 v11, 0
	v_mov_b32_e32 v3, 0
	s_and_saveexec_b64 s[62:63], s[24:25]
	s_cbranch_execz .LBB4_1870
; %bb.1865:                             ;   in Loop: Header=BB4_1409 Depth=2
	v_cmp_ne_u32_e32 vcc, s75, v10
	v_bfrev_b32_e32 v3, 1
	s_and_saveexec_b64 s[24:25], vcc
	s_cbranch_execz .LBB4_1869
; %bb.1866:                             ;   in Loop: Header=BB4_1409 Depth=2
	v_bfe_u32 v4, v16, 24, 7
	v_cmp_ne_u32_e32 vcc, s76, v4
	v_mov_b32_e32 v3, 0x7f800001
	s_and_saveexec_b64 s[64:65], vcc
	s_cbranch_execz .LBB4_1868
; %bb.1867:                             ;   in Loop: Header=BB4_1409 Depth=2
	v_and_b32_e32 v3, 7, v10
	v_ffbh_u32_e32 v6, v3
	v_min_u32_e32 v8, 32, v6
	v_subrev_u32_e32 v6, 28, v8
	v_lshlrev_b64 v[6:7], v6, v[10:11]
	v_lshrrev_b32_e32 v5, 3, v4
	v_sub_u32_e32 v7, 29, v8
	v_and_b32_e32 v6, 7, v6
	v_cmp_gt_u32_e32 vcc, 8, v4
	v_cndmask_b32_e32 v4, v5, v7, vcc
	v_cndmask_b32_e32 v3, v3, v6, vcc
	v_lshlrev_b32_e32 v5, 24, v10
	v_lshlrev_b32_e32 v3, 20, v3
	v_and_b32_e32 v5, 0x80000000, v5
	v_lshl_add_u32 v4, v4, 23, v0
	v_or3_b32 v3, v5, v4, v3
.LBB4_1868:                             ;   in Loop: Header=BB4_1409 Depth=2
	s_or_b64 exec, exec, s[64:65]
.LBB4_1869:                             ;   in Loop: Header=BB4_1409 Depth=2
	s_or_b64 exec, exec, s[24:25]
.LBB4_1870:                             ;   in Loop: Header=BB4_1409 Depth=2
	s_or_b64 exec, exec, s[62:63]
	v_cmp_lt_u32_e32 vcc, s49, v12
	s_and_saveexec_b64 s[24:25], vcc
	s_cbranch_execz .LBB4_1876
; %bb.1871:                             ;   in Loop: Header=BB4_1409 Depth=2
	v_cmp_ne_u32_e32 vcc, s75, v2
	v_bfrev_b32_e32 v11, 1
	s_and_saveexec_b64 s[62:63], vcc
	s_cbranch_execz .LBB4_1875
; %bb.1872:                             ;   in Loop: Header=BB4_1409 Depth=2
	v_bfe_u32 v4, v12, 24, 7
	v_cmp_ne_u32_e32 vcc, s76, v4
	v_mov_b32_e32 v11, 0x7f800001
	s_and_saveexec_b64 s[64:65], vcc
	s_cbranch_execz .LBB4_1874
; %bb.1873:                             ;   in Loop: Header=BB4_1409 Depth=2
	v_and_b32_e32 v5, 7, v2
	v_ffbh_u32_e32 v6, v5
	v_min_u32_e32 v9, 32, v6
	v_subrev_u32_e32 v6, 28, v9
	v_lshlrev_b64 v[6:7], v6, v[2:3]
	v_lshrrev_b32_e32 v8, 3, v4
	v_sub_u32_e32 v7, 29, v9
	v_and_b32_e32 v6, 7, v6
	v_cmp_gt_u32_e32 vcc, 8, v4
	v_cndmask_b32_e32 v4, v8, v7, vcc
	v_cndmask_b32_e32 v5, v5, v6, vcc
	v_lshlrev_b32_e32 v2, 24, v2
	v_lshlrev_b32_e32 v5, 20, v5
	v_and_b32_e32 v2, 0x80000000, v2
	v_lshl_add_u32 v4, v4, 23, v0
	v_or3_b32 v11, v2, v4, v5
.LBB4_1874:                             ;   in Loop: Header=BB4_1409 Depth=2
	s_or_b64 exec, exec, s[64:65]
.LBB4_1875:                             ;   in Loop: Header=BB4_1409 Depth=2
	s_or_b64 exec, exec, s[62:63]
.LBB4_1876:                             ;   in Loop: Header=BB4_1409 Depth=2
	s_or_b64 exec, exec, s[24:25]
	v_max_f32_e32 v2, v11, v11
	v_max_f32_e32 v3, v3, v3
	v_min_f32_e32 v3, v3, v2
.LBB4_1877:                             ;   in Loop: Header=BB4_1409 Depth=2
	v_and_b32_sdwa v10, v3, s75 dst_sel:DWORD dst_unused:UNUSED_PAD src0_sel:BYTE_3 src1_sel:DWORD
	v_and_b32_e32 v4, 0x7f800000, v3
	v_mov_b32_e32 v5, v55
	v_and_b32_e32 v54, 0x7fffff, v3
	v_or_b32_e32 v48, 0x7e, v10
	v_cmp_ne_u64_e32 vcc, s[44:45], v[4:5]
	s_and_saveexec_b64 s[24:25], vcc
	s_xor_b64 s[62:63], exec, s[24:25]
	s_cbranch_execz .LBB4_1887
; %bb.1878:                             ;   in Loop: Header=BB4_1409 Depth=2
	v_and_b32_e32 v4, 0x7fffffff, v3
	v_mov_b32_e32 v5, v55
	v_cmp_gt_u64_e32 vcc, s[46:47], v[4:5]
	s_and_saveexec_b64 s[64:65], vcc
	s_cbranch_execz .LBB4_1886
; %bb.1879:                             ;   in Loop: Header=BB4_1409 Depth=2
	v_cmp_ne_u32_e32 vcc, 0, v3
	v_mov_b32_e32 v48, 0
	s_and_saveexec_b64 s[66:67], vcc
	s_cbranch_execz .LBB4_1885
; %bb.1880:                             ;   in Loop: Header=BB4_1409 Depth=2
	v_bfe_u32 v2, v3, 23, 8
	v_sub_u32_e32 v4, 0x79, v2
	v_cmp_gt_u32_e32 vcc, s78, v2
	v_add_u32_e32 v3, 0xffffff81, v2
	v_cndmask_b32_e32 v4, 0, v4, vcc
	v_cmp_eq_u32_e32 vcc, 0, v2
	v_mov_b32_e32 v2, 0xffffff82
	v_cndmask_b32_e32 v11, v3, v2, vcc
	v_mov_b32_e32 v2, 0x78
	v_or_b32_e32 v5, 0x800000, v54
	v_cndmask_b32_e32 v4, v4, v2, vcc
	v_cndmask_b32_e32 v54, v5, v54, vcc
	v_add_u32_e32 v2, 20, v4
	v_lshlrev_b64 v[2:3], v2, -1
	v_add_u32_e32 v5, 19, v4
	v_lshrrev_b64 v[8:9], v4, v[54:55]
	v_not_b32_e32 v3, v3
	v_not_b32_e32 v2, v2
	v_lshlrev_b64 v[6:7], v5, 1
	v_lshrrev_b32_e32 v5, 23, v8
	v_and_b32_e32 v3, 0, v3
	v_and_b32_e32 v2, v54, v2
	v_add3_u32 v4, v4, v11, v5
	v_bfe_u32 v5, v8, 20, 1
	v_add_u32_e32 v5, -1, v5
	v_cmp_eq_u64_e32 vcc, v[2:3], v[6:7]
	v_cndmask_b32_e32 v2, 0, v5, vcc
	v_add_u32_e32 v2, v2, v8
	v_and_b32_e32 v2, 0xfffff, v2
	v_add_co_u32_e32 v2, vcc, v2, v8
	v_add_u32_e32 v14, 6, v4
	v_addc_co_u32_e32 v3, vcc, 0, v9, vcc
	v_cmp_ne_u32_e32 vcc, 0, v14
                                        ; implicit-def: $vgpr11
	s_and_saveexec_b64 s[24:25], vcc
	s_xor_b64 s[24:25], exec, s[24:25]
; %bb.1881:                             ;   in Loop: Header=BB4_1409 Depth=2
	v_add_u32_e32 v4, 7, v4
	v_cmp_lt_u64_e32 vcc, s[50:51], v[2:3]
	v_cndmask_b32_e32 v11, v14, v4, vcc
	v_cndmask_b32_e64 v4, 0, 1, vcc
	v_lshrrev_b64 v[2:3], v4, v[2:3]
; %bb.1882:                             ;   in Loop: Header=BB4_1409 Depth=2
	s_andn2_saveexec_b64 s[24:25], s[24:25]
; %bb.1883:                             ;   in Loop: Header=BB4_1409 Depth=2
	v_bfe_u32 v11, v2, 23, 1
; %bb.1884:                             ;   in Loop: Header=BB4_1409 Depth=2
	s_or_b64 exec, exec, s[24:25]
	v_lshrrev_b64 v[2:3], 20, v[2:3]
	v_cmp_gt_i32_e32 vcc, 16, v11
	v_cndmask_b32_e32 v3, 0, v3, vcc
	v_cndmask_b32_e32 v2, 7, v2, vcc
	v_cmp_eq_u64_e64 s[24:25], 0, v[2:3]
	v_min_i32_e32 v3, 15, v11
	v_cmp_eq_u32_e32 vcc, 0, v11
	v_lshlrev_b32_e32 v3, 3, v3
	v_and_or_b32 v2, v2, 7, v3
	s_and_b64 s[24:25], vcc, s[24:25]
	v_cndmask_b32_e64 v2, v2, 0, s[24:25]
	v_or_b32_e32 v48, v2, v10
.LBB4_1885:                             ;   in Loop: Header=BB4_1409 Depth=2
	s_or_b64 exec, exec, s[66:67]
.LBB4_1886:                             ;   in Loop: Header=BB4_1409 Depth=2
	s_or_b64 exec, exec, s[64:65]
                                        ; implicit-def: $vgpr3
.LBB4_1887:                             ;   in Loop: Header=BB4_1409 Depth=2
	s_andn2_saveexec_b64 s[24:25], s[62:63]
; %bb.1888:                             ;   in Loop: Header=BB4_1409 Depth=2
	v_or_b32_sdwa v2, v3, s76 dst_sel:DWORD dst_unused:UNUSED_PAD src0_sel:BYTE_3 src1_sel:DWORD
	v_cmp_eq_u64_e32 vcc, 0, v[54:55]
	v_cndmask_b32_e32 v48, v2, v48, vcc
; %bb.1889:                             ;   in Loop: Header=BB4_1409 Depth=2
	s_or_b64 exec, exec, s[24:25]
	v_mov_b32_e32 v54, v17
	v_mov_b32_e32 v10, v13
	;; [unrolled: 1-line block ×3, first 2 shown]
	v_cmp_ne_u16_sdwa s[24:25], v17, v55 src0_sel:BYTE_0 src1_sel:DWORD
	s_and_b64 vcc, exec, s[60:61]
	s_cbranch_vccz .LBB4_1903
; %bb.1890:                             ;   in Loop: Header=BB4_1409 Depth=2
	v_mov_b32_e32 v3, 0
	v_mov_b32_e32 v2, 0
	s_and_saveexec_b64 s[62:63], s[24:25]
	s_cbranch_execz .LBB4_1896
; %bb.1891:                             ;   in Loop: Header=BB4_1409 Depth=2
	v_cmp_ne_u16_sdwa vcc, v17, s75 src0_sel:BYTE_0 src1_sel:DWORD
	v_bfrev_b32_e32 v2, 1
	s_and_saveexec_b64 s[64:65], vcc
	s_cbranch_execz .LBB4_1895
; %bb.1892:                             ;   in Loop: Header=BB4_1409 Depth=2
	v_and_b32_e32 v4, 0x7f, v17
	v_cmp_ne_u32_e32 vcc, s76, v4
	v_mov_b32_e32 v2, 0x7f800001
	s_and_saveexec_b64 s[66:67], vcc
	s_cbranch_execz .LBB4_1894
; %bb.1893:                             ;   in Loop: Header=BB4_1409 Depth=2
	v_and_b32_e32 v2, 7, v17
	v_ffbh_u32_e32 v2, v2
	v_min_u32_e32 v2, 32, v2
	v_subrev_u32_e32 v6, 28, v2
	v_cmp_gt_u32_e32 vcc, 8, v4
	v_lshrrev_b32_e32 v5, 3, v4
	v_sub_u32_e32 v2, 29, v2
	v_cndmask_b32_e32 v4, 0, v6, vcc
	v_cndmask_b32_e32 v2, v5, v2, vcc
	v_lshlrev_b64 v[4:5], v4, v[54:55]
	v_lshlrev_b32_e32 v4, 20, v4
	v_lshlrev_b32_e32 v5, 24, v54
	v_and_b32_e32 v4, 0x700000, v4
	v_and_b32_e32 v5, 0x80000000, v5
	v_lshl_add_u32 v2, v2, 23, v0
	v_or3_b32 v2, v5, v2, v4
.LBB4_1894:                             ;   in Loop: Header=BB4_1409 Depth=2
	s_or_b64 exec, exec, s[66:67]
.LBB4_1895:                             ;   in Loop: Header=BB4_1409 Depth=2
	s_or_b64 exec, exec, s[64:65]
.LBB4_1896:                             ;   in Loop: Header=BB4_1409 Depth=2
	s_or_b64 exec, exec, s[62:63]
	v_cmp_ne_u16_sdwa vcc, v13, v55 src0_sel:BYTE_0 src1_sel:DWORD
	s_and_saveexec_b64 s[62:63], vcc
	s_cbranch_execz .LBB4_1902
; %bb.1897:                             ;   in Loop: Header=BB4_1409 Depth=2
	v_cmp_ne_u16_sdwa vcc, v13, s75 src0_sel:BYTE_0 src1_sel:DWORD
	v_bfrev_b32_e32 v3, 1
	s_and_saveexec_b64 s[64:65], vcc
	s_cbranch_execz .LBB4_1901
; %bb.1898:                             ;   in Loop: Header=BB4_1409 Depth=2
	v_and_b32_e32 v4, 0x7f, v13
	v_cmp_ne_u32_e32 vcc, s76, v4
	v_mov_b32_e32 v3, 0x7f800001
	s_and_saveexec_b64 s[66:67], vcc
	s_cbranch_execz .LBB4_1900
; %bb.1899:                             ;   in Loop: Header=BB4_1409 Depth=2
	v_and_b32_e32 v3, 7, v13
	v_ffbh_u32_e32 v3, v3
	v_min_u32_e32 v3, 32, v3
	v_subrev_u32_e32 v6, 28, v3
	v_cmp_gt_u32_e32 vcc, 8, v4
	v_lshrrev_b32_e32 v5, 3, v4
	v_sub_u32_e32 v3, 29, v3
	v_cndmask_b32_e32 v4, 0, v6, vcc
	v_cndmask_b32_e32 v3, v5, v3, vcc
	v_lshlrev_b64 v[4:5], v4, v[10:11]
	v_lshlrev_b32_e32 v4, 20, v4
	v_lshlrev_b32_e32 v5, 24, v10
	v_and_b32_e32 v4, 0x700000, v4
	v_and_b32_e32 v5, 0x80000000, v5
	v_lshl_add_u32 v3, v3, 23, v0
	v_or3_b32 v3, v5, v3, v4
.LBB4_1900:                             ;   in Loop: Header=BB4_1409 Depth=2
	s_or_b64 exec, exec, s[66:67]
.LBB4_1901:                             ;   in Loop: Header=BB4_1409 Depth=2
	s_or_b64 exec, exec, s[64:65]
.LBB4_1902:                             ;   in Loop: Header=BB4_1409 Depth=2
	s_or_b64 exec, exec, s[62:63]
	v_max_f32_e32 v3, v3, v3
	v_max_f32_e32 v2, v2, v2
	;; [unrolled: 1-line block ×3, first 2 shown]
	s_branch .LBB4_1917
.LBB4_1903:                             ;   in Loop: Header=BB4_1409 Depth=2
                                        ; implicit-def: $vgpr49
	s_cbranch_execz .LBB4_1917
; %bb.1904:                             ;   in Loop: Header=BB4_1409 Depth=2
	v_mov_b32_e32 v3, 0
	v_mov_b32_e32 v2, 0
	s_and_saveexec_b64 s[62:63], s[24:25]
	s_cbranch_execz .LBB4_1910
; %bb.1905:                             ;   in Loop: Header=BB4_1409 Depth=2
	v_cmp_ne_u16_sdwa vcc, v17, s75 src0_sel:BYTE_0 src1_sel:DWORD
	v_bfrev_b32_e32 v2, 1
	s_and_saveexec_b64 s[24:25], vcc
	s_cbranch_execz .LBB4_1909
; %bb.1906:                             ;   in Loop: Header=BB4_1409 Depth=2
	v_and_b32_e32 v4, 0x7f, v17
	v_cmp_ne_u32_e32 vcc, s76, v4
	v_mov_b32_e32 v2, 0x7f800001
	s_and_saveexec_b64 s[64:65], vcc
	s_cbranch_execz .LBB4_1908
; %bb.1907:                             ;   in Loop: Header=BB4_1409 Depth=2
	v_and_b32_e32 v2, 7, v17
	v_ffbh_u32_e32 v2, v2
	v_min_u32_e32 v2, 32, v2
	v_subrev_u32_e32 v6, 28, v2
	v_cmp_gt_u32_e32 vcc, 8, v4
	v_lshrrev_b32_e32 v5, 3, v4
	v_sub_u32_e32 v2, 29, v2
	v_cndmask_b32_e32 v4, 0, v6, vcc
	v_cndmask_b32_e32 v2, v5, v2, vcc
	v_lshlrev_b64 v[4:5], v4, v[54:55]
	v_lshlrev_b32_e32 v4, 20, v4
	v_lshlrev_b32_e32 v5, 24, v54
	v_and_b32_e32 v4, 0x700000, v4
	v_and_b32_e32 v5, 0x80000000, v5
	v_lshl_add_u32 v2, v2, 23, v0
	v_or3_b32 v2, v5, v2, v4
.LBB4_1908:                             ;   in Loop: Header=BB4_1409 Depth=2
	s_or_b64 exec, exec, s[64:65]
.LBB4_1909:                             ;   in Loop: Header=BB4_1409 Depth=2
	s_or_b64 exec, exec, s[24:25]
.LBB4_1910:                             ;   in Loop: Header=BB4_1409 Depth=2
	s_or_b64 exec, exec, s[62:63]
	v_cmp_ne_u16_sdwa vcc, v13, v55 src0_sel:BYTE_0 src1_sel:DWORD
	s_and_saveexec_b64 s[24:25], vcc
	s_cbranch_execz .LBB4_1916
; %bb.1911:                             ;   in Loop: Header=BB4_1409 Depth=2
	v_cmp_ne_u16_sdwa vcc, v13, s75 src0_sel:BYTE_0 src1_sel:DWORD
	v_bfrev_b32_e32 v3, 1
	s_and_saveexec_b64 s[62:63], vcc
	s_cbranch_execz .LBB4_1915
; %bb.1912:                             ;   in Loop: Header=BB4_1409 Depth=2
	v_and_b32_e32 v4, 0x7f, v13
	v_cmp_ne_u32_e32 vcc, s76, v4
	v_mov_b32_e32 v3, 0x7f800001
	s_and_saveexec_b64 s[64:65], vcc
	s_cbranch_execz .LBB4_1914
; %bb.1913:                             ;   in Loop: Header=BB4_1409 Depth=2
	v_and_b32_e32 v3, 7, v13
	v_ffbh_u32_e32 v3, v3
	v_min_u32_e32 v3, 32, v3
	v_subrev_u32_e32 v6, 28, v3
	v_cmp_gt_u32_e32 vcc, 8, v4
	v_lshrrev_b32_e32 v5, 3, v4
	v_sub_u32_e32 v3, 29, v3
	v_cndmask_b32_e32 v4, 0, v6, vcc
	v_cndmask_b32_e32 v3, v5, v3, vcc
	v_lshlrev_b64 v[4:5], v4, v[10:11]
	v_lshlrev_b32_e32 v4, 20, v4
	v_lshlrev_b32_e32 v5, 24, v10
	v_and_b32_e32 v4, 0x700000, v4
	v_and_b32_e32 v5, 0x80000000, v5
	v_lshl_add_u32 v3, v3, 23, v0
	v_or3_b32 v3, v5, v3, v4
.LBB4_1914:                             ;   in Loop: Header=BB4_1409 Depth=2
	s_or_b64 exec, exec, s[64:65]
.LBB4_1915:                             ;   in Loop: Header=BB4_1409 Depth=2
	s_or_b64 exec, exec, s[62:63]
.LBB4_1916:                             ;   in Loop: Header=BB4_1409 Depth=2
	s_or_b64 exec, exec, s[24:25]
	v_max_f32_e32 v3, v3, v3
	v_max_f32_e32 v2, v2, v2
	v_min_f32_e32 v49, v2, v3
.LBB4_1917:                             ;   in Loop: Header=BB4_1409 Depth=2
	v_and_b32_sdwa v14, v49, s75 dst_sel:DWORD dst_unused:UNUSED_PAD src0_sel:BYTE_3 src1_sel:DWORD
	v_and_b32_e32 v4, 0x7f800000, v49
	v_mov_b32_e32 v5, v55
	v_and_b32_e32 v2, 0x7fffff, v49
	v_mov_b32_e32 v3, v55
	v_or_b32_e32 v11, 0x7e, v14
	v_cmp_ne_u64_e32 vcc, s[44:45], v[4:5]
	s_and_saveexec_b64 s[24:25], vcc
	s_xor_b64 s[62:63], exec, s[24:25]
	s_cbranch_execz .LBB4_1927
; %bb.1918:                             ;   in Loop: Header=BB4_1409 Depth=2
	v_and_b32_e32 v4, 0x7fffffff, v49
	v_mov_b32_e32 v5, v55
	v_cmp_gt_u64_e32 vcc, s[46:47], v[4:5]
	s_and_saveexec_b64 s[64:65], vcc
	s_cbranch_execz .LBB4_1926
; %bb.1919:                             ;   in Loop: Header=BB4_1409 Depth=2
	v_cmp_ne_u32_e32 vcc, 0, v49
	v_mov_b32_e32 v11, 0
	s_and_saveexec_b64 s[66:67], vcc
	s_cbranch_execz .LBB4_1925
; %bb.1920:                             ;   in Loop: Header=BB4_1409 Depth=2
	v_bfe_u32 v4, v49, 23, 8
	v_sub_u32_e32 v6, 0x79, v4
	v_cmp_gt_u32_e32 vcc, s78, v4
	v_add_u32_e32 v5, 0xffffff81, v4
	v_cndmask_b32_e32 v6, 0, v6, vcc
	v_cmp_eq_u32_e32 vcc, 0, v4
	v_mov_b32_e32 v4, 0xffffff82
	v_cndmask_b32_e32 v11, v5, v4, vcc
	v_mov_b32_e32 v4, 0x78
	v_cndmask_b32_e32 v38, v6, v4, vcc
	v_add_u32_e32 v4, 20, v38
	v_or_b32_e32 v7, 0x800000, v2
	v_lshlrev_b64 v[4:5], v4, -1
	v_cndmask_b32_e32 v2, v7, v2, vcc
	v_not_b32_e32 v4, v4
	v_not_b32_e32 v5, v5
	v_and_b32_e32 v6, v2, v4
	v_add_u32_e32 v4, 19, v38
	v_lshrrev_b64 v[2:3], v38, v[2:3]
	v_and_b32_e32 v7, 0, v5
	v_lshlrev_b64 v[8:9], v4, 1
	v_bfe_u32 v5, v2, 20, 1
	v_add_u32_e32 v5, -1, v5
	v_cmp_eq_u64_e32 vcc, v[6:7], v[8:9]
	v_cndmask_b32_e32 v5, 0, v5, vcc
	v_add_u32_e32 v5, v5, v2
	v_lshrrev_b32_e32 v4, 23, v2
	v_and_b32_e32 v5, 0xfffff, v5
	v_add3_u32 v4, v38, v11, v4
	v_add_co_u32_e32 v2, vcc, v5, v2
	v_add_u32_e32 v49, 6, v4
	v_addc_co_u32_e32 v3, vcc, 0, v3, vcc
	v_cmp_ne_u32_e32 vcc, 0, v49
                                        ; implicit-def: $vgpr11
	s_and_saveexec_b64 s[24:25], vcc
	s_xor_b64 s[24:25], exec, s[24:25]
; %bb.1921:                             ;   in Loop: Header=BB4_1409 Depth=2
	v_add_u32_e32 v4, 7, v4
	v_cmp_lt_u64_e32 vcc, s[50:51], v[2:3]
	v_cndmask_b32_e32 v11, v49, v4, vcc
	v_cndmask_b32_e64 v4, 0, 1, vcc
	v_lshrrev_b64 v[2:3], v4, v[2:3]
; %bb.1922:                             ;   in Loop: Header=BB4_1409 Depth=2
	s_andn2_saveexec_b64 s[24:25], s[24:25]
; %bb.1923:                             ;   in Loop: Header=BB4_1409 Depth=2
	v_bfe_u32 v11, v2, 23, 1
; %bb.1924:                             ;   in Loop: Header=BB4_1409 Depth=2
	s_or_b64 exec, exec, s[24:25]
	v_lshrrev_b64 v[2:3], 20, v[2:3]
	v_cmp_gt_i32_e32 vcc, 16, v11
	v_cndmask_b32_e32 v3, 0, v3, vcc
	v_cndmask_b32_e32 v2, 7, v2, vcc
	v_cmp_eq_u64_e64 s[24:25], 0, v[2:3]
	v_min_i32_e32 v3, 15, v11
	v_cmp_eq_u32_e32 vcc, 0, v11
	v_lshlrev_b32_e32 v3, 3, v3
	v_and_or_b32 v2, v2, 7, v3
	s_and_b64 s[24:25], vcc, s[24:25]
	v_cndmask_b32_e64 v2, v2, 0, s[24:25]
	v_or_b32_e32 v11, v2, v14
	v_accvgpr_read_b32 v38, a30
.LBB4_1925:                             ;   in Loop: Header=BB4_1409 Depth=2
	s_or_b64 exec, exec, s[66:67]
.LBB4_1926:                             ;   in Loop: Header=BB4_1409 Depth=2
	s_or_b64 exec, exec, s[64:65]
                                        ; implicit-def: $vgpr49
                                        ; implicit-def: $vgpr2_vgpr3
.LBB4_1927:                             ;   in Loop: Header=BB4_1409 Depth=2
	s_andn2_saveexec_b64 s[24:25], s[62:63]
; %bb.1928:                             ;   in Loop: Header=BB4_1409 Depth=2
	v_or_b32_sdwa v4, v49, s76 dst_sel:DWORD dst_unused:UNUSED_PAD src0_sel:BYTE_3 src1_sel:DWORD
	v_cmp_eq_u64_e32 vcc, 0, v[2:3]
	v_cndmask_b32_e32 v11, v4, v11, vcc
; %bb.1929:                             ;   in Loop: Header=BB4_1409 Depth=2
	s_or_b64 exec, exec, s[24:25]
	v_lshrrev_b16_e32 v14, 8, v54
	v_lshrrev_b16_e32 v2, 8, v10
	v_cmp_ne_u16_e64 s[24:25], 0, v14
	s_and_b64 vcc, exec, s[60:61]
	s_cbranch_vccz .LBB4_1943
; %bb.1930:                             ;   in Loop: Header=BB4_1409 Depth=2
	v_mov_b32_e32 v49, 0
	v_mov_b32_e32 v3, 0
	s_and_saveexec_b64 s[62:63], s[24:25]
	s_cbranch_execz .LBB4_1936
; %bb.1931:                             ;   in Loop: Header=BB4_1409 Depth=2
	v_cmp_ne_u16_e32 vcc, s75, v14
	v_bfrev_b32_e32 v3, 1
	s_and_saveexec_b64 s[64:65], vcc
	s_cbranch_execz .LBB4_1935
; %bb.1932:                             ;   in Loop: Header=BB4_1409 Depth=2
	v_and_b32_e32 v4, 0x7f, v14
	v_cmp_ne_u32_e32 vcc, s76, v4
	v_mov_b32_e32 v3, 0x7f800001
	s_and_saveexec_b64 s[66:67], vcc
	s_cbranch_execz .LBB4_1934
; %bb.1933:                             ;   in Loop: Header=BB4_1409 Depth=2
	v_and_b32_e32 v3, 7, v14
	v_ffbh_u32_e32 v6, v3
	v_min_u32_e32 v8, 32, v6
	v_subrev_u32_e32 v6, 28, v8
	v_lshlrev_b64 v[6:7], v6, v[14:15]
	v_lshrrev_b32_e32 v5, 3, v4
	v_sub_u32_e32 v7, 29, v8
	v_and_b32_e32 v6, 7, v6
	v_cmp_gt_u32_e32 vcc, 8, v4
	v_cndmask_b32_e32 v4, v5, v7, vcc
	v_cndmask_b32_e32 v3, v3, v6, vcc
	v_lshlrev_b32_e32 v5, 16, v54
	v_lshlrev_b32_e32 v3, 20, v3
	v_and_b32_e32 v5, 0x80000000, v5
	v_lshl_add_u32 v4, v4, 23, v0
	v_or3_b32 v3, v5, v4, v3
.LBB4_1934:                             ;   in Loop: Header=BB4_1409 Depth=2
	s_or_b64 exec, exec, s[66:67]
.LBB4_1935:                             ;   in Loop: Header=BB4_1409 Depth=2
	s_or_b64 exec, exec, s[64:65]
.LBB4_1936:                             ;   in Loop: Header=BB4_1409 Depth=2
	s_or_b64 exec, exec, s[62:63]
	v_cmp_ne_u16_e32 vcc, 0, v2
	s_and_saveexec_b64 s[62:63], vcc
	s_cbranch_execz .LBB4_1942
; %bb.1937:                             ;   in Loop: Header=BB4_1409 Depth=2
	v_cmp_ne_u16_e32 vcc, s75, v2
	v_bfrev_b32_e32 v49, 1
	s_and_saveexec_b64 s[64:65], vcc
	s_cbranch_execz .LBB4_1941
; %bb.1938:                             ;   in Loop: Header=BB4_1409 Depth=2
	v_and_b32_e32 v4, 0x7f, v2
	v_cmp_ne_u32_e32 vcc, s76, v4
	v_mov_b32_e32 v49, 0x7f800001
	s_and_saveexec_b64 s[66:67], vcc
	s_cbranch_execz .LBB4_1940
; %bb.1939:                             ;   in Loop: Header=BB4_1409 Depth=2
	v_and_b32_e32 v5, 7, v2
	v_ffbh_u32_e32 v6, v5
	v_min_u32_e32 v9, 32, v6
	v_subrev_u32_e32 v6, 28, v9
	v_lshlrev_b64 v[6:7], v6, v[2:3]
	v_lshrrev_b32_e32 v8, 3, v4
	v_sub_u32_e32 v7, 29, v9
	v_and_b32_e32 v6, 7, v6
	v_cmp_gt_u32_e32 vcc, 8, v4
	v_cndmask_b32_e32 v4, v8, v7, vcc
	v_cndmask_b32_e32 v5, v5, v6, vcc
	v_lshlrev_b32_e32 v6, 16, v10
	v_lshlrev_b32_e32 v5, 20, v5
	v_and_b32_e32 v6, 0x80000000, v6
	v_lshl_add_u32 v4, v4, 23, v0
	v_or3_b32 v49, v6, v4, v5
.LBB4_1940:                             ;   in Loop: Header=BB4_1409 Depth=2
	s_or_b64 exec, exec, s[66:67]
.LBB4_1941:                             ;   in Loop: Header=BB4_1409 Depth=2
	s_or_b64 exec, exec, s[64:65]
.LBB4_1942:                             ;   in Loop: Header=BB4_1409 Depth=2
	s_or_b64 exec, exec, s[62:63]
	v_max_f32_e32 v4, v49, v49
	v_max_f32_e32 v3, v3, v3
	;; [unrolled: 1-line block ×3, first 2 shown]
	s_branch .LBB4_1957
.LBB4_1943:                             ;   in Loop: Header=BB4_1409 Depth=2
                                        ; implicit-def: $vgpr3
	s_cbranch_execz .LBB4_1957
; %bb.1944:                             ;   in Loop: Header=BB4_1409 Depth=2
	v_mov_b32_e32 v49, 0
	v_mov_b32_e32 v3, 0
	s_and_saveexec_b64 s[62:63], s[24:25]
	s_cbranch_execz .LBB4_1950
; %bb.1945:                             ;   in Loop: Header=BB4_1409 Depth=2
	v_cmp_ne_u16_e32 vcc, s75, v14
	v_bfrev_b32_e32 v3, 1
	s_and_saveexec_b64 s[24:25], vcc
	s_cbranch_execz .LBB4_1949
; %bb.1946:                             ;   in Loop: Header=BB4_1409 Depth=2
	v_and_b32_e32 v4, 0x7f, v14
	v_cmp_ne_u32_e32 vcc, s76, v4
	v_mov_b32_e32 v3, 0x7f800001
	s_and_saveexec_b64 s[64:65], vcc
	s_cbranch_execz .LBB4_1948
; %bb.1947:                             ;   in Loop: Header=BB4_1409 Depth=2
	v_and_b32_e32 v3, 7, v14
	v_ffbh_u32_e32 v6, v3
	v_min_u32_e32 v8, 32, v6
	v_subrev_u32_e32 v6, 28, v8
	v_lshlrev_b64 v[6:7], v6, v[14:15]
	v_lshrrev_b32_e32 v5, 3, v4
	v_sub_u32_e32 v7, 29, v8
	v_and_b32_e32 v6, 7, v6
	v_cmp_gt_u32_e32 vcc, 8, v4
	v_cndmask_b32_e32 v4, v5, v7, vcc
	v_cndmask_b32_e32 v3, v3, v6, vcc
	v_lshlrev_b32_e32 v5, 16, v54
	v_lshlrev_b32_e32 v3, 20, v3
	v_and_b32_e32 v5, 0x80000000, v5
	v_lshl_add_u32 v4, v4, 23, v0
	v_or3_b32 v3, v5, v4, v3
.LBB4_1948:                             ;   in Loop: Header=BB4_1409 Depth=2
	s_or_b64 exec, exec, s[64:65]
.LBB4_1949:                             ;   in Loop: Header=BB4_1409 Depth=2
	s_or_b64 exec, exec, s[24:25]
.LBB4_1950:                             ;   in Loop: Header=BB4_1409 Depth=2
	s_or_b64 exec, exec, s[62:63]
	v_cmp_ne_u16_e32 vcc, 0, v2
	s_and_saveexec_b64 s[24:25], vcc
	s_cbranch_execz .LBB4_1956
; %bb.1951:                             ;   in Loop: Header=BB4_1409 Depth=2
	v_cmp_ne_u16_e32 vcc, s75, v2
	v_bfrev_b32_e32 v49, 1
	s_and_saveexec_b64 s[62:63], vcc
	s_cbranch_execz .LBB4_1955
; %bb.1952:                             ;   in Loop: Header=BB4_1409 Depth=2
	v_and_b32_e32 v4, 0x7f, v2
	v_cmp_ne_u32_e32 vcc, s76, v4
	v_mov_b32_e32 v49, 0x7f800001
	s_and_saveexec_b64 s[64:65], vcc
	s_cbranch_execz .LBB4_1954
; %bb.1953:                             ;   in Loop: Header=BB4_1409 Depth=2
	v_and_b32_e32 v5, 7, v2
	v_ffbh_u32_e32 v6, v5
	v_min_u32_e32 v9, 32, v6
	v_subrev_u32_e32 v6, 28, v9
	v_lshlrev_b64 v[6:7], v6, v[2:3]
	v_lshrrev_b32_e32 v8, 3, v4
	v_sub_u32_e32 v2, 29, v9
	v_and_b32_e32 v6, 7, v6
	v_cmp_gt_u32_e32 vcc, 8, v4
	v_cndmask_b32_e32 v2, v8, v2, vcc
	v_cndmask_b32_e32 v4, v5, v6, vcc
	v_lshlrev_b32_e32 v5, 16, v10
	v_lshlrev_b32_e32 v4, 20, v4
	v_and_b32_e32 v5, 0x80000000, v5
	v_lshl_add_u32 v2, v2, 23, v0
	v_or3_b32 v49, v5, v2, v4
.LBB4_1954:                             ;   in Loop: Header=BB4_1409 Depth=2
	s_or_b64 exec, exec, s[64:65]
.LBB4_1955:                             ;   in Loop: Header=BB4_1409 Depth=2
	s_or_b64 exec, exec, s[62:63]
.LBB4_1956:                             ;   in Loop: Header=BB4_1409 Depth=2
	s_or_b64 exec, exec, s[24:25]
	v_max_f32_e32 v2, v49, v49
	v_max_f32_e32 v3, v3, v3
	v_min_f32_e32 v3, v3, v2
.LBB4_1957:                             ;   in Loop: Header=BB4_1409 Depth=2
	v_and_b32_sdwa v10, v3, s75 dst_sel:DWORD dst_unused:UNUSED_PAD src0_sel:BYTE_3 src1_sel:DWORD
	v_and_b32_e32 v4, 0x7f800000, v3
	v_mov_b32_e32 v5, v55
	v_and_b32_e32 v54, 0x7fffff, v3
	v_or_b32_e32 v14, 0x7e, v10
	v_cmp_ne_u64_e32 vcc, s[44:45], v[4:5]
	s_and_saveexec_b64 s[24:25], vcc
	s_xor_b64 s[62:63], exec, s[24:25]
	s_cbranch_execz .LBB4_1967
; %bb.1958:                             ;   in Loop: Header=BB4_1409 Depth=2
	v_and_b32_e32 v4, 0x7fffffff, v3
	v_mov_b32_e32 v5, v55
	v_cmp_gt_u64_e32 vcc, s[46:47], v[4:5]
	s_and_saveexec_b64 s[64:65], vcc
	s_cbranch_execz .LBB4_1966
; %bb.1959:                             ;   in Loop: Header=BB4_1409 Depth=2
	v_cmp_ne_u32_e32 vcc, 0, v3
	v_mov_b32_e32 v14, 0
	s_and_saveexec_b64 s[66:67], vcc
	s_cbranch_execz .LBB4_1965
; %bb.1960:                             ;   in Loop: Header=BB4_1409 Depth=2
	v_bfe_u32 v2, v3, 23, 8
	v_sub_u32_e32 v4, 0x79, v2
	v_cmp_gt_u32_e32 vcc, s78, v2
	v_add_u32_e32 v3, 0xffffff81, v2
	v_cndmask_b32_e32 v4, 0, v4, vcc
	v_cmp_eq_u32_e32 vcc, 0, v2
	v_mov_b32_e32 v2, 0xffffff82
	v_cndmask_b32_e32 v14, v3, v2, vcc
	v_mov_b32_e32 v2, 0x78
	v_or_b32_e32 v5, 0x800000, v54
	v_cndmask_b32_e32 v4, v4, v2, vcc
	v_cndmask_b32_e32 v54, v5, v54, vcc
	v_add_u32_e32 v2, 20, v4
	v_lshlrev_b64 v[2:3], v2, -1
	v_add_u32_e32 v5, 19, v4
	v_lshrrev_b64 v[8:9], v4, v[54:55]
	v_not_b32_e32 v3, v3
	v_not_b32_e32 v2, v2
	v_lshlrev_b64 v[6:7], v5, 1
	v_lshrrev_b32_e32 v5, 23, v8
	v_and_b32_e32 v3, 0, v3
	v_and_b32_e32 v2, v54, v2
	v_add3_u32 v4, v4, v14, v5
	v_bfe_u32 v5, v8, 20, 1
	v_add_u32_e32 v5, -1, v5
	v_cmp_eq_u64_e32 vcc, v[2:3], v[6:7]
	v_cndmask_b32_e32 v2, 0, v5, vcc
	v_add_u32_e32 v2, v2, v8
	v_and_b32_e32 v2, 0xfffff, v2
	v_add_co_u32_e32 v2, vcc, v2, v8
	v_add_u32_e32 v49, 6, v4
	v_addc_co_u32_e32 v3, vcc, 0, v9, vcc
	v_cmp_ne_u32_e32 vcc, 0, v49
                                        ; implicit-def: $vgpr14
	s_and_saveexec_b64 s[24:25], vcc
	s_xor_b64 s[24:25], exec, s[24:25]
; %bb.1961:                             ;   in Loop: Header=BB4_1409 Depth=2
	v_add_u32_e32 v4, 7, v4
	v_cmp_lt_u64_e32 vcc, s[50:51], v[2:3]
	v_cndmask_b32_e32 v14, v49, v4, vcc
	v_cndmask_b32_e64 v4, 0, 1, vcc
	v_lshrrev_b64 v[2:3], v4, v[2:3]
; %bb.1962:                             ;   in Loop: Header=BB4_1409 Depth=2
	s_andn2_saveexec_b64 s[24:25], s[24:25]
; %bb.1963:                             ;   in Loop: Header=BB4_1409 Depth=2
	v_bfe_u32 v14, v2, 23, 1
; %bb.1964:                             ;   in Loop: Header=BB4_1409 Depth=2
	s_or_b64 exec, exec, s[24:25]
	v_lshrrev_b64 v[2:3], 20, v[2:3]
	v_cmp_gt_i32_e32 vcc, 16, v14
	v_cndmask_b32_e32 v3, 0, v3, vcc
	v_cndmask_b32_e32 v2, 7, v2, vcc
	v_cmp_eq_u64_e64 s[24:25], 0, v[2:3]
	v_min_i32_e32 v3, 15, v14
	v_cmp_eq_u32_e32 vcc, 0, v14
	v_lshlrev_b32_e32 v3, 3, v3
	v_and_or_b32 v2, v2, 7, v3
	s_and_b64 s[24:25], vcc, s[24:25]
	v_cndmask_b32_e64 v2, v2, 0, s[24:25]
	v_or_b32_e32 v14, v2, v10
.LBB4_1965:                             ;   in Loop: Header=BB4_1409 Depth=2
	s_or_b64 exec, exec, s[66:67]
.LBB4_1966:                             ;   in Loop: Header=BB4_1409 Depth=2
	s_or_b64 exec, exec, s[64:65]
                                        ; implicit-def: $vgpr3
.LBB4_1967:                             ;   in Loop: Header=BB4_1409 Depth=2
	s_andn2_saveexec_b64 s[24:25], s[62:63]
; %bb.1968:                             ;   in Loop: Header=BB4_1409 Depth=2
	v_or_b32_sdwa v2, v3, s76 dst_sel:DWORD dst_unused:UNUSED_PAD src0_sel:BYTE_3 src1_sel:DWORD
	v_cmp_eq_u64_e32 vcc, 0, v[54:55]
	v_cndmask_b32_e32 v14, v2, v14, vcc
; %bb.1969:                             ;   in Loop: Header=BB4_1409 Depth=2
	s_or_b64 exec, exec, s[24:25]
	v_lshrrev_b32_e32 v10, 16, v17
	v_lshrrev_b32_e32 v2, 16, v13
	v_cmp_ne_u16_sdwa s[24:25], v10, v55 src0_sel:BYTE_0 src1_sel:DWORD
	s_and_b64 vcc, exec, s[60:61]
	s_cbranch_vccz .LBB4_1983
; %bb.1970:                             ;   in Loop: Header=BB4_1409 Depth=2
	v_mov_b32_e32 v49, 0
	v_mov_b32_e32 v3, 0
	s_and_saveexec_b64 s[62:63], s[24:25]
	s_cbranch_execz .LBB4_1976
; %bb.1971:                             ;   in Loop: Header=BB4_1409 Depth=2
	v_cmp_ne_u16_sdwa vcc, v10, s75 src0_sel:BYTE_0 src1_sel:DWORD
	v_bfrev_b32_e32 v3, 1
	s_and_saveexec_b64 s[64:65], vcc
	s_cbranch_execz .LBB4_1975
; %bb.1972:                             ;   in Loop: Header=BB4_1409 Depth=2
	v_bfe_u32 v4, v17, 16, 7
	v_cmp_ne_u32_e32 vcc, s76, v4
	v_mov_b32_e32 v3, 0x7f800001
	s_and_saveexec_b64 s[66:67], vcc
	s_cbranch_execz .LBB4_1974
; %bb.1973:                             ;   in Loop: Header=BB4_1409 Depth=2
	v_and_b32_e32 v3, 7, v10
	v_ffbh_u32_e32 v6, v3
	v_min_u32_e32 v8, 32, v6
	v_subrev_u32_e32 v6, 28, v8
	v_lshlrev_b64 v[6:7], v6, v[10:11]
	v_lshrrev_b32_e32 v5, 3, v4
	v_sub_u32_e32 v7, 29, v8
	v_and_b32_e32 v6, 7, v6
	v_cmp_gt_u32_e32 vcc, 8, v4
	v_cndmask_b32_e32 v4, v5, v7, vcc
	v_cndmask_b32_e32 v3, v3, v6, vcc
	v_lshlrev_b32_e32 v5, 24, v10
	v_lshlrev_b32_e32 v3, 20, v3
	v_and_b32_e32 v5, 0x80000000, v5
	v_lshl_add_u32 v4, v4, 23, v0
	v_or3_b32 v3, v5, v4, v3
.LBB4_1974:                             ;   in Loop: Header=BB4_1409 Depth=2
	s_or_b64 exec, exec, s[66:67]
.LBB4_1975:                             ;   in Loop: Header=BB4_1409 Depth=2
	s_or_b64 exec, exec, s[64:65]
.LBB4_1976:                             ;   in Loop: Header=BB4_1409 Depth=2
	s_or_b64 exec, exec, s[62:63]
	v_cmp_ne_u16_sdwa vcc, v2, v55 src0_sel:BYTE_0 src1_sel:DWORD
	s_and_saveexec_b64 s[62:63], vcc
	s_cbranch_execz .LBB4_1982
; %bb.1977:                             ;   in Loop: Header=BB4_1409 Depth=2
	v_cmp_ne_u16_sdwa vcc, v2, s75 src0_sel:BYTE_0 src1_sel:DWORD
	v_bfrev_b32_e32 v49, 1
	s_and_saveexec_b64 s[64:65], vcc
	s_cbranch_execz .LBB4_1981
; %bb.1978:                             ;   in Loop: Header=BB4_1409 Depth=2
	v_bfe_u32 v4, v13, 16, 7
	v_cmp_ne_u32_e32 vcc, s76, v4
	v_mov_b32_e32 v49, 0x7f800001
	s_and_saveexec_b64 s[66:67], vcc
	s_cbranch_execz .LBB4_1980
; %bb.1979:                             ;   in Loop: Header=BB4_1409 Depth=2
	v_and_b32_e32 v5, 7, v2
	v_ffbh_u32_e32 v6, v5
	v_min_u32_e32 v9, 32, v6
	v_subrev_u32_e32 v6, 28, v9
	v_lshlrev_b64 v[6:7], v6, v[2:3]
	v_lshrrev_b32_e32 v8, 3, v4
	v_sub_u32_e32 v7, 29, v9
	v_and_b32_e32 v6, 7, v6
	v_cmp_gt_u32_e32 vcc, 8, v4
	v_cndmask_b32_e32 v4, v8, v7, vcc
	v_cndmask_b32_e32 v5, v5, v6, vcc
	v_lshlrev_b32_e32 v6, 24, v2
	v_lshlrev_b32_e32 v5, 20, v5
	v_and_b32_e32 v6, 0x80000000, v6
	v_lshl_add_u32 v4, v4, 23, v0
	v_or3_b32 v49, v6, v4, v5
.LBB4_1980:                             ;   in Loop: Header=BB4_1409 Depth=2
	s_or_b64 exec, exec, s[66:67]
.LBB4_1981:                             ;   in Loop: Header=BB4_1409 Depth=2
	s_or_b64 exec, exec, s[64:65]
.LBB4_1982:                             ;   in Loop: Header=BB4_1409 Depth=2
	s_or_b64 exec, exec, s[62:63]
	v_max_f32_e32 v4, v49, v49
	v_max_f32_e32 v3, v3, v3
	;; [unrolled: 1-line block ×3, first 2 shown]
	s_branch .LBB4_1997
.LBB4_1983:                             ;   in Loop: Header=BB4_1409 Depth=2
                                        ; implicit-def: $vgpr3
	s_cbranch_execz .LBB4_1997
; %bb.1984:                             ;   in Loop: Header=BB4_1409 Depth=2
	v_mov_b32_e32 v49, 0
	v_mov_b32_e32 v3, 0
	s_and_saveexec_b64 s[62:63], s[24:25]
	s_cbranch_execz .LBB4_1990
; %bb.1985:                             ;   in Loop: Header=BB4_1409 Depth=2
	v_cmp_ne_u16_sdwa vcc, v10, s75 src0_sel:BYTE_0 src1_sel:DWORD
	v_bfrev_b32_e32 v3, 1
	s_and_saveexec_b64 s[24:25], vcc
	s_cbranch_execz .LBB4_1989
; %bb.1986:                             ;   in Loop: Header=BB4_1409 Depth=2
	v_bfe_u32 v4, v17, 16, 7
	v_cmp_ne_u32_e32 vcc, s76, v4
	v_mov_b32_e32 v3, 0x7f800001
	s_and_saveexec_b64 s[64:65], vcc
	s_cbranch_execz .LBB4_1988
; %bb.1987:                             ;   in Loop: Header=BB4_1409 Depth=2
	v_and_b32_e32 v3, 7, v10
	v_ffbh_u32_e32 v6, v3
	v_min_u32_e32 v8, 32, v6
	v_subrev_u32_e32 v6, 28, v8
	v_lshlrev_b64 v[6:7], v6, v[10:11]
	v_lshrrev_b32_e32 v5, 3, v4
	v_sub_u32_e32 v7, 29, v8
	v_and_b32_e32 v6, 7, v6
	v_cmp_gt_u32_e32 vcc, 8, v4
	v_cndmask_b32_e32 v4, v5, v7, vcc
	v_cndmask_b32_e32 v3, v3, v6, vcc
	v_lshlrev_b32_e32 v5, 24, v10
	v_lshlrev_b32_e32 v3, 20, v3
	v_and_b32_e32 v5, 0x80000000, v5
	v_lshl_add_u32 v4, v4, 23, v0
	v_or3_b32 v3, v5, v4, v3
.LBB4_1988:                             ;   in Loop: Header=BB4_1409 Depth=2
	s_or_b64 exec, exec, s[64:65]
.LBB4_1989:                             ;   in Loop: Header=BB4_1409 Depth=2
	s_or_b64 exec, exec, s[24:25]
.LBB4_1990:                             ;   in Loop: Header=BB4_1409 Depth=2
	s_or_b64 exec, exec, s[62:63]
	v_cmp_ne_u16_sdwa vcc, v2, v55 src0_sel:BYTE_0 src1_sel:DWORD
	s_and_saveexec_b64 s[24:25], vcc
	s_cbranch_execz .LBB4_1996
; %bb.1991:                             ;   in Loop: Header=BB4_1409 Depth=2
	v_cmp_ne_u16_sdwa vcc, v2, s75 src0_sel:BYTE_0 src1_sel:DWORD
	v_bfrev_b32_e32 v49, 1
	s_and_saveexec_b64 s[62:63], vcc
	s_cbranch_execz .LBB4_1995
; %bb.1992:                             ;   in Loop: Header=BB4_1409 Depth=2
	v_bfe_u32 v4, v13, 16, 7
	v_cmp_ne_u32_e32 vcc, s76, v4
	v_mov_b32_e32 v49, 0x7f800001
	s_and_saveexec_b64 s[64:65], vcc
	s_cbranch_execz .LBB4_1994
; %bb.1993:                             ;   in Loop: Header=BB4_1409 Depth=2
	v_and_b32_e32 v5, 7, v2
	v_ffbh_u32_e32 v6, v5
	v_min_u32_e32 v9, 32, v6
	v_subrev_u32_e32 v6, 28, v9
	v_lshlrev_b64 v[6:7], v6, v[2:3]
	v_lshrrev_b32_e32 v8, 3, v4
	v_sub_u32_e32 v7, 29, v9
	v_and_b32_e32 v6, 7, v6
	v_cmp_gt_u32_e32 vcc, 8, v4
	v_cndmask_b32_e32 v4, v8, v7, vcc
	v_cndmask_b32_e32 v5, v5, v6, vcc
	v_lshlrev_b32_e32 v2, 24, v2
	v_lshlrev_b32_e32 v5, 20, v5
	v_and_b32_e32 v2, 0x80000000, v2
	v_lshl_add_u32 v4, v4, 23, v0
	v_or3_b32 v49, v2, v4, v5
.LBB4_1994:                             ;   in Loop: Header=BB4_1409 Depth=2
	s_or_b64 exec, exec, s[64:65]
.LBB4_1995:                             ;   in Loop: Header=BB4_1409 Depth=2
	s_or_b64 exec, exec, s[62:63]
.LBB4_1996:                             ;   in Loop: Header=BB4_1409 Depth=2
	s_or_b64 exec, exec, s[24:25]
	v_max_f32_e32 v2, v49, v49
	v_max_f32_e32 v3, v3, v3
	v_min_f32_e32 v3, v3, v2
.LBB4_1997:                             ;   in Loop: Header=BB4_1409 Depth=2
	v_and_b32_sdwa v10, v3, s75 dst_sel:DWORD dst_unused:UNUSED_PAD src0_sel:BYTE_3 src1_sel:DWORD
	v_and_b32_e32 v4, 0x7f800000, v3
	v_mov_b32_e32 v5, v55
	v_and_b32_e32 v54, 0x7fffff, v3
	v_or_b32_e32 v49, 0x7e, v10
	v_cmp_ne_u64_e32 vcc, s[44:45], v[4:5]
	s_and_saveexec_b64 s[24:25], vcc
	s_xor_b64 s[62:63], exec, s[24:25]
	s_cbranch_execz .LBB4_2007
; %bb.1998:                             ;   in Loop: Header=BB4_1409 Depth=2
	v_and_b32_e32 v4, 0x7fffffff, v3
	v_mov_b32_e32 v5, v55
	v_cmp_gt_u64_e32 vcc, s[46:47], v[4:5]
	s_and_saveexec_b64 s[64:65], vcc
	s_cbranch_execz .LBB4_2006
; %bb.1999:                             ;   in Loop: Header=BB4_1409 Depth=2
	v_cmp_ne_u32_e32 vcc, 0, v3
	v_mov_b32_e32 v49, 0
	s_and_saveexec_b64 s[66:67], vcc
	s_cbranch_execz .LBB4_2005
; %bb.2000:                             ;   in Loop: Header=BB4_1409 Depth=2
	v_bfe_u32 v2, v3, 23, 8
	v_sub_u32_e32 v4, 0x79, v2
	v_cmp_gt_u32_e32 vcc, s78, v2
	v_add_u32_e32 v3, 0xffffff81, v2
	v_cndmask_b32_e32 v4, 0, v4, vcc
	v_cmp_eq_u32_e32 vcc, 0, v2
	v_mov_b32_e32 v2, 0xffffff82
	v_cndmask_b32_e32 v38, v3, v2, vcc
	v_mov_b32_e32 v2, 0x78
	v_or_b32_e32 v5, 0x800000, v54
	v_cndmask_b32_e32 v4, v4, v2, vcc
	v_cndmask_b32_e32 v54, v5, v54, vcc
	v_add_u32_e32 v2, 20, v4
	v_lshlrev_b64 v[2:3], v2, -1
	v_add_u32_e32 v5, 19, v4
	v_lshrrev_b64 v[8:9], v4, v[54:55]
	v_not_b32_e32 v3, v3
	v_not_b32_e32 v2, v2
	v_lshlrev_b64 v[6:7], v5, 1
	v_lshrrev_b32_e32 v5, 23, v8
	v_and_b32_e32 v3, 0, v3
	v_and_b32_e32 v2, v54, v2
	v_add3_u32 v4, v4, v38, v5
	v_bfe_u32 v5, v8, 20, 1
	v_add_u32_e32 v5, -1, v5
	v_cmp_eq_u64_e32 vcc, v[2:3], v[6:7]
	v_cndmask_b32_e32 v2, 0, v5, vcc
	v_add_u32_e32 v2, v2, v8
	v_and_b32_e32 v2, 0xfffff, v2
	v_add_co_u32_e32 v2, vcc, v2, v8
	v_add_u32_e32 v53, 6, v4
	v_addc_co_u32_e32 v3, vcc, 0, v9, vcc
	v_cmp_ne_u32_e32 vcc, 0, v53
                                        ; implicit-def: $vgpr49
	s_and_saveexec_b64 s[24:25], vcc
	s_xor_b64 s[24:25], exec, s[24:25]
; %bb.2001:                             ;   in Loop: Header=BB4_1409 Depth=2
	v_add_u32_e32 v4, 7, v4
	v_cmp_lt_u64_e32 vcc, s[50:51], v[2:3]
	v_cndmask_b32_e32 v49, v53, v4, vcc
	v_cndmask_b32_e64 v4, 0, 1, vcc
	v_lshrrev_b64 v[2:3], v4, v[2:3]
; %bb.2002:                             ;   in Loop: Header=BB4_1409 Depth=2
	s_andn2_saveexec_b64 s[24:25], s[24:25]
; %bb.2003:                             ;   in Loop: Header=BB4_1409 Depth=2
	v_bfe_u32 v49, v2, 23, 1
; %bb.2004:                             ;   in Loop: Header=BB4_1409 Depth=2
	s_or_b64 exec, exec, s[24:25]
	v_lshrrev_b64 v[2:3], 20, v[2:3]
	v_cmp_gt_i32_e32 vcc, 16, v49
	v_cndmask_b32_e32 v3, 0, v3, vcc
	v_cndmask_b32_e32 v2, 7, v2, vcc
	v_cmp_eq_u64_e64 s[24:25], 0, v[2:3]
	v_min_i32_e32 v3, 15, v49
	v_lshlrev_b32_e32 v3, 3, v3
	v_cmp_eq_u32_e32 vcc, 0, v49
	v_and_b32_e32 v3, 0xf8, v3
	v_and_or_b32 v2, v2, 7, v3
	s_and_b64 s[24:25], vcc, s[24:25]
	v_cndmask_b32_e64 v2, v2, 0, s[24:25]
	v_or_b32_e32 v49, v2, v10
	v_accvgpr_read_b32 v38, a30
.LBB4_2005:                             ;   in Loop: Header=BB4_1409 Depth=2
	s_or_b64 exec, exec, s[66:67]
.LBB4_2006:                             ;   in Loop: Header=BB4_1409 Depth=2
	s_or_b64 exec, exec, s[64:65]
                                        ; implicit-def: $vgpr3
.LBB4_2007:                             ;   in Loop: Header=BB4_1409 Depth=2
	s_andn2_saveexec_b64 s[24:25], s[62:63]
; %bb.2008:                             ;   in Loop: Header=BB4_1409 Depth=2
	v_or_b32_sdwa v2, v3, s76 dst_sel:DWORD dst_unused:UNUSED_PAD src0_sel:BYTE_3 src1_sel:DWORD
	v_cmp_eq_u64_e32 vcc, 0, v[54:55]
	v_cndmask_b32_e32 v49, v2, v49, vcc
; %bb.2009:                             ;   in Loop: Header=BB4_1409 Depth=2
	s_or_b64 exec, exec, s[24:25]
	v_lshrrev_b32_e32 v10, 24, v17
	v_lshrrev_b32_e32 v2, 24, v13
	v_cmp_lt_u64_e64 s[24:25], s[48:49], v[16:17]
	s_and_b64 vcc, exec, s[60:61]
	s_cbranch_vccz .LBB4_2023
; %bb.2010:                             ;   in Loop: Header=BB4_1409 Depth=2
	v_mov_b32_e32 v16, 0
	v_mov_b32_e32 v3, 0
	s_and_saveexec_b64 s[62:63], s[24:25]
	s_cbranch_execz .LBB4_2016
; %bb.2011:                             ;   in Loop: Header=BB4_1409 Depth=2
	v_cmp_ne_u32_e32 vcc, s75, v10
	v_bfrev_b32_e32 v3, 1
	s_and_saveexec_b64 s[64:65], vcc
	s_cbranch_execz .LBB4_2015
; %bb.2012:                             ;   in Loop: Header=BB4_1409 Depth=2
	v_bfe_u32 v4, v17, 24, 7
	v_cmp_ne_u32_e32 vcc, s76, v4
	v_mov_b32_e32 v3, 0x7f800001
	s_and_saveexec_b64 s[66:67], vcc
	s_cbranch_execz .LBB4_2014
; %bb.2013:                             ;   in Loop: Header=BB4_1409 Depth=2
	v_and_b32_e32 v3, 7, v10
	v_ffbh_u32_e32 v6, v3
	v_min_u32_e32 v8, 32, v6
	v_subrev_u32_e32 v6, 28, v8
	v_lshlrev_b64 v[6:7], v6, v[10:11]
	v_lshrrev_b32_e32 v5, 3, v4
	v_sub_u32_e32 v7, 29, v8
	v_and_b32_e32 v6, 7, v6
	v_cmp_gt_u32_e32 vcc, 8, v4
	v_cndmask_b32_e32 v4, v5, v7, vcc
	v_cndmask_b32_e32 v3, v3, v6, vcc
	v_lshlrev_b32_e32 v5, 24, v10
	v_lshlrev_b32_e32 v3, 20, v3
	v_and_b32_e32 v5, 0x80000000, v5
	v_lshl_add_u32 v4, v4, 23, v0
	v_or3_b32 v3, v5, v4, v3
.LBB4_2014:                             ;   in Loop: Header=BB4_1409 Depth=2
	s_or_b64 exec, exec, s[66:67]
.LBB4_2015:                             ;   in Loop: Header=BB4_1409 Depth=2
	s_or_b64 exec, exec, s[64:65]
.LBB4_2016:                             ;   in Loop: Header=BB4_1409 Depth=2
	s_or_b64 exec, exec, s[62:63]
	v_cmp_lt_u64_e32 vcc, s[48:49], v[12:13]
	s_and_saveexec_b64 s[62:63], vcc
	s_cbranch_execz .LBB4_2022
; %bb.2017:                             ;   in Loop: Header=BB4_1409 Depth=2
	v_cmp_ne_u32_e32 vcc, s75, v2
	v_bfrev_b32_e32 v16, 1
	s_and_saveexec_b64 s[64:65], vcc
	s_cbranch_execz .LBB4_2021
; %bb.2018:                             ;   in Loop: Header=BB4_1409 Depth=2
	v_bfe_u32 v4, v13, 24, 7
	v_cmp_ne_u32_e32 vcc, s76, v4
	v_mov_b32_e32 v16, 0x7f800001
	s_and_saveexec_b64 s[66:67], vcc
	s_cbranch_execz .LBB4_2020
; %bb.2019:                             ;   in Loop: Header=BB4_1409 Depth=2
	v_and_b32_e32 v5, 7, v2
	v_ffbh_u32_e32 v6, v5
	v_min_u32_e32 v9, 32, v6
	v_subrev_u32_e32 v6, 28, v9
	v_lshlrev_b64 v[6:7], v6, v[2:3]
	v_lshrrev_b32_e32 v8, 3, v4
	v_sub_u32_e32 v7, 29, v9
	v_and_b32_e32 v6, 7, v6
	v_cmp_gt_u32_e32 vcc, 8, v4
	v_cndmask_b32_e32 v4, v8, v7, vcc
	v_cndmask_b32_e32 v5, v5, v6, vcc
	v_lshlrev_b32_e32 v6, 24, v2
	v_lshlrev_b32_e32 v5, 20, v5
	v_and_b32_e32 v6, 0x80000000, v6
	v_lshl_add_u32 v4, v4, 23, v0
	v_or3_b32 v16, v6, v4, v5
.LBB4_2020:                             ;   in Loop: Header=BB4_1409 Depth=2
	s_or_b64 exec, exec, s[66:67]
.LBB4_2021:                             ;   in Loop: Header=BB4_1409 Depth=2
	s_or_b64 exec, exec, s[64:65]
.LBB4_2022:                             ;   in Loop: Header=BB4_1409 Depth=2
	s_or_b64 exec, exec, s[62:63]
	v_max_f32_e32 v4, v16, v16
	v_max_f32_e32 v3, v3, v3
	;; [unrolled: 1-line block ×3, first 2 shown]
	s_branch .LBB4_2037
.LBB4_2023:                             ;   in Loop: Header=BB4_1409 Depth=2
                                        ; implicit-def: $vgpr3
	s_cbranch_execz .LBB4_2037
; %bb.2024:                             ;   in Loop: Header=BB4_1409 Depth=2
	v_mov_b32_e32 v16, 0
	v_mov_b32_e32 v3, 0
	s_and_saveexec_b64 s[62:63], s[24:25]
	s_cbranch_execz .LBB4_2030
; %bb.2025:                             ;   in Loop: Header=BB4_1409 Depth=2
	v_cmp_ne_u32_e32 vcc, s75, v10
	v_bfrev_b32_e32 v3, 1
	s_and_saveexec_b64 s[24:25], vcc
	s_cbranch_execz .LBB4_2029
; %bb.2026:                             ;   in Loop: Header=BB4_1409 Depth=2
	v_bfe_u32 v4, v17, 24, 7
	v_cmp_ne_u32_e32 vcc, s76, v4
	v_mov_b32_e32 v3, 0x7f800001
	s_and_saveexec_b64 s[64:65], vcc
	s_cbranch_execz .LBB4_2028
; %bb.2027:                             ;   in Loop: Header=BB4_1409 Depth=2
	v_and_b32_e32 v3, 7, v10
	v_ffbh_u32_e32 v6, v3
	v_min_u32_e32 v8, 32, v6
	v_subrev_u32_e32 v6, 28, v8
	v_lshlrev_b64 v[6:7], v6, v[10:11]
	v_lshrrev_b32_e32 v5, 3, v4
	v_sub_u32_e32 v7, 29, v8
	v_and_b32_e32 v6, 7, v6
	v_cmp_gt_u32_e32 vcc, 8, v4
	v_cndmask_b32_e32 v4, v5, v7, vcc
	v_cndmask_b32_e32 v3, v3, v6, vcc
	v_lshlrev_b32_e32 v5, 24, v10
	v_lshlrev_b32_e32 v3, 20, v3
	v_and_b32_e32 v5, 0x80000000, v5
	v_lshl_add_u32 v4, v4, 23, v0
	v_or3_b32 v3, v5, v4, v3
.LBB4_2028:                             ;   in Loop: Header=BB4_1409 Depth=2
	s_or_b64 exec, exec, s[64:65]
.LBB4_2029:                             ;   in Loop: Header=BB4_1409 Depth=2
	s_or_b64 exec, exec, s[24:25]
.LBB4_2030:                             ;   in Loop: Header=BB4_1409 Depth=2
	s_or_b64 exec, exec, s[62:63]
	v_cmp_lt_u64_e32 vcc, s[48:49], v[12:13]
	s_and_saveexec_b64 s[24:25], vcc
	s_cbranch_execz .LBB4_2036
; %bb.2031:                             ;   in Loop: Header=BB4_1409 Depth=2
	v_cmp_ne_u32_e32 vcc, s75, v2
	v_bfrev_b32_e32 v16, 1
	s_and_saveexec_b64 s[62:63], vcc
	s_cbranch_execz .LBB4_2035
; %bb.2032:                             ;   in Loop: Header=BB4_1409 Depth=2
	v_bfe_u32 v4, v13, 24, 7
	v_cmp_ne_u32_e32 vcc, s76, v4
	v_mov_b32_e32 v16, 0x7f800001
	s_and_saveexec_b64 s[64:65], vcc
	s_cbranch_execz .LBB4_2034
; %bb.2033:                             ;   in Loop: Header=BB4_1409 Depth=2
	v_and_b32_e32 v5, 7, v2
	v_ffbh_u32_e32 v6, v5
	v_min_u32_e32 v9, 32, v6
	v_subrev_u32_e32 v6, 28, v9
	v_lshlrev_b64 v[6:7], v6, v[2:3]
	v_lshrrev_b32_e32 v8, 3, v4
	v_sub_u32_e32 v7, 29, v9
	v_and_b32_e32 v6, 7, v6
	v_cmp_gt_u32_e32 vcc, 8, v4
	v_cndmask_b32_e32 v4, v8, v7, vcc
	v_cndmask_b32_e32 v5, v5, v6, vcc
	v_lshlrev_b32_e32 v2, 24, v2
	v_lshlrev_b32_e32 v5, 20, v5
	v_and_b32_e32 v2, 0x80000000, v2
	v_lshl_add_u32 v4, v4, 23, v0
	v_or3_b32 v16, v2, v4, v5
.LBB4_2034:                             ;   in Loop: Header=BB4_1409 Depth=2
	s_or_b64 exec, exec, s[64:65]
.LBB4_2035:                             ;   in Loop: Header=BB4_1409 Depth=2
	s_or_b64 exec, exec, s[62:63]
.LBB4_2036:                             ;   in Loop: Header=BB4_1409 Depth=2
	s_or_b64 exec, exec, s[24:25]
	v_max_f32_e32 v2, v16, v16
	v_max_f32_e32 v3, v3, v3
	v_min_f32_e32 v3, v3, v2
.LBB4_2037:                             ;   in Loop: Header=BB4_1409 Depth=2
	v_and_b32_sdwa v10, v3, s75 dst_sel:DWORD dst_unused:UNUSED_PAD src0_sel:BYTE_3 src1_sel:DWORD
	v_and_b32_e32 v4, 0x7f800000, v3
	v_mov_b32_e32 v5, v55
	v_and_b32_e32 v54, 0x7fffff, v3
	v_or_b32_e32 v2, 0x7e, v10
	v_cmp_ne_u64_e32 vcc, s[44:45], v[4:5]
	s_and_saveexec_b64 s[24:25], vcc
	s_xor_b64 s[62:63], exec, s[24:25]
	s_cbranch_execz .LBB4_2047
; %bb.2038:                             ;   in Loop: Header=BB4_1409 Depth=2
	v_and_b32_e32 v4, 0x7fffffff, v3
	v_mov_b32_e32 v5, v55
	v_cmp_gt_u64_e32 vcc, s[46:47], v[4:5]
	s_and_saveexec_b64 s[64:65], vcc
	s_cbranch_execz .LBB4_2046
; %bb.2039:                             ;   in Loop: Header=BB4_1409 Depth=2
	v_cmp_ne_u32_e32 vcc, 0, v3
	v_mov_b32_e32 v2, 0
	s_and_saveexec_b64 s[66:67], vcc
	s_cbranch_execz .LBB4_2045
; %bb.2040:                             ;   in Loop: Header=BB4_1409 Depth=2
	v_bfe_u32 v2, v3, 23, 8
	v_sub_u32_e32 v4, 0x79, v2
	v_cmp_gt_u32_e32 vcc, s78, v2
	v_add_u32_e32 v3, 0xffffff81, v2
	v_cndmask_b32_e32 v4, 0, v4, vcc
	v_cmp_eq_u32_e32 vcc, 0, v2
	v_mov_b32_e32 v2, 0xffffff82
	v_cndmask_b32_e32 v12, v3, v2, vcc
	v_mov_b32_e32 v2, 0x78
	v_or_b32_e32 v5, 0x800000, v54
	v_cndmask_b32_e32 v4, v4, v2, vcc
	v_cndmask_b32_e32 v54, v5, v54, vcc
	v_add_u32_e32 v2, 20, v4
	v_lshlrev_b64 v[2:3], v2, -1
	v_add_u32_e32 v5, 19, v4
	v_lshrrev_b64 v[8:9], v4, v[54:55]
	v_not_b32_e32 v3, v3
	v_not_b32_e32 v2, v2
	v_lshlrev_b64 v[6:7], v5, 1
	v_lshrrev_b32_e32 v5, 23, v8
	v_and_b32_e32 v3, 0, v3
	v_and_b32_e32 v2, v54, v2
	v_add3_u32 v4, v4, v12, v5
	v_bfe_u32 v5, v8, 20, 1
	v_add_u32_e32 v5, -1, v5
	v_cmp_eq_u64_e32 vcc, v[2:3], v[6:7]
	v_cndmask_b32_e32 v2, 0, v5, vcc
	v_add_u32_e32 v2, v2, v8
	v_and_b32_e32 v2, 0xfffff, v2
	v_add_co_u32_e32 v2, vcc, v2, v8
	v_add_u32_e32 v13, 6, v4
	v_addc_co_u32_e32 v3, vcc, 0, v9, vcc
	v_cmp_ne_u32_e32 vcc, 0, v13
                                        ; implicit-def: $vgpr12
	s_and_saveexec_b64 s[24:25], vcc
	s_xor_b64 s[24:25], exec, s[24:25]
; %bb.2041:                             ;   in Loop: Header=BB4_1409 Depth=2
	v_add_u32_e32 v4, 7, v4
	v_cmp_lt_u64_e32 vcc, s[50:51], v[2:3]
	v_cndmask_b32_e32 v12, v13, v4, vcc
	v_cndmask_b32_e64 v4, 0, 1, vcc
	v_lshrrev_b64 v[2:3], v4, v[2:3]
; %bb.2042:                             ;   in Loop: Header=BB4_1409 Depth=2
	s_andn2_saveexec_b64 s[24:25], s[24:25]
; %bb.2043:                             ;   in Loop: Header=BB4_1409 Depth=2
	v_bfe_u32 v12, v2, 23, 1
; %bb.2044:                             ;   in Loop: Header=BB4_1409 Depth=2
	s_or_b64 exec, exec, s[24:25]
	v_lshrrev_b64 v[2:3], 20, v[2:3]
	v_cmp_gt_i32_e32 vcc, 16, v12
	v_cndmask_b32_e32 v3, 0, v3, vcc
	v_cndmask_b32_e32 v2, 7, v2, vcc
	v_cmp_eq_u64_e64 s[24:25], 0, v[2:3]
	v_min_i32_e32 v3, 15, v12
	v_lshlrev_b32_e32 v3, 3, v3
	v_cmp_eq_u32_e32 vcc, 0, v12
	v_and_b32_e32 v3, 0xf8, v3
	v_and_or_b32 v2, v2, 7, v3
	s_and_b64 s[24:25], vcc, s[24:25]
	v_cndmask_b32_e64 v2, v2, 0, s[24:25]
	v_or_b32_e32 v2, v2, v10
.LBB4_2045:                             ;   in Loop: Header=BB4_1409 Depth=2
	s_or_b64 exec, exec, s[66:67]
.LBB4_2046:                             ;   in Loop: Header=BB4_1409 Depth=2
	s_or_b64 exec, exec, s[64:65]
                                        ; implicit-def: $vgpr3
.LBB4_2047:                             ;   in Loop: Header=BB4_1409 Depth=2
	s_andn2_saveexec_b64 s[24:25], s[62:63]
	s_cbranch_execz .LBB4_1408
; %bb.2048:                             ;   in Loop: Header=BB4_1409 Depth=2
	v_or_b32_sdwa v3, v3, s76 dst_sel:DWORD dst_unused:UNUSED_PAD src0_sel:BYTE_3 src1_sel:DWORD
	v_cmp_eq_u64_e32 vcc, 0, v[54:55]
	v_cndmask_b32_e32 v2, v3, v2, vcc
	s_branch .LBB4_1408
.LBB4_2049:                             ;   in Loop: Header=BB4_49 Depth=1
	s_or_b64 exec, exec, s[58:59]
	v_accvgpr_read_b32 v8, a42
.LBB4_2050:                             ;   in Loop: Header=BB4_49 Depth=1
	s_or_b64 exec, exec, s[56:57]
	v_accvgpr_read_b32 v1, a39
	v_and_b32_e32 v3, 15, v1
	v_cndmask_b32_e64 v17, v34, v3, s[22:23]
	v_cmp_ne_u32_e32 vcc, 0, v17
	s_mov_b64 s[24:25], 0
	v_mov_b32_e32 v1, 0
                                        ; implicit-def: $vgpr18
                                        ; implicit-def: $vgpr2
	s_and_saveexec_b64 s[56:57], vcc
	s_cbranch_execz .LBB4_2052
; %bb.2051:                             ;   in Loop: Header=BB4_49 Depth=1
	v_accvgpr_read_b32 v1, a39
	v_sub_u32_e32 v2, v34, v3
	v_and_b32_e32 v1, 0x3ffffc00, v1
	v_cndmask_b32_e64 v2, 0, v2, s[22:23]
	v_cmp_lt_i32_e32 vcc, 0, v31
	v_add_u32_e32 v1, v2, v1
	v_cndmask_b32_e32 v2, 0, v42, vcc
	v_sub_u32_e32 v2, v2, v31
	v_lshl_add_u32 v18, v2, 6, v30
	v_ashrrev_i32_e32 v2, 31, v18
	v_lshrrev_b32_e32 v2, 26, v2
	v_add_u32_e32 v2, v18, v2
	s_mov_b64 s[24:25], exec
	v_ashrrev_i32_e32 v2, 6, v2
.LBB4_2052:                             ;   in Loop: Header=BB4_49 Depth=1
	s_or_b64 exec, exec, s[56:57]
	s_and_b64 s[22:23], s[24:25], exec
.LBB4_2053:                             ;   in Loop: Header=BB4_49 Depth=1
	s_or_b64 exec, exec, s[26:27]
	v_accvgpr_read_b32 v52, a34
	v_accvgpr_read_b32 v53, a35
	;; [unrolled: 1-line block ×3, first 2 shown]
	s_and_saveexec_b64 s[56:57], s[22:23]
	s_cbranch_execz .LBB4_2458
.LBB4_2054:                             ;   in Loop: Header=BB4_49 Depth=1
	v_ashrrev_i32_e32 v3, 31, v17
	v_lshrrev_b32_e32 v3, 23, v3
	v_add_u32_e32 v3, v17, v3
	v_ashrrev_i32_e32 v21, 9, v3
	v_sub_u32_e32 v19, v21, v2
	v_ashrrev_i32_e32 v3, 31, v18
	v_cmp_lt_i32_e32 vcc, 0, v19
	v_lshrrev_b32_e32 v20, 26, v3
	s_and_saveexec_b64 s[26:27], vcc
	s_cbranch_execz .LBB4_2410
; %bb.2055:                             ;   in Loop: Header=BB4_49 Depth=1
	v_add_u32_e32 v3, v18, v20
	v_and_b32_e32 v3, 0xffffffc0, v3
	s_trap 2
	v_sub_u32_e32 v6, v18, v3
	v_lshlrev_b32_e32 v7, 9, v2
	ds_read_b128 v[2:5], v0
	v_add3_u32 v8, v1, v6, v7
	ds_read_b64 v[6:7], v0
	v_ashrrev_i32_e32 v9, 31, v8
	s_bitcmp1_b32 s68, 0
	s_waitcnt lgkmcnt(0)
	v_add_co_u32_e32 v10, vcc, v2, v8
	v_addc_co_u32_e32 v11, vcc, v3, v9, vcc
	v_add_co_u32_e32 v12, vcc, v4, v8
	v_addc_co_u32_e32 v13, vcc, v5, v9, vcc
	;; [unrolled: 2-line block ×3, first 2 shown]
	v_add_co_u32_e32 v14, vcc, v2, v8
	s_cselect_b64 s[58:59], -1, 0
	v_addc_co_u32_e32 v15, vcc, v3, v9, vcc
	s_mov_b64 s[60:61], 0
	s_branch .LBB4_2057
.LBB4_2056:                             ;   in Loop: Header=BB4_2057 Depth=2
	s_or_b64 exec, exec, s[22:23]
	v_add_co_u32_e32 v4, vcc, 0xfffffe40, v14
	v_addc_co_u32_e32 v5, vcc, -1, v15, vcc
	flat_store_byte v[4:5], v24 glc slc
	v_add_co_u32_e32 v4, vcc, 0xfffffe80, v14
	v_addc_co_u32_e32 v5, vcc, -1, v15, vcc
	flat_store_byte v[4:5], v29 glc slc
	;; [unrolled: 3-line block ×6, first 2 shown]
	v_add_co_u32_e32 v4, vcc, s72, v14
	v_addc_co_u32_e32 v5, vcc, -1, v15, vcc
	v_add_co_u32_e32 v10, vcc, v10, v53
	v_addc_co_u32_e32 v11, vcc, v11, v57, vcc
	v_add_co_u32_e32 v12, vcc, v12, v53
	v_addc_co_u32_e32 v13, vcc, v13, v57, vcc
	v_sub_u32_e32 v19, v19, v42
	v_cmp_gt_i32_e32 vcc, 1, v19
	flat_store_byte v[4:5], v25 glc slc
	flat_store_byte v[14:15], v3 glc slc
	s_or_b64 s[60:61], vcc, s[60:61]
	v_add_co_u32_e32 v14, vcc, v14, v53
	v_addc_co_u32_e32 v15, vcc, v15, v57, vcc
	s_andn2_b64 exec, exec, s[60:61]
	s_cbranch_execz .LBB4_2409
.LBB4_2057:                             ;   Parent Loop BB4_49 Depth=1
                                        ; =>  This Inner Loop Header: Depth=2
	flat_load_ubyte v16, v[10:11] glc slc
	flat_load_ubyte v50, v[10:11] offset:64 glc slc
	flat_load_ubyte v49, v[10:11] offset:128 glc slc
	;; [unrolled: 1-line block ×7, first 2 shown]
	flat_load_ubyte v3, v[12:13] glc slc
	flat_load_ubyte v29, v[12:13] offset:64 glc slc
	flat_load_ubyte v31, v[12:13] offset:128 glc slc
	;; [unrolled: 1-line block ×7, first 2 shown]
	s_and_b64 vcc, exec, s[58:59]
	s_waitcnt vmcnt(0) lgkmcnt(0)
	v_cmp_ne_u16_e64 s[22:23], 0, v16
	s_cbranch_vccz .LBB4_2071
; %bb.2058:                             ;   in Loop: Header=BB4_2057 Depth=2
	v_mov_b32_e32 v24, 0
	v_mov_b32_e32 v51, 0
	s_and_saveexec_b64 s[24:25], s[22:23]
	s_cbranch_execz .LBB4_2064
; %bb.2059:                             ;   in Loop: Header=BB4_2057 Depth=2
	v_cmp_ne_u16_e32 vcc, s75, v16
	v_bfrev_b32_e32 v51, 1
	s_and_saveexec_b64 s[62:63], vcc
	s_cbranch_execz .LBB4_2063
; %bb.2060:                             ;   in Loop: Header=BB4_2057 Depth=2
	v_and_b32_e32 v2, 0xffff, v16
	v_and_b32_e32 v4, 0x7f, v2
	v_cmp_ne_u32_e32 vcc, s76, v4
	v_mov_b32_e32 v51, 0x7f800001
	s_and_saveexec_b64 s[64:65], vcc
	s_cbranch_execz .LBB4_2062
; %bb.2061:                             ;   in Loop: Header=BB4_2057 Depth=2
	v_and_b32_e32 v5, 7, v2
	v_ffbh_u32_e32 v6, v5
	v_min_u32_e32 v9, 32, v6
	v_subrev_u32_e32 v6, 28, v9
	v_lshlrev_b64 v[6:7], v6, v[2:3]
	v_lshrrev_b32_e32 v8, 3, v4
	v_sub_u32_e32 v2, 29, v9
	v_and_b32_e32 v6, 7, v6
	v_cmp_gt_u32_e32 vcc, 8, v4
	v_cndmask_b32_e32 v2, v8, v2, vcc
	v_cndmask_b32_e32 v4, v5, v6, vcc
	v_lshlrev_b32_e32 v5, 24, v16
	v_lshlrev_b32_e32 v4, 20, v4
	v_and_b32_e32 v5, 0x80000000, v5
	v_lshl_add_u32 v2, v2, 23, v0
	v_or3_b32 v51, v5, v2, v4
.LBB4_2062:                             ;   in Loop: Header=BB4_2057 Depth=2
	s_or_b64 exec, exec, s[64:65]
.LBB4_2063:                             ;   in Loop: Header=BB4_2057 Depth=2
	s_or_b64 exec, exec, s[62:63]
.LBB4_2064:                             ;   in Loop: Header=BB4_2057 Depth=2
	s_or_b64 exec, exec, s[24:25]
	v_and_b32_e32 v2, 0xff, v3
	v_cmp_ne_u16_e32 vcc, 0, v2
	s_and_saveexec_b64 s[24:25], vcc
	s_cbranch_execz .LBB4_2070
; %bb.2065:                             ;   in Loop: Header=BB4_2057 Depth=2
	v_cmp_ne_u16_e32 vcc, s75, v2
	v_bfrev_b32_e32 v24, 1
	s_and_saveexec_b64 s[62:63], vcc
	s_cbranch_execz .LBB4_2069
; %bb.2066:                             ;   in Loop: Header=BB4_2057 Depth=2
	v_and_b32_e32 v4, 0x7f, v3
	v_cmp_ne_u32_e32 vcc, s76, v4
	v_mov_b32_e32 v24, 0x7f800001
	s_and_saveexec_b64 s[64:65], vcc
	s_cbranch_execz .LBB4_2068
; %bb.2067:                             ;   in Loop: Header=BB4_2057 Depth=2
	v_and_b32_e32 v5, 7, v2
	v_ffbh_u32_e32 v6, v5
	v_min_u32_e32 v9, 32, v6
	v_subrev_u32_e32 v6, 28, v9
	v_lshlrev_b64 v[6:7], v6, v[2:3]
	v_lshrrev_b32_e32 v8, 3, v4
	v_sub_u32_e32 v2, 29, v9
	v_and_b32_e32 v6, 7, v6
	v_cmp_gt_u32_e32 vcc, 8, v4
	v_cndmask_b32_e32 v2, v8, v2, vcc
	v_cndmask_b32_e32 v4, v5, v6, vcc
	v_lshlrev_b32_e32 v5, 24, v3
	v_lshlrev_b32_e32 v4, 20, v4
	v_and_b32_e32 v5, 0x80000000, v5
	v_lshl_add_u32 v2, v2, 23, v0
	v_or3_b32 v24, v5, v2, v4
.LBB4_2068:                             ;   in Loop: Header=BB4_2057 Depth=2
	s_or_b64 exec, exec, s[64:65]
.LBB4_2069:                             ;   in Loop: Header=BB4_2057 Depth=2
	s_or_b64 exec, exec, s[62:63]
.LBB4_2070:                             ;   in Loop: Header=BB4_2057 Depth=2
	s_or_b64 exec, exec, s[24:25]
	v_max_f32_e32 v2, v24, v24
	v_max_f32_e32 v4, v51, v51
	;; [unrolled: 1-line block ×3, first 2 shown]
	s_branch .LBB4_2085
.LBB4_2071:                             ;   in Loop: Header=BB4_2057 Depth=2
                                        ; implicit-def: $vgpr2
	s_cbranch_execz .LBB4_2085
; %bb.2072:                             ;   in Loop: Header=BB4_2057 Depth=2
	v_mov_b32_e32 v24, 0
	v_mov_b32_e32 v51, 0
	s_and_saveexec_b64 s[24:25], s[22:23]
	s_cbranch_execz .LBB4_2078
; %bb.2073:                             ;   in Loop: Header=BB4_2057 Depth=2
	v_cmp_ne_u16_e32 vcc, s75, v16
	v_bfrev_b32_e32 v51, 1
	s_and_saveexec_b64 s[22:23], vcc
	s_cbranch_execz .LBB4_2077
; %bb.2074:                             ;   in Loop: Header=BB4_2057 Depth=2
	v_and_b32_e32 v2, 0xffff, v16
	v_and_b32_e32 v4, 0x7f, v2
	v_cmp_ne_u32_e32 vcc, s76, v4
	v_mov_b32_e32 v51, 0x7f800001
	s_and_saveexec_b64 s[62:63], vcc
	s_cbranch_execz .LBB4_2076
; %bb.2075:                             ;   in Loop: Header=BB4_2057 Depth=2
	v_and_b32_e32 v5, 7, v2
	v_ffbh_u32_e32 v6, v5
	v_min_u32_e32 v9, 32, v6
	v_subrev_u32_e32 v6, 28, v9
	v_lshlrev_b64 v[6:7], v6, v[2:3]
	v_lshrrev_b32_e32 v8, 3, v4
	v_sub_u32_e32 v2, 29, v9
	v_and_b32_e32 v6, 7, v6
	v_cmp_gt_u32_e32 vcc, 8, v4
	v_cndmask_b32_e32 v2, v8, v2, vcc
	v_cndmask_b32_e32 v4, v5, v6, vcc
	v_lshlrev_b32_e32 v5, 24, v16
	v_lshlrev_b32_e32 v4, 20, v4
	v_and_b32_e32 v5, 0x80000000, v5
	v_lshl_add_u32 v2, v2, 23, v0
	v_or3_b32 v51, v5, v2, v4
.LBB4_2076:                             ;   in Loop: Header=BB4_2057 Depth=2
	s_or_b64 exec, exec, s[62:63]
.LBB4_2077:                             ;   in Loop: Header=BB4_2057 Depth=2
	s_or_b64 exec, exec, s[22:23]
.LBB4_2078:                             ;   in Loop: Header=BB4_2057 Depth=2
	s_or_b64 exec, exec, s[24:25]
	v_and_b32_e32 v2, 0xff, v3
	v_cmp_ne_u16_e32 vcc, 0, v2
	s_and_saveexec_b64 s[22:23], vcc
	s_cbranch_execz .LBB4_2084
; %bb.2079:                             ;   in Loop: Header=BB4_2057 Depth=2
	v_cmp_ne_u16_e32 vcc, s75, v2
	v_bfrev_b32_e32 v24, 1
	s_and_saveexec_b64 s[24:25], vcc
	s_cbranch_execz .LBB4_2083
; %bb.2080:                             ;   in Loop: Header=BB4_2057 Depth=2
	v_and_b32_e32 v4, 0x7f, v3
	v_cmp_ne_u32_e32 vcc, s76, v4
	v_mov_b32_e32 v24, 0x7f800001
	s_and_saveexec_b64 s[62:63], vcc
	s_cbranch_execz .LBB4_2082
; %bb.2081:                             ;   in Loop: Header=BB4_2057 Depth=2
	v_and_b32_e32 v5, 7, v2
	v_ffbh_u32_e32 v6, v5
	v_min_u32_e32 v9, 32, v6
	v_subrev_u32_e32 v6, 28, v9
	v_lshlrev_b64 v[6:7], v6, v[2:3]
	v_lshrrev_b32_e32 v8, 3, v4
	v_sub_u32_e32 v2, 29, v9
	v_and_b32_e32 v6, 7, v6
	v_cmp_gt_u32_e32 vcc, 8, v4
	v_cndmask_b32_e32 v2, v8, v2, vcc
	v_cndmask_b32_e32 v4, v5, v6, vcc
	v_lshlrev_b32_e32 v3, 24, v3
	v_lshlrev_b32_e32 v4, 20, v4
	v_and_b32_e32 v3, 0x80000000, v3
	v_lshl_add_u32 v2, v2, 23, v0
	v_or3_b32 v24, v3, v2, v4
.LBB4_2082:                             ;   in Loop: Header=BB4_2057 Depth=2
	s_or_b64 exec, exec, s[62:63]
.LBB4_2083:                             ;   in Loop: Header=BB4_2057 Depth=2
	s_or_b64 exec, exec, s[24:25]
.LBB4_2084:                             ;   in Loop: Header=BB4_2057 Depth=2
	s_or_b64 exec, exec, s[22:23]
	v_max_f32_e32 v2, v24, v24
	v_max_f32_e32 v3, v51, v51
	v_min_f32_e32 v2, v3, v2
.LBB4_2085:                             ;   in Loop: Header=BB4_2057 Depth=2
	v_and_b32_sdwa v16, v2, s75 dst_sel:DWORD dst_unused:UNUSED_PAD src0_sel:BYTE_3 src1_sel:DWORD
	v_and_b32_e32 v4, 0x7f800000, v2
	v_mov_b32_e32 v5, v55
	v_and_b32_e32 v54, 0x7fffff, v2
	v_or_b32_e32 v24, 0x7e, v16
	v_cmp_ne_u64_e32 vcc, s[44:45], v[4:5]
	s_and_saveexec_b64 s[22:23], vcc
	s_xor_b64 s[24:25], exec, s[22:23]
	s_cbranch_execz .LBB4_2099
; %bb.2086:                             ;   in Loop: Header=BB4_2057 Depth=2
	v_and_b32_e32 v4, 0x7fffffff, v2
	v_mov_b32_e32 v5, v55
	v_cmp_gt_u64_e32 vcc, s[46:47], v[4:5]
	s_and_saveexec_b64 s[22:23], vcc
	s_xor_b64 s[62:63], exec, s[22:23]
	s_cbranch_execz .LBB4_2098
; %bb.2087:                             ;   in Loop: Header=BB4_2057 Depth=2
	v_cmp_ne_u32_e32 vcc, 0, v2
	v_mov_b32_e32 v24, 0
	s_and_saveexec_b64 s[64:65], vcc
	s_cbranch_execz .LBB4_2097
; %bb.2088:                             ;   in Loop: Header=BB4_2057 Depth=2
	v_bfe_u32 v2, v2, 23, 8
	v_sub_u32_e32 v4, 0x79, v2
	v_cmp_gt_u32_e32 vcc, s78, v2
	v_add_u32_e32 v3, 0xffffff81, v2
	v_cndmask_b32_e32 v4, 0, v4, vcc
	v_cmp_eq_u32_e32 vcc, 0, v2
	v_mov_b32_e32 v2, 0xffffff82
	v_cndmask_b32_e32 v24, v3, v2, vcc
	v_mov_b32_e32 v2, 0x78
	v_or_b32_e32 v5, 0x800000, v54
	v_cndmask_b32_e32 v4, v4, v2, vcc
	v_cndmask_b32_e32 v54, v5, v54, vcc
	v_add_u32_e32 v2, 20, v4
	v_lshlrev_b64 v[2:3], v2, -1
	v_add_u32_e32 v5, 19, v4
	v_lshrrev_b64 v[8:9], v4, v[54:55]
	v_not_b32_e32 v3, v3
	v_not_b32_e32 v2, v2
	v_lshlrev_b64 v[6:7], v5, 1
	v_lshrrev_b32_e32 v5, 23, v8
	v_and_b32_e32 v3, 0, v3
	v_and_b32_e32 v2, v54, v2
	v_add3_u32 v4, v4, v24, v5
	v_bfe_u32 v5, v8, 20, 1
	v_add_u32_e32 v5, -1, v5
	v_cmp_eq_u64_e32 vcc, v[2:3], v[6:7]
	v_cndmask_b32_e32 v2, 0, v5, vcc
	v_add_u32_e32 v2, v2, v8
	v_and_b32_e32 v2, 0xfffff, v2
	v_add_co_u32_e32 v2, vcc, v2, v8
	v_add_u32_e32 v24, 6, v4
	v_addc_co_u32_e32 v3, vcc, 0, v9, vcc
	v_cmp_ne_u32_e32 vcc, 0, v24
                                        ; implicit-def: $vgpr51
	s_and_saveexec_b64 s[22:23], vcc
	s_xor_b64 s[22:23], exec, s[22:23]
; %bb.2089:                             ;   in Loop: Header=BB4_2057 Depth=2
	v_add_u32_e32 v4, 7, v4
	v_cmp_lt_u64_e32 vcc, s[50:51], v[2:3]
	v_cndmask_b32_e32 v51, v24, v4, vcc
	v_cndmask_b32_e64 v4, 0, 1, vcc
	v_lshrrev_b64 v[2:3], v4, v[2:3]
; %bb.2090:                             ;   in Loop: Header=BB4_2057 Depth=2
	s_andn2_saveexec_b64 s[22:23], s[22:23]
; %bb.2091:                             ;   in Loop: Header=BB4_2057 Depth=2
	v_bfe_u32 v51, v2, 23, 1
; %bb.2092:                             ;   in Loop: Header=BB4_2057 Depth=2
	s_or_b64 exec, exec, s[22:23]
	v_lshrrev_b64 v[2:3], 20, v[2:3]
	v_cmp_gt_i32_e32 vcc, 16, v51
	v_cndmask_b32_e32 v3, 0, v3, vcc
	v_cndmask_b32_e32 v2, 7, v2, vcc
	v_cmp_ne_u32_e32 vcc, 0, v51
	v_cmp_ne_u64_e64 s[22:23], 0, v[2:3]
	s_or_b64 s[22:23], vcc, s[22:23]
                                        ; implicit-def: $vgpr24
	s_and_saveexec_b64 vcc, s[22:23]
	s_xor_b64 s[22:23], exec, vcc
; %bb.2093:                             ;   in Loop: Header=BB4_2057 Depth=2
	v_min_i32_e32 v3, 15, v51
	v_lshl_or_b32 v3, v3, 3, v16
	v_and_or_b32 v24, v2, 7, v3
                                        ; implicit-def: $vgpr16
; %bb.2094:                             ;   in Loop: Header=BB4_2057 Depth=2
	s_andn2_saveexec_b64 s[22:23], s[22:23]
; %bb.2095:                             ;   in Loop: Header=BB4_2057 Depth=2
	v_mov_b32_e32 v24, v16
; %bb.2096:                             ;   in Loop: Header=BB4_2057 Depth=2
	s_or_b64 exec, exec, s[22:23]
.LBB4_2097:                             ;   in Loop: Header=BB4_2057 Depth=2
	s_or_b64 exec, exec, s[64:65]
.LBB4_2098:                             ;   in Loop: Header=BB4_2057 Depth=2
	s_andn2_saveexec_b64 s[22:23], s[62:63]
	s_or_b64 exec, exec, s[22:23]
                                        ; implicit-def: $vgpr2
.LBB4_2099:                             ;   in Loop: Header=BB4_2057 Depth=2
	s_andn2_saveexec_b64 s[22:23], s[24:25]
; %bb.2100:                             ;   in Loop: Header=BB4_2057 Depth=2
	v_or_b32_sdwa v2, v2, s76 dst_sel:DWORD dst_unused:UNUSED_PAD src0_sel:BYTE_3 src1_sel:DWORD
	v_cmp_eq_u64_e32 vcc, 0, v[54:55]
	v_cndmask_b32_e32 v24, v2, v24, vcc
; %bb.2101:                             ;   in Loop: Header=BB4_2057 Depth=2
	s_or_b64 exec, exec, s[22:23]
	v_and_b32_e32 v2, 0xff, v50
	v_cndmask_b32_e64 v3, 0, 1, s[58:59]
	v_cmp_ne_u32_e64 s[22:23], 1, v3
	s_andn2_b64 vcc, exec, s[58:59]
	v_cmp_ne_u16_e64 s[24:25], 0, v2
	s_cbranch_vccnz .LBB4_2115
; %bb.2102:                             ;   in Loop: Header=BB4_2057 Depth=2
	v_mov_b32_e32 v51, 0
	v_mov_b32_e32 v3, 0
	s_and_saveexec_b64 s[62:63], s[24:25]
	s_cbranch_execz .LBB4_2108
; %bb.2103:                             ;   in Loop: Header=BB4_2057 Depth=2
	v_cmp_ne_u16_e32 vcc, s75, v2
	v_bfrev_b32_e32 v3, 1
	s_and_saveexec_b64 s[64:65], vcc
	s_cbranch_execz .LBB4_2107
; %bb.2104:                             ;   in Loop: Header=BB4_2057 Depth=2
	v_and_b32_e32 v4, 0x7f, v50
	v_cmp_ne_u32_e32 vcc, s76, v4
	v_mov_b32_e32 v3, 0x7f800001
	s_and_saveexec_b64 s[66:67], vcc
	s_cbranch_execz .LBB4_2106
; %bb.2105:                             ;   in Loop: Header=BB4_2057 Depth=2
	v_and_b32_e32 v3, 7, v2
	v_ffbh_u32_e32 v6, v3
	v_min_u32_e32 v8, 32, v6
	v_subrev_u32_e32 v6, 28, v8
	v_lshlrev_b64 v[6:7], v6, v[2:3]
	v_lshrrev_b32_e32 v5, 3, v4
	v_sub_u32_e32 v7, 29, v8
	v_and_b32_e32 v6, 7, v6
	v_cmp_gt_u32_e32 vcc, 8, v4
	v_cndmask_b32_e32 v4, v5, v7, vcc
	v_cndmask_b32_e32 v3, v3, v6, vcc
	v_lshlrev_b32_e32 v5, 24, v50
	v_lshlrev_b32_e32 v3, 20, v3
	v_and_b32_e32 v5, 0x80000000, v5
	v_lshl_add_u32 v4, v4, 23, v0
	v_or3_b32 v3, v5, v4, v3
.LBB4_2106:                             ;   in Loop: Header=BB4_2057 Depth=2
	s_or_b64 exec, exec, s[66:67]
.LBB4_2107:                             ;   in Loop: Header=BB4_2057 Depth=2
	s_or_b64 exec, exec, s[64:65]
.LBB4_2108:                             ;   in Loop: Header=BB4_2057 Depth=2
	s_or_b64 exec, exec, s[62:63]
	v_and_b32_e32 v16, 0xff, v29
	v_cmp_ne_u16_e32 vcc, 0, v16
	s_and_saveexec_b64 s[62:63], vcc
	s_cbranch_execz .LBB4_2114
; %bb.2109:                             ;   in Loop: Header=BB4_2057 Depth=2
	v_cmp_ne_u16_e32 vcc, s75, v16
	v_bfrev_b32_e32 v51, 1
	s_and_saveexec_b64 s[64:65], vcc
	s_cbranch_execz .LBB4_2113
; %bb.2110:                             ;   in Loop: Header=BB4_2057 Depth=2
	v_and_b32_e32 v4, 0x7f, v29
	v_cmp_ne_u32_e32 vcc, s76, v4
	v_mov_b32_e32 v51, 0x7f800001
	s_and_saveexec_b64 s[66:67], vcc
	s_cbranch_execz .LBB4_2112
; %bb.2111:                             ;   in Loop: Header=BB4_2057 Depth=2
	v_and_b32_e32 v5, 7, v16
	v_ffbh_u32_e32 v6, v5
	v_min_u32_e32 v9, 32, v6
	v_subrev_u32_e32 v6, 28, v9
	v_lshlrev_b64 v[6:7], v6, v[16:17]
	v_lshrrev_b32_e32 v8, 3, v4
	v_sub_u32_e32 v7, 29, v9
	v_and_b32_e32 v6, 7, v6
	v_cmp_gt_u32_e32 vcc, 8, v4
	v_cndmask_b32_e32 v4, v8, v7, vcc
	v_cndmask_b32_e32 v5, v5, v6, vcc
	v_lshlrev_b32_e32 v6, 24, v29
	v_lshlrev_b32_e32 v5, 20, v5
	v_and_b32_e32 v6, 0x80000000, v6
	v_lshl_add_u32 v4, v4, 23, v0
	v_or3_b32 v51, v6, v4, v5
.LBB4_2112:                             ;   in Loop: Header=BB4_2057 Depth=2
	s_or_b64 exec, exec, s[66:67]
.LBB4_2113:                             ;   in Loop: Header=BB4_2057 Depth=2
	s_or_b64 exec, exec, s[64:65]
.LBB4_2114:                             ;   in Loop: Header=BB4_2057 Depth=2
	s_or_b64 exec, exec, s[62:63]
	v_max_f32_e32 v4, v51, v51
	v_max_f32_e32 v3, v3, v3
	;; [unrolled: 1-line block ×3, first 2 shown]
	s_branch .LBB4_2129
.LBB4_2115:                             ;   in Loop: Header=BB4_2057 Depth=2
                                        ; implicit-def: $vgpr3
	s_cbranch_execz .LBB4_2129
; %bb.2116:                             ;   in Loop: Header=BB4_2057 Depth=2
	v_mov_b32_e32 v16, 0
	v_mov_b32_e32 v3, 0
	s_and_saveexec_b64 s[62:63], s[24:25]
	s_cbranch_execz .LBB4_2122
; %bb.2117:                             ;   in Loop: Header=BB4_2057 Depth=2
	v_cmp_ne_u16_e32 vcc, s75, v2
	v_bfrev_b32_e32 v3, 1
	s_and_saveexec_b64 s[24:25], vcc
	s_cbranch_execz .LBB4_2121
; %bb.2118:                             ;   in Loop: Header=BB4_2057 Depth=2
	v_and_b32_e32 v4, 0x7f, v50
	v_cmp_ne_u32_e32 vcc, s76, v4
	v_mov_b32_e32 v3, 0x7f800001
	s_and_saveexec_b64 s[64:65], vcc
	s_cbranch_execz .LBB4_2120
; %bb.2119:                             ;   in Loop: Header=BB4_2057 Depth=2
	v_and_b32_e32 v5, 7, v2
	v_ffbh_u32_e32 v3, v5
	v_min_u32_e32 v7, 32, v3
	v_subrev_u32_e32 v3, 28, v7
	v_lshlrev_b64 v[2:3], v3, v[2:3]
	v_lshrrev_b32_e32 v6, 3, v4
	v_sub_u32_e32 v3, 29, v7
	v_and_b32_e32 v2, 7, v2
	v_cmp_gt_u32_e32 vcc, 8, v4
	v_cndmask_b32_e32 v3, v6, v3, vcc
	v_cndmask_b32_e32 v2, v5, v2, vcc
	v_lshlrev_b32_e32 v4, 24, v50
	v_lshlrev_b32_e32 v2, 20, v2
	v_and_b32_e32 v4, 0x80000000, v4
	v_lshl_add_u32 v3, v3, 23, v0
	v_or3_b32 v3, v4, v3, v2
.LBB4_2120:                             ;   in Loop: Header=BB4_2057 Depth=2
	s_or_b64 exec, exec, s[64:65]
.LBB4_2121:                             ;   in Loop: Header=BB4_2057 Depth=2
	s_or_b64 exec, exec, s[24:25]
.LBB4_2122:                             ;   in Loop: Header=BB4_2057 Depth=2
	s_or_b64 exec, exec, s[62:63]
	v_and_b32_e32 v2, 0xff, v29
	v_cmp_ne_u16_e32 vcc, 0, v2
	s_and_saveexec_b64 s[24:25], vcc
	s_cbranch_execz .LBB4_2128
; %bb.2123:                             ;   in Loop: Header=BB4_2057 Depth=2
	v_cmp_ne_u16_e32 vcc, s75, v2
	v_bfrev_b32_e32 v16, 1
	s_and_saveexec_b64 s[62:63], vcc
	s_cbranch_execz .LBB4_2127
; %bb.2124:                             ;   in Loop: Header=BB4_2057 Depth=2
	v_and_b32_e32 v4, 0x7f, v29
	v_cmp_ne_u32_e32 vcc, s76, v4
	v_mov_b32_e32 v16, 0x7f800001
	s_and_saveexec_b64 s[64:65], vcc
	s_cbranch_execz .LBB4_2126
; %bb.2125:                             ;   in Loop: Header=BB4_2057 Depth=2
	v_and_b32_e32 v5, 7, v2
	v_ffbh_u32_e32 v6, v5
	v_min_u32_e32 v9, 32, v6
	v_subrev_u32_e32 v6, 28, v9
	v_lshlrev_b64 v[6:7], v6, v[2:3]
	v_lshrrev_b32_e32 v8, 3, v4
	v_sub_u32_e32 v2, 29, v9
	v_and_b32_e32 v6, 7, v6
	v_cmp_gt_u32_e32 vcc, 8, v4
	v_cndmask_b32_e32 v2, v8, v2, vcc
	v_cndmask_b32_e32 v4, v5, v6, vcc
	v_lshlrev_b32_e32 v5, 24, v29
	v_lshlrev_b32_e32 v4, 20, v4
	v_and_b32_e32 v5, 0x80000000, v5
	v_lshl_add_u32 v2, v2, 23, v0
	v_or3_b32 v16, v5, v2, v4
.LBB4_2126:                             ;   in Loop: Header=BB4_2057 Depth=2
	s_or_b64 exec, exec, s[64:65]
.LBB4_2127:                             ;   in Loop: Header=BB4_2057 Depth=2
	s_or_b64 exec, exec, s[62:63]
.LBB4_2128:                             ;   in Loop: Header=BB4_2057 Depth=2
	s_or_b64 exec, exec, s[24:25]
	v_max_f32_e32 v2, v16, v16
	v_max_f32_e32 v3, v3, v3
	v_min_f32_e32 v3, v3, v2
.LBB4_2129:                             ;   in Loop: Header=BB4_2057 Depth=2
	v_and_b32_sdwa v16, v3, s75 dst_sel:DWORD dst_unused:UNUSED_PAD src0_sel:BYTE_3 src1_sel:DWORD
	v_and_b32_e32 v4, 0x7f800000, v3
	v_mov_b32_e32 v5, v55
	v_and_b32_e32 v54, 0x7fffff, v3
	v_or_b32_e32 v29, 0x7e, v16
	v_cmp_ne_u64_e32 vcc, s[44:45], v[4:5]
	s_and_saveexec_b64 s[24:25], vcc
	s_xor_b64 s[62:63], exec, s[24:25]
	s_cbranch_execz .LBB4_2143
; %bb.2130:                             ;   in Loop: Header=BB4_2057 Depth=2
	v_and_b32_e32 v4, 0x7fffffff, v3
	v_mov_b32_e32 v5, v55
	v_cmp_gt_u64_e32 vcc, s[46:47], v[4:5]
	s_and_saveexec_b64 s[24:25], vcc
	s_xor_b64 s[64:65], exec, s[24:25]
	s_cbranch_execz .LBB4_2142
; %bb.2131:                             ;   in Loop: Header=BB4_2057 Depth=2
	v_cmp_ne_u32_e32 vcc, 0, v3
	v_mov_b32_e32 v29, 0
	s_and_saveexec_b64 s[66:67], vcc
	s_cbranch_execz .LBB4_2141
; %bb.2132:                             ;   in Loop: Header=BB4_2057 Depth=2
	v_bfe_u32 v2, v3, 23, 8
	v_sub_u32_e32 v4, 0x79, v2
	v_cmp_gt_u32_e32 vcc, s78, v2
	v_add_u32_e32 v3, 0xffffff81, v2
	v_cndmask_b32_e32 v4, 0, v4, vcc
	v_cmp_eq_u32_e32 vcc, 0, v2
	v_mov_b32_e32 v2, 0xffffff82
	v_cndmask_b32_e32 v29, v3, v2, vcc
	v_mov_b32_e32 v2, 0x78
	v_or_b32_e32 v5, 0x800000, v54
	v_cndmask_b32_e32 v4, v4, v2, vcc
	v_cndmask_b32_e32 v54, v5, v54, vcc
	v_add_u32_e32 v2, 20, v4
	v_lshlrev_b64 v[2:3], v2, -1
	v_add_u32_e32 v5, 19, v4
	v_lshrrev_b64 v[8:9], v4, v[54:55]
	v_not_b32_e32 v3, v3
	v_not_b32_e32 v2, v2
	v_lshlrev_b64 v[6:7], v5, 1
	v_lshrrev_b32_e32 v5, 23, v8
	v_and_b32_e32 v3, 0, v3
	v_and_b32_e32 v2, v54, v2
	v_add3_u32 v4, v4, v29, v5
	v_bfe_u32 v5, v8, 20, 1
	v_add_u32_e32 v5, -1, v5
	v_cmp_eq_u64_e32 vcc, v[2:3], v[6:7]
	v_cndmask_b32_e32 v2, 0, v5, vcc
	v_add_u32_e32 v2, v2, v8
	v_and_b32_e32 v2, 0xfffff, v2
	v_add_co_u32_e32 v2, vcc, v2, v8
	v_add_u32_e32 v29, 6, v4
	v_addc_co_u32_e32 v3, vcc, 0, v9, vcc
	v_cmp_ne_u32_e32 vcc, 0, v29
                                        ; implicit-def: $vgpr50
	s_and_saveexec_b64 s[24:25], vcc
	s_xor_b64 s[24:25], exec, s[24:25]
; %bb.2133:                             ;   in Loop: Header=BB4_2057 Depth=2
	v_add_u32_e32 v4, 7, v4
	v_cmp_lt_u64_e32 vcc, s[50:51], v[2:3]
	v_cndmask_b32_e32 v50, v29, v4, vcc
	v_cndmask_b32_e64 v4, 0, 1, vcc
	v_lshrrev_b64 v[2:3], v4, v[2:3]
; %bb.2134:                             ;   in Loop: Header=BB4_2057 Depth=2
	s_andn2_saveexec_b64 s[24:25], s[24:25]
; %bb.2135:                             ;   in Loop: Header=BB4_2057 Depth=2
	v_bfe_u32 v50, v2, 23, 1
; %bb.2136:                             ;   in Loop: Header=BB4_2057 Depth=2
	s_or_b64 exec, exec, s[24:25]
	v_lshrrev_b64 v[2:3], 20, v[2:3]
	v_cmp_gt_i32_e32 vcc, 16, v50
	v_cndmask_b32_e32 v3, 0, v3, vcc
	v_cndmask_b32_e32 v2, 7, v2, vcc
	v_cmp_ne_u32_e32 vcc, 0, v50
	v_cmp_ne_u64_e64 s[24:25], 0, v[2:3]
	s_or_b64 s[24:25], vcc, s[24:25]
                                        ; implicit-def: $vgpr29
	s_and_saveexec_b64 vcc, s[24:25]
	s_xor_b64 s[24:25], exec, vcc
; %bb.2137:                             ;   in Loop: Header=BB4_2057 Depth=2
	v_min_i32_e32 v3, 15, v50
	v_lshl_or_b32 v3, v3, 3, v16
	v_and_or_b32 v29, v2, 7, v3
                                        ; implicit-def: $vgpr16
; %bb.2138:                             ;   in Loop: Header=BB4_2057 Depth=2
	s_andn2_saveexec_b64 s[24:25], s[24:25]
; %bb.2139:                             ;   in Loop: Header=BB4_2057 Depth=2
	v_mov_b32_e32 v29, v16
; %bb.2140:                             ;   in Loop: Header=BB4_2057 Depth=2
	s_or_b64 exec, exec, s[24:25]
.LBB4_2141:                             ;   in Loop: Header=BB4_2057 Depth=2
	s_or_b64 exec, exec, s[66:67]
.LBB4_2142:                             ;   in Loop: Header=BB4_2057 Depth=2
	s_andn2_saveexec_b64 s[24:25], s[64:65]
	s_or_b64 exec, exec, s[24:25]
                                        ; implicit-def: $vgpr3
.LBB4_2143:                             ;   in Loop: Header=BB4_2057 Depth=2
	s_andn2_saveexec_b64 s[24:25], s[62:63]
; %bb.2144:                             ;   in Loop: Header=BB4_2057 Depth=2
	v_or_b32_sdwa v2, v3, s76 dst_sel:DWORD dst_unused:UNUSED_PAD src0_sel:BYTE_3 src1_sel:DWORD
	v_cmp_eq_u64_e32 vcc, 0, v[54:55]
	v_cndmask_b32_e32 v29, v2, v29, vcc
; %bb.2145:                             ;   in Loop: Header=BB4_2057 Depth=2
	s_or_b64 exec, exec, s[24:25]
	v_and_b32_e32 v2, 0xff, v49
	s_and_b64 vcc, exec, s[22:23]
	v_cmp_ne_u16_e64 s[24:25], 0, v2
	s_cbranch_vccnz .LBB4_2159
; %bb.2146:                             ;   in Loop: Header=BB4_2057 Depth=2
	v_mov_b32_e32 v50, 0
	v_mov_b32_e32 v3, 0
	s_and_saveexec_b64 s[62:63], s[24:25]
	s_cbranch_execz .LBB4_2152
; %bb.2147:                             ;   in Loop: Header=BB4_2057 Depth=2
	v_cmp_ne_u16_e32 vcc, s75, v2
	v_bfrev_b32_e32 v3, 1
	s_and_saveexec_b64 s[64:65], vcc
	s_cbranch_execz .LBB4_2151
; %bb.2148:                             ;   in Loop: Header=BB4_2057 Depth=2
	v_and_b32_e32 v4, 0x7f, v49
	v_cmp_ne_u32_e32 vcc, s76, v4
	v_mov_b32_e32 v3, 0x7f800001
	s_and_saveexec_b64 s[66:67], vcc
	s_cbranch_execz .LBB4_2150
; %bb.2149:                             ;   in Loop: Header=BB4_2057 Depth=2
	v_and_b32_e32 v3, 7, v2
	v_ffbh_u32_e32 v6, v3
	v_min_u32_e32 v8, 32, v6
	v_subrev_u32_e32 v6, 28, v8
	v_lshlrev_b64 v[6:7], v6, v[2:3]
	v_lshrrev_b32_e32 v5, 3, v4
	v_sub_u32_e32 v7, 29, v8
	v_and_b32_e32 v6, 7, v6
	v_cmp_gt_u32_e32 vcc, 8, v4
	v_cndmask_b32_e32 v4, v5, v7, vcc
	v_cndmask_b32_e32 v3, v3, v6, vcc
	v_lshlrev_b32_e32 v5, 24, v49
	v_lshlrev_b32_e32 v3, 20, v3
	v_and_b32_e32 v5, 0x80000000, v5
	v_lshl_add_u32 v4, v4, 23, v0
	v_or3_b32 v3, v5, v4, v3
.LBB4_2150:                             ;   in Loop: Header=BB4_2057 Depth=2
	s_or_b64 exec, exec, s[66:67]
.LBB4_2151:                             ;   in Loop: Header=BB4_2057 Depth=2
	s_or_b64 exec, exec, s[64:65]
.LBB4_2152:                             ;   in Loop: Header=BB4_2057 Depth=2
	s_or_b64 exec, exec, s[62:63]
	v_and_b32_e32 v16, 0xff, v31
	v_cmp_ne_u16_e32 vcc, 0, v16
	s_and_saveexec_b64 s[62:63], vcc
	s_cbranch_execz .LBB4_2158
; %bb.2153:                             ;   in Loop: Header=BB4_2057 Depth=2
	v_cmp_ne_u16_e32 vcc, s75, v16
	v_bfrev_b32_e32 v50, 1
	s_and_saveexec_b64 s[64:65], vcc
	s_cbranch_execz .LBB4_2157
; %bb.2154:                             ;   in Loop: Header=BB4_2057 Depth=2
	v_and_b32_e32 v4, 0x7f, v31
	v_cmp_ne_u32_e32 vcc, s76, v4
	v_mov_b32_e32 v50, 0x7f800001
	s_and_saveexec_b64 s[66:67], vcc
	s_cbranch_execz .LBB4_2156
; %bb.2155:                             ;   in Loop: Header=BB4_2057 Depth=2
	v_and_b32_e32 v5, 7, v16
	v_ffbh_u32_e32 v6, v5
	v_min_u32_e32 v9, 32, v6
	v_subrev_u32_e32 v6, 28, v9
	v_lshlrev_b64 v[6:7], v6, v[16:17]
	v_lshrrev_b32_e32 v8, 3, v4
	v_sub_u32_e32 v7, 29, v9
	v_and_b32_e32 v6, 7, v6
	v_cmp_gt_u32_e32 vcc, 8, v4
	v_cndmask_b32_e32 v4, v8, v7, vcc
	v_cndmask_b32_e32 v5, v5, v6, vcc
	v_lshlrev_b32_e32 v6, 24, v31
	v_lshlrev_b32_e32 v5, 20, v5
	v_and_b32_e32 v6, 0x80000000, v6
	v_lshl_add_u32 v4, v4, 23, v0
	v_or3_b32 v50, v6, v4, v5
.LBB4_2156:                             ;   in Loop: Header=BB4_2057 Depth=2
	s_or_b64 exec, exec, s[66:67]
.LBB4_2157:                             ;   in Loop: Header=BB4_2057 Depth=2
	s_or_b64 exec, exec, s[64:65]
.LBB4_2158:                             ;   in Loop: Header=BB4_2057 Depth=2
	s_or_b64 exec, exec, s[62:63]
	v_max_f32_e32 v4, v50, v50
	v_max_f32_e32 v3, v3, v3
	;; [unrolled: 1-line block ×3, first 2 shown]
	s_branch .LBB4_2173
.LBB4_2159:                             ;   in Loop: Header=BB4_2057 Depth=2
                                        ; implicit-def: $vgpr3
	s_cbranch_execz .LBB4_2173
; %bb.2160:                             ;   in Loop: Header=BB4_2057 Depth=2
	v_mov_b32_e32 v16, 0
	v_mov_b32_e32 v3, 0
	s_and_saveexec_b64 s[62:63], s[24:25]
	s_cbranch_execz .LBB4_2166
; %bb.2161:                             ;   in Loop: Header=BB4_2057 Depth=2
	v_cmp_ne_u16_e32 vcc, s75, v2
	v_bfrev_b32_e32 v3, 1
	s_and_saveexec_b64 s[24:25], vcc
	s_cbranch_execz .LBB4_2165
; %bb.2162:                             ;   in Loop: Header=BB4_2057 Depth=2
	v_and_b32_e32 v4, 0x7f, v49
	v_cmp_ne_u32_e32 vcc, s76, v4
	v_mov_b32_e32 v3, 0x7f800001
	s_and_saveexec_b64 s[64:65], vcc
	s_cbranch_execz .LBB4_2164
; %bb.2163:                             ;   in Loop: Header=BB4_2057 Depth=2
	v_and_b32_e32 v5, 7, v2
	v_ffbh_u32_e32 v3, v5
	v_min_u32_e32 v7, 32, v3
	v_subrev_u32_e32 v3, 28, v7
	v_lshlrev_b64 v[2:3], v3, v[2:3]
	v_lshrrev_b32_e32 v6, 3, v4
	v_sub_u32_e32 v3, 29, v7
	v_and_b32_e32 v2, 7, v2
	v_cmp_gt_u32_e32 vcc, 8, v4
	v_cndmask_b32_e32 v3, v6, v3, vcc
	v_cndmask_b32_e32 v2, v5, v2, vcc
	v_lshlrev_b32_e32 v4, 24, v49
	v_lshlrev_b32_e32 v2, 20, v2
	v_and_b32_e32 v4, 0x80000000, v4
	v_lshl_add_u32 v3, v3, 23, v0
	v_or3_b32 v3, v4, v3, v2
.LBB4_2164:                             ;   in Loop: Header=BB4_2057 Depth=2
	s_or_b64 exec, exec, s[64:65]
.LBB4_2165:                             ;   in Loop: Header=BB4_2057 Depth=2
	s_or_b64 exec, exec, s[24:25]
.LBB4_2166:                             ;   in Loop: Header=BB4_2057 Depth=2
	s_or_b64 exec, exec, s[62:63]
	v_and_b32_e32 v2, 0xff, v31
	v_cmp_ne_u16_e32 vcc, 0, v2
	s_and_saveexec_b64 s[24:25], vcc
	s_cbranch_execz .LBB4_2172
; %bb.2167:                             ;   in Loop: Header=BB4_2057 Depth=2
	v_cmp_ne_u16_e32 vcc, s75, v2
	v_bfrev_b32_e32 v16, 1
	s_and_saveexec_b64 s[62:63], vcc
	s_cbranch_execz .LBB4_2171
; %bb.2168:                             ;   in Loop: Header=BB4_2057 Depth=2
	v_and_b32_e32 v4, 0x7f, v31
	v_cmp_ne_u32_e32 vcc, s76, v4
	v_mov_b32_e32 v16, 0x7f800001
	s_and_saveexec_b64 s[64:65], vcc
	s_cbranch_execz .LBB4_2170
; %bb.2169:                             ;   in Loop: Header=BB4_2057 Depth=2
	v_and_b32_e32 v5, 7, v2
	v_ffbh_u32_e32 v6, v5
	v_min_u32_e32 v9, 32, v6
	v_subrev_u32_e32 v6, 28, v9
	v_lshlrev_b64 v[6:7], v6, v[2:3]
	v_lshrrev_b32_e32 v8, 3, v4
	v_sub_u32_e32 v2, 29, v9
	v_and_b32_e32 v6, 7, v6
	v_cmp_gt_u32_e32 vcc, 8, v4
	v_cndmask_b32_e32 v2, v8, v2, vcc
	v_cndmask_b32_e32 v4, v5, v6, vcc
	v_lshlrev_b32_e32 v5, 24, v31
	v_lshlrev_b32_e32 v4, 20, v4
	v_and_b32_e32 v5, 0x80000000, v5
	v_lshl_add_u32 v2, v2, 23, v0
	v_or3_b32 v16, v5, v2, v4
.LBB4_2170:                             ;   in Loop: Header=BB4_2057 Depth=2
	s_or_b64 exec, exec, s[64:65]
.LBB4_2171:                             ;   in Loop: Header=BB4_2057 Depth=2
	s_or_b64 exec, exec, s[62:63]
.LBB4_2172:                             ;   in Loop: Header=BB4_2057 Depth=2
	s_or_b64 exec, exec, s[24:25]
	v_max_f32_e32 v2, v16, v16
	v_max_f32_e32 v3, v3, v3
	v_min_f32_e32 v3, v3, v2
.LBB4_2173:                             ;   in Loop: Header=BB4_2057 Depth=2
	v_and_b32_sdwa v16, v3, s75 dst_sel:DWORD dst_unused:UNUSED_PAD src0_sel:BYTE_3 src1_sel:DWORD
	v_and_b32_e32 v4, 0x7f800000, v3
	v_mov_b32_e32 v5, v55
	v_and_b32_e32 v54, 0x7fffff, v3
	v_or_b32_e32 v31, 0x7e, v16
	v_cmp_ne_u64_e32 vcc, s[44:45], v[4:5]
	s_and_saveexec_b64 s[24:25], vcc
	s_xor_b64 s[62:63], exec, s[24:25]
	s_cbranch_execz .LBB4_2187
; %bb.2174:                             ;   in Loop: Header=BB4_2057 Depth=2
	v_and_b32_e32 v4, 0x7fffffff, v3
	v_mov_b32_e32 v5, v55
	v_cmp_gt_u64_e32 vcc, s[46:47], v[4:5]
	s_and_saveexec_b64 s[24:25], vcc
	s_xor_b64 s[64:65], exec, s[24:25]
	s_cbranch_execz .LBB4_2186
; %bb.2175:                             ;   in Loop: Header=BB4_2057 Depth=2
	v_cmp_ne_u32_e32 vcc, 0, v3
	v_mov_b32_e32 v31, 0
	s_and_saveexec_b64 s[66:67], vcc
	s_cbranch_execz .LBB4_2185
; %bb.2176:                             ;   in Loop: Header=BB4_2057 Depth=2
	v_bfe_u32 v2, v3, 23, 8
	v_sub_u32_e32 v4, 0x79, v2
	v_cmp_gt_u32_e32 vcc, s78, v2
	v_add_u32_e32 v3, 0xffffff81, v2
	v_cndmask_b32_e32 v4, 0, v4, vcc
	v_cmp_eq_u32_e32 vcc, 0, v2
	v_mov_b32_e32 v2, 0xffffff82
	v_cndmask_b32_e32 v31, v3, v2, vcc
	v_mov_b32_e32 v2, 0x78
	v_or_b32_e32 v5, 0x800000, v54
	v_cndmask_b32_e32 v4, v4, v2, vcc
	v_cndmask_b32_e32 v54, v5, v54, vcc
	v_add_u32_e32 v2, 20, v4
	v_lshlrev_b64 v[2:3], v2, -1
	v_add_u32_e32 v5, 19, v4
	v_lshrrev_b64 v[8:9], v4, v[54:55]
	v_not_b32_e32 v3, v3
	v_not_b32_e32 v2, v2
	v_lshlrev_b64 v[6:7], v5, 1
	v_lshrrev_b32_e32 v5, 23, v8
	v_and_b32_e32 v3, 0, v3
	v_and_b32_e32 v2, v54, v2
	v_add3_u32 v4, v4, v31, v5
	v_bfe_u32 v5, v8, 20, 1
	v_add_u32_e32 v5, -1, v5
	v_cmp_eq_u64_e32 vcc, v[2:3], v[6:7]
	v_cndmask_b32_e32 v2, 0, v5, vcc
	v_add_u32_e32 v2, v2, v8
	v_and_b32_e32 v2, 0xfffff, v2
	v_add_co_u32_e32 v2, vcc, v2, v8
	v_add_u32_e32 v31, 6, v4
	v_addc_co_u32_e32 v3, vcc, 0, v9, vcc
	v_cmp_ne_u32_e32 vcc, 0, v31
                                        ; implicit-def: $vgpr49
	s_and_saveexec_b64 s[24:25], vcc
	s_xor_b64 s[24:25], exec, s[24:25]
; %bb.2177:                             ;   in Loop: Header=BB4_2057 Depth=2
	v_add_u32_e32 v4, 7, v4
	v_cmp_lt_u64_e32 vcc, s[50:51], v[2:3]
	v_cndmask_b32_e32 v49, v31, v4, vcc
	v_cndmask_b32_e64 v4, 0, 1, vcc
	v_lshrrev_b64 v[2:3], v4, v[2:3]
; %bb.2178:                             ;   in Loop: Header=BB4_2057 Depth=2
	s_andn2_saveexec_b64 s[24:25], s[24:25]
; %bb.2179:                             ;   in Loop: Header=BB4_2057 Depth=2
	v_bfe_u32 v49, v2, 23, 1
; %bb.2180:                             ;   in Loop: Header=BB4_2057 Depth=2
	s_or_b64 exec, exec, s[24:25]
	v_lshrrev_b64 v[2:3], 20, v[2:3]
	v_cmp_gt_i32_e32 vcc, 16, v49
	v_cndmask_b32_e32 v3, 0, v3, vcc
	v_cndmask_b32_e32 v2, 7, v2, vcc
	v_cmp_ne_u32_e32 vcc, 0, v49
	v_cmp_ne_u64_e64 s[24:25], 0, v[2:3]
	s_or_b64 s[24:25], vcc, s[24:25]
                                        ; implicit-def: $vgpr31
	s_and_saveexec_b64 vcc, s[24:25]
	s_xor_b64 s[24:25], exec, vcc
; %bb.2181:                             ;   in Loop: Header=BB4_2057 Depth=2
	v_min_i32_e32 v3, 15, v49
	v_lshl_or_b32 v3, v3, 3, v16
	v_and_or_b32 v31, v2, 7, v3
                                        ; implicit-def: $vgpr16
; %bb.2182:                             ;   in Loop: Header=BB4_2057 Depth=2
	s_andn2_saveexec_b64 s[24:25], s[24:25]
; %bb.2183:                             ;   in Loop: Header=BB4_2057 Depth=2
	v_mov_b32_e32 v31, v16
; %bb.2184:                             ;   in Loop: Header=BB4_2057 Depth=2
	s_or_b64 exec, exec, s[24:25]
.LBB4_2185:                             ;   in Loop: Header=BB4_2057 Depth=2
	s_or_b64 exec, exec, s[66:67]
.LBB4_2186:                             ;   in Loop: Header=BB4_2057 Depth=2
	s_andn2_saveexec_b64 s[24:25], s[64:65]
	s_or_b64 exec, exec, s[24:25]
                                        ; implicit-def: $vgpr3
.LBB4_2187:                             ;   in Loop: Header=BB4_2057 Depth=2
	s_andn2_saveexec_b64 s[24:25], s[62:63]
; %bb.2188:                             ;   in Loop: Header=BB4_2057 Depth=2
	v_or_b32_sdwa v2, v3, s76 dst_sel:DWORD dst_unused:UNUSED_PAD src0_sel:BYTE_3 src1_sel:DWORD
	v_cmp_eq_u64_e32 vcc, 0, v[54:55]
	v_cndmask_b32_e32 v31, v2, v31, vcc
; %bb.2189:                             ;   in Loop: Header=BB4_2057 Depth=2
	s_or_b64 exec, exec, s[24:25]
	v_and_b32_e32 v2, 0xff, v48
	s_and_b64 vcc, exec, s[22:23]
	v_cmp_ne_u16_e64 s[24:25], 0, v2
	s_cbranch_vccnz .LBB4_2203
; %bb.2190:                             ;   in Loop: Header=BB4_2057 Depth=2
	v_mov_b32_e32 v49, 0
	v_mov_b32_e32 v3, 0
	s_and_saveexec_b64 s[62:63], s[24:25]
	s_cbranch_execz .LBB4_2196
; %bb.2191:                             ;   in Loop: Header=BB4_2057 Depth=2
	v_cmp_ne_u16_e32 vcc, s75, v2
	v_bfrev_b32_e32 v3, 1
	s_and_saveexec_b64 s[64:65], vcc
	s_cbranch_execz .LBB4_2195
; %bb.2192:                             ;   in Loop: Header=BB4_2057 Depth=2
	v_and_b32_e32 v4, 0x7f, v48
	v_cmp_ne_u32_e32 vcc, s76, v4
	v_mov_b32_e32 v3, 0x7f800001
	s_and_saveexec_b64 s[66:67], vcc
	s_cbranch_execz .LBB4_2194
; %bb.2193:                             ;   in Loop: Header=BB4_2057 Depth=2
	v_and_b32_e32 v3, 7, v2
	v_ffbh_u32_e32 v6, v3
	v_min_u32_e32 v8, 32, v6
	v_subrev_u32_e32 v6, 28, v8
	v_lshlrev_b64 v[6:7], v6, v[2:3]
	v_lshrrev_b32_e32 v5, 3, v4
	v_sub_u32_e32 v7, 29, v8
	v_and_b32_e32 v6, 7, v6
	v_cmp_gt_u32_e32 vcc, 8, v4
	v_cndmask_b32_e32 v4, v5, v7, vcc
	v_cndmask_b32_e32 v3, v3, v6, vcc
	v_lshlrev_b32_e32 v5, 24, v48
	v_lshlrev_b32_e32 v3, 20, v3
	v_and_b32_e32 v5, 0x80000000, v5
	v_lshl_add_u32 v4, v4, 23, v0
	v_or3_b32 v3, v5, v4, v3
.LBB4_2194:                             ;   in Loop: Header=BB4_2057 Depth=2
	s_or_b64 exec, exec, s[66:67]
.LBB4_2195:                             ;   in Loop: Header=BB4_2057 Depth=2
	s_or_b64 exec, exec, s[64:65]
.LBB4_2196:                             ;   in Loop: Header=BB4_2057 Depth=2
	s_or_b64 exec, exec, s[62:63]
	v_and_b32_e32 v16, 0xff, v35
	v_cmp_ne_u16_e32 vcc, 0, v16
	s_and_saveexec_b64 s[62:63], vcc
	s_cbranch_execz .LBB4_2202
; %bb.2197:                             ;   in Loop: Header=BB4_2057 Depth=2
	v_cmp_ne_u16_e32 vcc, s75, v16
	v_bfrev_b32_e32 v49, 1
	s_and_saveexec_b64 s[64:65], vcc
	s_cbranch_execz .LBB4_2201
; %bb.2198:                             ;   in Loop: Header=BB4_2057 Depth=2
	v_and_b32_e32 v4, 0x7f, v35
	v_cmp_ne_u32_e32 vcc, s76, v4
	v_mov_b32_e32 v49, 0x7f800001
	s_and_saveexec_b64 s[66:67], vcc
	s_cbranch_execz .LBB4_2200
; %bb.2199:                             ;   in Loop: Header=BB4_2057 Depth=2
	v_and_b32_e32 v5, 7, v16
	v_ffbh_u32_e32 v6, v5
	v_min_u32_e32 v9, 32, v6
	v_subrev_u32_e32 v6, 28, v9
	v_lshlrev_b64 v[6:7], v6, v[16:17]
	v_lshrrev_b32_e32 v8, 3, v4
	v_sub_u32_e32 v7, 29, v9
	v_and_b32_e32 v6, 7, v6
	v_cmp_gt_u32_e32 vcc, 8, v4
	v_cndmask_b32_e32 v4, v8, v7, vcc
	v_cndmask_b32_e32 v5, v5, v6, vcc
	v_lshlrev_b32_e32 v6, 24, v35
	v_lshlrev_b32_e32 v5, 20, v5
	v_and_b32_e32 v6, 0x80000000, v6
	v_lshl_add_u32 v4, v4, 23, v0
	v_or3_b32 v49, v6, v4, v5
.LBB4_2200:                             ;   in Loop: Header=BB4_2057 Depth=2
	s_or_b64 exec, exec, s[66:67]
.LBB4_2201:                             ;   in Loop: Header=BB4_2057 Depth=2
	s_or_b64 exec, exec, s[64:65]
.LBB4_2202:                             ;   in Loop: Header=BB4_2057 Depth=2
	s_or_b64 exec, exec, s[62:63]
	v_max_f32_e32 v4, v49, v49
	v_max_f32_e32 v3, v3, v3
	;; [unrolled: 1-line block ×3, first 2 shown]
	s_branch .LBB4_2217
.LBB4_2203:                             ;   in Loop: Header=BB4_2057 Depth=2
                                        ; implicit-def: $vgpr3
	s_cbranch_execz .LBB4_2217
; %bb.2204:                             ;   in Loop: Header=BB4_2057 Depth=2
	v_mov_b32_e32 v16, 0
	v_mov_b32_e32 v3, 0
	s_and_saveexec_b64 s[62:63], s[24:25]
	s_cbranch_execz .LBB4_2210
; %bb.2205:                             ;   in Loop: Header=BB4_2057 Depth=2
	v_cmp_ne_u16_e32 vcc, s75, v2
	v_bfrev_b32_e32 v3, 1
	s_and_saveexec_b64 s[24:25], vcc
	s_cbranch_execz .LBB4_2209
; %bb.2206:                             ;   in Loop: Header=BB4_2057 Depth=2
	v_and_b32_e32 v4, 0x7f, v48
	v_cmp_ne_u32_e32 vcc, s76, v4
	v_mov_b32_e32 v3, 0x7f800001
	s_and_saveexec_b64 s[64:65], vcc
	s_cbranch_execz .LBB4_2208
; %bb.2207:                             ;   in Loop: Header=BB4_2057 Depth=2
	v_and_b32_e32 v5, 7, v2
	v_ffbh_u32_e32 v3, v5
	v_min_u32_e32 v7, 32, v3
	v_subrev_u32_e32 v3, 28, v7
	v_lshlrev_b64 v[2:3], v3, v[2:3]
	v_lshrrev_b32_e32 v6, 3, v4
	v_sub_u32_e32 v3, 29, v7
	v_and_b32_e32 v2, 7, v2
	v_cmp_gt_u32_e32 vcc, 8, v4
	v_cndmask_b32_e32 v3, v6, v3, vcc
	v_cndmask_b32_e32 v2, v5, v2, vcc
	v_lshlrev_b32_e32 v4, 24, v48
	v_lshlrev_b32_e32 v2, 20, v2
	v_and_b32_e32 v4, 0x80000000, v4
	v_lshl_add_u32 v3, v3, 23, v0
	v_or3_b32 v3, v4, v3, v2
.LBB4_2208:                             ;   in Loop: Header=BB4_2057 Depth=2
	s_or_b64 exec, exec, s[64:65]
.LBB4_2209:                             ;   in Loop: Header=BB4_2057 Depth=2
	s_or_b64 exec, exec, s[24:25]
.LBB4_2210:                             ;   in Loop: Header=BB4_2057 Depth=2
	s_or_b64 exec, exec, s[62:63]
	v_and_b32_e32 v2, 0xff, v35
	v_cmp_ne_u16_e32 vcc, 0, v2
	s_and_saveexec_b64 s[24:25], vcc
	s_cbranch_execz .LBB4_2216
; %bb.2211:                             ;   in Loop: Header=BB4_2057 Depth=2
	v_cmp_ne_u16_e32 vcc, s75, v2
	v_bfrev_b32_e32 v16, 1
	s_and_saveexec_b64 s[62:63], vcc
	s_cbranch_execz .LBB4_2215
; %bb.2212:                             ;   in Loop: Header=BB4_2057 Depth=2
	v_and_b32_e32 v4, 0x7f, v35
	v_cmp_ne_u32_e32 vcc, s76, v4
	v_mov_b32_e32 v16, 0x7f800001
	s_and_saveexec_b64 s[64:65], vcc
	s_cbranch_execz .LBB4_2214
; %bb.2213:                             ;   in Loop: Header=BB4_2057 Depth=2
	v_and_b32_e32 v5, 7, v2
	v_ffbh_u32_e32 v6, v5
	v_min_u32_e32 v9, 32, v6
	v_subrev_u32_e32 v6, 28, v9
	v_lshlrev_b64 v[6:7], v6, v[2:3]
	v_lshrrev_b32_e32 v8, 3, v4
	v_sub_u32_e32 v2, 29, v9
	v_and_b32_e32 v6, 7, v6
	v_cmp_gt_u32_e32 vcc, 8, v4
	v_cndmask_b32_e32 v2, v8, v2, vcc
	v_cndmask_b32_e32 v4, v5, v6, vcc
	v_lshlrev_b32_e32 v5, 24, v35
	v_lshlrev_b32_e32 v4, 20, v4
	v_and_b32_e32 v5, 0x80000000, v5
	v_lshl_add_u32 v2, v2, 23, v0
	v_or3_b32 v16, v5, v2, v4
.LBB4_2214:                             ;   in Loop: Header=BB4_2057 Depth=2
	s_or_b64 exec, exec, s[64:65]
.LBB4_2215:                             ;   in Loop: Header=BB4_2057 Depth=2
	s_or_b64 exec, exec, s[62:63]
.LBB4_2216:                             ;   in Loop: Header=BB4_2057 Depth=2
	s_or_b64 exec, exec, s[24:25]
	v_max_f32_e32 v2, v16, v16
	v_max_f32_e32 v3, v3, v3
	v_min_f32_e32 v3, v3, v2
.LBB4_2217:                             ;   in Loop: Header=BB4_2057 Depth=2
	v_and_b32_sdwa v16, v3, s75 dst_sel:DWORD dst_unused:UNUSED_PAD src0_sel:BYTE_3 src1_sel:DWORD
	v_and_b32_e32 v4, 0x7f800000, v3
	v_mov_b32_e32 v5, v55
	v_and_b32_e32 v54, 0x7fffff, v3
	v_or_b32_e32 v35, 0x7e, v16
	v_cmp_ne_u64_e32 vcc, s[44:45], v[4:5]
	s_and_saveexec_b64 s[24:25], vcc
	s_xor_b64 s[62:63], exec, s[24:25]
	s_cbranch_execz .LBB4_2231
; %bb.2218:                             ;   in Loop: Header=BB4_2057 Depth=2
	v_and_b32_e32 v4, 0x7fffffff, v3
	v_mov_b32_e32 v5, v55
	v_cmp_gt_u64_e32 vcc, s[46:47], v[4:5]
	s_and_saveexec_b64 s[24:25], vcc
	s_xor_b64 s[64:65], exec, s[24:25]
	s_cbranch_execz .LBB4_2230
; %bb.2219:                             ;   in Loop: Header=BB4_2057 Depth=2
	v_cmp_ne_u32_e32 vcc, 0, v3
	v_mov_b32_e32 v35, 0
	s_and_saveexec_b64 s[66:67], vcc
	s_cbranch_execz .LBB4_2229
; %bb.2220:                             ;   in Loop: Header=BB4_2057 Depth=2
	v_bfe_u32 v2, v3, 23, 8
	v_sub_u32_e32 v4, 0x79, v2
	v_cmp_gt_u32_e32 vcc, s78, v2
	v_add_u32_e32 v3, 0xffffff81, v2
	v_cndmask_b32_e32 v4, 0, v4, vcc
	v_cmp_eq_u32_e32 vcc, 0, v2
	v_mov_b32_e32 v2, 0xffffff82
	v_cndmask_b32_e32 v35, v3, v2, vcc
	v_mov_b32_e32 v2, 0x78
	v_or_b32_e32 v5, 0x800000, v54
	v_cndmask_b32_e32 v4, v4, v2, vcc
	v_cndmask_b32_e32 v54, v5, v54, vcc
	v_add_u32_e32 v2, 20, v4
	v_lshlrev_b64 v[2:3], v2, -1
	v_add_u32_e32 v5, 19, v4
	v_lshrrev_b64 v[8:9], v4, v[54:55]
	v_not_b32_e32 v3, v3
	v_not_b32_e32 v2, v2
	v_lshlrev_b64 v[6:7], v5, 1
	v_lshrrev_b32_e32 v5, 23, v8
	v_and_b32_e32 v3, 0, v3
	v_and_b32_e32 v2, v54, v2
	v_add3_u32 v4, v4, v35, v5
	v_bfe_u32 v5, v8, 20, 1
	v_add_u32_e32 v5, -1, v5
	v_cmp_eq_u64_e32 vcc, v[2:3], v[6:7]
	v_cndmask_b32_e32 v2, 0, v5, vcc
	v_add_u32_e32 v2, v2, v8
	v_and_b32_e32 v2, 0xfffff, v2
	v_add_co_u32_e32 v2, vcc, v2, v8
	v_add_u32_e32 v35, 6, v4
	v_addc_co_u32_e32 v3, vcc, 0, v9, vcc
	v_cmp_ne_u32_e32 vcc, 0, v35
                                        ; implicit-def: $vgpr48
	s_and_saveexec_b64 s[24:25], vcc
	s_xor_b64 s[24:25], exec, s[24:25]
; %bb.2221:                             ;   in Loop: Header=BB4_2057 Depth=2
	v_add_u32_e32 v4, 7, v4
	v_cmp_lt_u64_e32 vcc, s[50:51], v[2:3]
	v_cndmask_b32_e32 v48, v35, v4, vcc
	v_cndmask_b32_e64 v4, 0, 1, vcc
	v_lshrrev_b64 v[2:3], v4, v[2:3]
; %bb.2222:                             ;   in Loop: Header=BB4_2057 Depth=2
	s_andn2_saveexec_b64 s[24:25], s[24:25]
; %bb.2223:                             ;   in Loop: Header=BB4_2057 Depth=2
	v_bfe_u32 v48, v2, 23, 1
; %bb.2224:                             ;   in Loop: Header=BB4_2057 Depth=2
	s_or_b64 exec, exec, s[24:25]
	v_lshrrev_b64 v[2:3], 20, v[2:3]
	v_cmp_gt_i32_e32 vcc, 16, v48
	v_cndmask_b32_e32 v3, 0, v3, vcc
	v_cndmask_b32_e32 v2, 7, v2, vcc
	v_cmp_ne_u32_e32 vcc, 0, v48
	v_cmp_ne_u64_e64 s[24:25], 0, v[2:3]
	s_or_b64 s[24:25], vcc, s[24:25]
                                        ; implicit-def: $vgpr35
	s_and_saveexec_b64 vcc, s[24:25]
	s_xor_b64 s[24:25], exec, vcc
; %bb.2225:                             ;   in Loop: Header=BB4_2057 Depth=2
	v_min_i32_e32 v3, 15, v48
	v_lshl_or_b32 v3, v3, 3, v16
	v_and_or_b32 v35, v2, 7, v3
                                        ; implicit-def: $vgpr16
; %bb.2226:                             ;   in Loop: Header=BB4_2057 Depth=2
	s_andn2_saveexec_b64 s[24:25], s[24:25]
; %bb.2227:                             ;   in Loop: Header=BB4_2057 Depth=2
	v_mov_b32_e32 v35, v16
; %bb.2228:                             ;   in Loop: Header=BB4_2057 Depth=2
	s_or_b64 exec, exec, s[24:25]
.LBB4_2229:                             ;   in Loop: Header=BB4_2057 Depth=2
	s_or_b64 exec, exec, s[66:67]
.LBB4_2230:                             ;   in Loop: Header=BB4_2057 Depth=2
	s_andn2_saveexec_b64 s[24:25], s[64:65]
	s_or_b64 exec, exec, s[24:25]
                                        ; implicit-def: $vgpr3
.LBB4_2231:                             ;   in Loop: Header=BB4_2057 Depth=2
	s_andn2_saveexec_b64 s[24:25], s[62:63]
; %bb.2232:                             ;   in Loop: Header=BB4_2057 Depth=2
	v_or_b32_sdwa v2, v3, s76 dst_sel:DWORD dst_unused:UNUSED_PAD src0_sel:BYTE_3 src1_sel:DWORD
	v_cmp_eq_u64_e32 vcc, 0, v[54:55]
	v_cndmask_b32_e32 v35, v2, v35, vcc
; %bb.2233:                             ;   in Loop: Header=BB4_2057 Depth=2
	s_or_b64 exec, exec, s[24:25]
	v_and_b32_e32 v2, 0xff, v34
	s_and_b64 vcc, exec, s[22:23]
	v_cmp_ne_u16_e64 s[24:25], 0, v2
	s_cbranch_vccnz .LBB4_2247
; %bb.2234:                             ;   in Loop: Header=BB4_2057 Depth=2
	v_mov_b32_e32 v48, 0
	v_mov_b32_e32 v3, 0
	s_and_saveexec_b64 s[62:63], s[24:25]
	s_cbranch_execz .LBB4_2240
; %bb.2235:                             ;   in Loop: Header=BB4_2057 Depth=2
	v_cmp_ne_u16_e32 vcc, s75, v2
	v_bfrev_b32_e32 v3, 1
	s_and_saveexec_b64 s[64:65], vcc
	s_cbranch_execz .LBB4_2239
; %bb.2236:                             ;   in Loop: Header=BB4_2057 Depth=2
	v_and_b32_e32 v4, 0x7f, v34
	v_cmp_ne_u32_e32 vcc, s76, v4
	v_mov_b32_e32 v3, 0x7f800001
	s_and_saveexec_b64 s[66:67], vcc
	s_cbranch_execz .LBB4_2238
; %bb.2237:                             ;   in Loop: Header=BB4_2057 Depth=2
	v_and_b32_e32 v3, 7, v2
	v_ffbh_u32_e32 v6, v3
	v_min_u32_e32 v8, 32, v6
	v_subrev_u32_e32 v6, 28, v8
	v_lshlrev_b64 v[6:7], v6, v[2:3]
	v_lshrrev_b32_e32 v5, 3, v4
	v_sub_u32_e32 v7, 29, v8
	v_and_b32_e32 v6, 7, v6
	v_cmp_gt_u32_e32 vcc, 8, v4
	v_cndmask_b32_e32 v4, v5, v7, vcc
	v_cndmask_b32_e32 v3, v3, v6, vcc
	v_lshlrev_b32_e32 v5, 24, v34
	v_lshlrev_b32_e32 v3, 20, v3
	v_and_b32_e32 v5, 0x80000000, v5
	v_lshl_add_u32 v4, v4, 23, v0
	v_or3_b32 v3, v5, v4, v3
.LBB4_2238:                             ;   in Loop: Header=BB4_2057 Depth=2
	s_or_b64 exec, exec, s[66:67]
.LBB4_2239:                             ;   in Loop: Header=BB4_2057 Depth=2
	s_or_b64 exec, exec, s[64:65]
.LBB4_2240:                             ;   in Loop: Header=BB4_2057 Depth=2
	s_or_b64 exec, exec, s[62:63]
	v_and_b32_e32 v16, 0xff, v27
	v_cmp_ne_u16_e32 vcc, 0, v16
	s_and_saveexec_b64 s[62:63], vcc
	s_cbranch_execz .LBB4_2246
; %bb.2241:                             ;   in Loop: Header=BB4_2057 Depth=2
	v_cmp_ne_u16_e32 vcc, s75, v16
	v_bfrev_b32_e32 v48, 1
	s_and_saveexec_b64 s[64:65], vcc
	s_cbranch_execz .LBB4_2245
; %bb.2242:                             ;   in Loop: Header=BB4_2057 Depth=2
	v_and_b32_e32 v4, 0x7f, v27
	v_cmp_ne_u32_e32 vcc, s76, v4
	v_mov_b32_e32 v48, 0x7f800001
	s_and_saveexec_b64 s[66:67], vcc
	s_cbranch_execz .LBB4_2244
; %bb.2243:                             ;   in Loop: Header=BB4_2057 Depth=2
	v_and_b32_e32 v5, 7, v16
	v_ffbh_u32_e32 v6, v5
	v_min_u32_e32 v9, 32, v6
	v_subrev_u32_e32 v6, 28, v9
	v_lshlrev_b64 v[6:7], v6, v[16:17]
	v_lshrrev_b32_e32 v8, 3, v4
	v_sub_u32_e32 v7, 29, v9
	v_and_b32_e32 v6, 7, v6
	v_cmp_gt_u32_e32 vcc, 8, v4
	v_cndmask_b32_e32 v4, v8, v7, vcc
	v_cndmask_b32_e32 v5, v5, v6, vcc
	v_lshlrev_b32_e32 v6, 24, v27
	v_lshlrev_b32_e32 v5, 20, v5
	v_and_b32_e32 v6, 0x80000000, v6
	v_lshl_add_u32 v4, v4, 23, v0
	v_or3_b32 v48, v6, v4, v5
.LBB4_2244:                             ;   in Loop: Header=BB4_2057 Depth=2
	s_or_b64 exec, exec, s[66:67]
.LBB4_2245:                             ;   in Loop: Header=BB4_2057 Depth=2
	s_or_b64 exec, exec, s[64:65]
.LBB4_2246:                             ;   in Loop: Header=BB4_2057 Depth=2
	s_or_b64 exec, exec, s[62:63]
	v_max_f32_e32 v4, v48, v48
	v_max_f32_e32 v3, v3, v3
	;; [unrolled: 1-line block ×3, first 2 shown]
	s_branch .LBB4_2261
.LBB4_2247:                             ;   in Loop: Header=BB4_2057 Depth=2
                                        ; implicit-def: $vgpr3
	s_cbranch_execz .LBB4_2261
; %bb.2248:                             ;   in Loop: Header=BB4_2057 Depth=2
	v_mov_b32_e32 v16, 0
	v_mov_b32_e32 v3, 0
	s_and_saveexec_b64 s[62:63], s[24:25]
	s_cbranch_execz .LBB4_2254
; %bb.2249:                             ;   in Loop: Header=BB4_2057 Depth=2
	v_cmp_ne_u16_e32 vcc, s75, v2
	v_bfrev_b32_e32 v3, 1
	s_and_saveexec_b64 s[24:25], vcc
	s_cbranch_execz .LBB4_2253
; %bb.2250:                             ;   in Loop: Header=BB4_2057 Depth=2
	v_and_b32_e32 v4, 0x7f, v34
	v_cmp_ne_u32_e32 vcc, s76, v4
	v_mov_b32_e32 v3, 0x7f800001
	s_and_saveexec_b64 s[64:65], vcc
	s_cbranch_execz .LBB4_2252
; %bb.2251:                             ;   in Loop: Header=BB4_2057 Depth=2
	v_and_b32_e32 v5, 7, v2
	v_ffbh_u32_e32 v3, v5
	v_min_u32_e32 v7, 32, v3
	v_subrev_u32_e32 v3, 28, v7
	v_lshlrev_b64 v[2:3], v3, v[2:3]
	v_lshrrev_b32_e32 v6, 3, v4
	v_sub_u32_e32 v3, 29, v7
	v_and_b32_e32 v2, 7, v2
	v_cmp_gt_u32_e32 vcc, 8, v4
	v_cndmask_b32_e32 v3, v6, v3, vcc
	v_cndmask_b32_e32 v2, v5, v2, vcc
	v_lshlrev_b32_e32 v4, 24, v34
	v_lshlrev_b32_e32 v2, 20, v2
	v_and_b32_e32 v4, 0x80000000, v4
	v_lshl_add_u32 v3, v3, 23, v0
	v_or3_b32 v3, v4, v3, v2
.LBB4_2252:                             ;   in Loop: Header=BB4_2057 Depth=2
	s_or_b64 exec, exec, s[64:65]
.LBB4_2253:                             ;   in Loop: Header=BB4_2057 Depth=2
	s_or_b64 exec, exec, s[24:25]
.LBB4_2254:                             ;   in Loop: Header=BB4_2057 Depth=2
	s_or_b64 exec, exec, s[62:63]
	v_and_b32_e32 v2, 0xff, v27
	v_cmp_ne_u16_e32 vcc, 0, v2
	s_and_saveexec_b64 s[24:25], vcc
	s_cbranch_execz .LBB4_2260
; %bb.2255:                             ;   in Loop: Header=BB4_2057 Depth=2
	v_cmp_ne_u16_e32 vcc, s75, v2
	v_bfrev_b32_e32 v16, 1
	s_and_saveexec_b64 s[62:63], vcc
	s_cbranch_execz .LBB4_2259
; %bb.2256:                             ;   in Loop: Header=BB4_2057 Depth=2
	v_and_b32_e32 v4, 0x7f, v27
	v_cmp_ne_u32_e32 vcc, s76, v4
	v_mov_b32_e32 v16, 0x7f800001
	s_and_saveexec_b64 s[64:65], vcc
	s_cbranch_execz .LBB4_2258
; %bb.2257:                             ;   in Loop: Header=BB4_2057 Depth=2
	v_and_b32_e32 v5, 7, v2
	v_ffbh_u32_e32 v6, v5
	v_min_u32_e32 v9, 32, v6
	v_subrev_u32_e32 v6, 28, v9
	v_lshlrev_b64 v[6:7], v6, v[2:3]
	v_lshrrev_b32_e32 v8, 3, v4
	v_sub_u32_e32 v2, 29, v9
	v_and_b32_e32 v6, 7, v6
	v_cmp_gt_u32_e32 vcc, 8, v4
	v_cndmask_b32_e32 v2, v8, v2, vcc
	v_cndmask_b32_e32 v4, v5, v6, vcc
	v_lshlrev_b32_e32 v5, 24, v27
	v_lshlrev_b32_e32 v4, 20, v4
	v_and_b32_e32 v5, 0x80000000, v5
	v_lshl_add_u32 v2, v2, 23, v0
	v_or3_b32 v16, v5, v2, v4
.LBB4_2258:                             ;   in Loop: Header=BB4_2057 Depth=2
	s_or_b64 exec, exec, s[64:65]
.LBB4_2259:                             ;   in Loop: Header=BB4_2057 Depth=2
	s_or_b64 exec, exec, s[62:63]
.LBB4_2260:                             ;   in Loop: Header=BB4_2057 Depth=2
	s_or_b64 exec, exec, s[24:25]
	v_max_f32_e32 v2, v16, v16
	v_max_f32_e32 v3, v3, v3
	v_min_f32_e32 v3, v3, v2
.LBB4_2261:                             ;   in Loop: Header=BB4_2057 Depth=2
	v_and_b32_sdwa v16, v3, s75 dst_sel:DWORD dst_unused:UNUSED_PAD src0_sel:BYTE_3 src1_sel:DWORD
	v_and_b32_e32 v4, 0x7f800000, v3
	v_mov_b32_e32 v5, v55
	v_and_b32_e32 v54, 0x7fffff, v3
	v_or_b32_e32 v27, 0x7e, v16
	v_cmp_ne_u64_e32 vcc, s[44:45], v[4:5]
	s_and_saveexec_b64 s[24:25], vcc
	s_xor_b64 s[62:63], exec, s[24:25]
	s_cbranch_execz .LBB4_2275
; %bb.2262:                             ;   in Loop: Header=BB4_2057 Depth=2
	v_and_b32_e32 v4, 0x7fffffff, v3
	v_mov_b32_e32 v5, v55
	v_cmp_gt_u64_e32 vcc, s[46:47], v[4:5]
	s_and_saveexec_b64 s[24:25], vcc
	s_xor_b64 s[64:65], exec, s[24:25]
	s_cbranch_execz .LBB4_2274
; %bb.2263:                             ;   in Loop: Header=BB4_2057 Depth=2
	v_cmp_ne_u32_e32 vcc, 0, v3
	v_mov_b32_e32 v27, 0
	s_and_saveexec_b64 s[66:67], vcc
	s_cbranch_execz .LBB4_2273
; %bb.2264:                             ;   in Loop: Header=BB4_2057 Depth=2
	v_bfe_u32 v2, v3, 23, 8
	v_sub_u32_e32 v4, 0x79, v2
	v_cmp_gt_u32_e32 vcc, s78, v2
	v_add_u32_e32 v3, 0xffffff81, v2
	v_cndmask_b32_e32 v4, 0, v4, vcc
	v_cmp_eq_u32_e32 vcc, 0, v2
	v_mov_b32_e32 v2, 0xffffff82
	v_cndmask_b32_e32 v27, v3, v2, vcc
	v_mov_b32_e32 v2, 0x78
	v_or_b32_e32 v5, 0x800000, v54
	v_cndmask_b32_e32 v4, v4, v2, vcc
	v_cndmask_b32_e32 v54, v5, v54, vcc
	v_add_u32_e32 v2, 20, v4
	v_lshlrev_b64 v[2:3], v2, -1
	v_add_u32_e32 v5, 19, v4
	v_lshrrev_b64 v[8:9], v4, v[54:55]
	v_not_b32_e32 v3, v3
	v_not_b32_e32 v2, v2
	v_lshlrev_b64 v[6:7], v5, 1
	v_lshrrev_b32_e32 v5, 23, v8
	v_and_b32_e32 v3, 0, v3
	v_and_b32_e32 v2, v54, v2
	v_add3_u32 v4, v4, v27, v5
	v_bfe_u32 v5, v8, 20, 1
	v_add_u32_e32 v5, -1, v5
	v_cmp_eq_u64_e32 vcc, v[2:3], v[6:7]
	v_cndmask_b32_e32 v2, 0, v5, vcc
	v_add_u32_e32 v2, v2, v8
	v_and_b32_e32 v2, 0xfffff, v2
	v_add_co_u32_e32 v2, vcc, v2, v8
	v_add_u32_e32 v27, 6, v4
	v_addc_co_u32_e32 v3, vcc, 0, v9, vcc
	v_cmp_ne_u32_e32 vcc, 0, v27
                                        ; implicit-def: $vgpr34
	s_and_saveexec_b64 s[24:25], vcc
	s_xor_b64 s[24:25], exec, s[24:25]
; %bb.2265:                             ;   in Loop: Header=BB4_2057 Depth=2
	v_add_u32_e32 v4, 7, v4
	v_cmp_lt_u64_e32 vcc, s[50:51], v[2:3]
	v_cndmask_b32_e32 v34, v27, v4, vcc
	v_cndmask_b32_e64 v4, 0, 1, vcc
	v_lshrrev_b64 v[2:3], v4, v[2:3]
; %bb.2266:                             ;   in Loop: Header=BB4_2057 Depth=2
	s_andn2_saveexec_b64 s[24:25], s[24:25]
; %bb.2267:                             ;   in Loop: Header=BB4_2057 Depth=2
	v_bfe_u32 v34, v2, 23, 1
; %bb.2268:                             ;   in Loop: Header=BB4_2057 Depth=2
	s_or_b64 exec, exec, s[24:25]
	v_lshrrev_b64 v[2:3], 20, v[2:3]
	v_cmp_gt_i32_e32 vcc, 16, v34
	v_cndmask_b32_e32 v3, 0, v3, vcc
	v_cndmask_b32_e32 v2, 7, v2, vcc
	v_cmp_ne_u32_e32 vcc, 0, v34
	v_cmp_ne_u64_e64 s[24:25], 0, v[2:3]
	s_or_b64 s[24:25], vcc, s[24:25]
                                        ; implicit-def: $vgpr27
	s_and_saveexec_b64 vcc, s[24:25]
	s_xor_b64 s[24:25], exec, vcc
; %bb.2269:                             ;   in Loop: Header=BB4_2057 Depth=2
	v_min_i32_e32 v3, 15, v34
	v_lshl_or_b32 v3, v3, 3, v16
	v_and_or_b32 v27, v2, 7, v3
                                        ; implicit-def: $vgpr16
; %bb.2270:                             ;   in Loop: Header=BB4_2057 Depth=2
	s_andn2_saveexec_b64 s[24:25], s[24:25]
; %bb.2271:                             ;   in Loop: Header=BB4_2057 Depth=2
	v_mov_b32_e32 v27, v16
; %bb.2272:                             ;   in Loop: Header=BB4_2057 Depth=2
	s_or_b64 exec, exec, s[24:25]
.LBB4_2273:                             ;   in Loop: Header=BB4_2057 Depth=2
	s_or_b64 exec, exec, s[66:67]
.LBB4_2274:                             ;   in Loop: Header=BB4_2057 Depth=2
	s_andn2_saveexec_b64 s[24:25], s[64:65]
	s_or_b64 exec, exec, s[24:25]
                                        ; implicit-def: $vgpr3
.LBB4_2275:                             ;   in Loop: Header=BB4_2057 Depth=2
	s_andn2_saveexec_b64 s[24:25], s[62:63]
; %bb.2276:                             ;   in Loop: Header=BB4_2057 Depth=2
	v_or_b32_sdwa v2, v3, s76 dst_sel:DWORD dst_unused:UNUSED_PAD src0_sel:BYTE_3 src1_sel:DWORD
	v_cmp_eq_u64_e32 vcc, 0, v[54:55]
	v_cndmask_b32_e32 v27, v2, v27, vcc
; %bb.2277:                             ;   in Loop: Header=BB4_2057 Depth=2
	s_or_b64 exec, exec, s[24:25]
	v_and_b32_e32 v2, 0xff, v30
	s_and_b64 vcc, exec, s[22:23]
	v_cmp_ne_u16_e64 s[24:25], 0, v2
	s_cbranch_vccnz .LBB4_2291
; %bb.2278:                             ;   in Loop: Header=BB4_2057 Depth=2
	v_mov_b32_e32 v34, 0
	v_mov_b32_e32 v3, 0
	s_and_saveexec_b64 s[62:63], s[24:25]
	s_cbranch_execz .LBB4_2284
; %bb.2279:                             ;   in Loop: Header=BB4_2057 Depth=2
	v_cmp_ne_u16_e32 vcc, s75, v2
	v_bfrev_b32_e32 v3, 1
	s_and_saveexec_b64 s[64:65], vcc
	s_cbranch_execz .LBB4_2283
; %bb.2280:                             ;   in Loop: Header=BB4_2057 Depth=2
	v_and_b32_e32 v4, 0x7f, v30
	v_cmp_ne_u32_e32 vcc, s76, v4
	v_mov_b32_e32 v3, 0x7f800001
	s_and_saveexec_b64 s[66:67], vcc
	s_cbranch_execz .LBB4_2282
; %bb.2281:                             ;   in Loop: Header=BB4_2057 Depth=2
	v_and_b32_e32 v3, 7, v2
	v_ffbh_u32_e32 v6, v3
	v_min_u32_e32 v8, 32, v6
	v_subrev_u32_e32 v6, 28, v8
	v_lshlrev_b64 v[6:7], v6, v[2:3]
	v_lshrrev_b32_e32 v5, 3, v4
	v_sub_u32_e32 v7, 29, v8
	v_and_b32_e32 v6, 7, v6
	v_cmp_gt_u32_e32 vcc, 8, v4
	v_cndmask_b32_e32 v4, v5, v7, vcc
	v_cndmask_b32_e32 v3, v3, v6, vcc
	v_lshlrev_b32_e32 v5, 24, v30
	v_lshlrev_b32_e32 v3, 20, v3
	v_and_b32_e32 v5, 0x80000000, v5
	v_lshl_add_u32 v4, v4, 23, v0
	v_or3_b32 v3, v5, v4, v3
.LBB4_2282:                             ;   in Loop: Header=BB4_2057 Depth=2
	s_or_b64 exec, exec, s[66:67]
.LBB4_2283:                             ;   in Loop: Header=BB4_2057 Depth=2
	s_or_b64 exec, exec, s[64:65]
.LBB4_2284:                             ;   in Loop: Header=BB4_2057 Depth=2
	s_or_b64 exec, exec, s[62:63]
	v_and_b32_e32 v16, 0xff, v26
	v_cmp_ne_u16_e32 vcc, 0, v16
	s_and_saveexec_b64 s[62:63], vcc
	s_cbranch_execz .LBB4_2290
; %bb.2285:                             ;   in Loop: Header=BB4_2057 Depth=2
	v_cmp_ne_u16_e32 vcc, s75, v16
	v_bfrev_b32_e32 v34, 1
	s_and_saveexec_b64 s[64:65], vcc
	s_cbranch_execz .LBB4_2289
; %bb.2286:                             ;   in Loop: Header=BB4_2057 Depth=2
	v_and_b32_e32 v4, 0x7f, v26
	v_cmp_ne_u32_e32 vcc, s76, v4
	v_mov_b32_e32 v34, 0x7f800001
	s_and_saveexec_b64 s[66:67], vcc
	s_cbranch_execz .LBB4_2288
; %bb.2287:                             ;   in Loop: Header=BB4_2057 Depth=2
	v_and_b32_e32 v5, 7, v16
	v_ffbh_u32_e32 v6, v5
	v_min_u32_e32 v9, 32, v6
	v_subrev_u32_e32 v6, 28, v9
	v_lshlrev_b64 v[6:7], v6, v[16:17]
	v_lshrrev_b32_e32 v8, 3, v4
	v_sub_u32_e32 v7, 29, v9
	v_and_b32_e32 v6, 7, v6
	v_cmp_gt_u32_e32 vcc, 8, v4
	v_cndmask_b32_e32 v4, v8, v7, vcc
	v_cndmask_b32_e32 v5, v5, v6, vcc
	v_lshlrev_b32_e32 v6, 24, v26
	v_lshlrev_b32_e32 v5, 20, v5
	v_and_b32_e32 v6, 0x80000000, v6
	v_lshl_add_u32 v4, v4, 23, v0
	v_or3_b32 v34, v6, v4, v5
.LBB4_2288:                             ;   in Loop: Header=BB4_2057 Depth=2
	s_or_b64 exec, exec, s[66:67]
.LBB4_2289:                             ;   in Loop: Header=BB4_2057 Depth=2
	s_or_b64 exec, exec, s[64:65]
.LBB4_2290:                             ;   in Loop: Header=BB4_2057 Depth=2
	s_or_b64 exec, exec, s[62:63]
	v_max_f32_e32 v4, v34, v34
	v_max_f32_e32 v3, v3, v3
	;; [unrolled: 1-line block ×3, first 2 shown]
	s_branch .LBB4_2305
.LBB4_2291:                             ;   in Loop: Header=BB4_2057 Depth=2
                                        ; implicit-def: $vgpr3
	s_cbranch_execz .LBB4_2305
; %bb.2292:                             ;   in Loop: Header=BB4_2057 Depth=2
	v_mov_b32_e32 v16, 0
	v_mov_b32_e32 v3, 0
	s_and_saveexec_b64 s[62:63], s[24:25]
	s_cbranch_execz .LBB4_2298
; %bb.2293:                             ;   in Loop: Header=BB4_2057 Depth=2
	v_cmp_ne_u16_e32 vcc, s75, v2
	v_bfrev_b32_e32 v3, 1
	s_and_saveexec_b64 s[24:25], vcc
	s_cbranch_execz .LBB4_2297
; %bb.2294:                             ;   in Loop: Header=BB4_2057 Depth=2
	v_and_b32_e32 v4, 0x7f, v30
	v_cmp_ne_u32_e32 vcc, s76, v4
	v_mov_b32_e32 v3, 0x7f800001
	s_and_saveexec_b64 s[64:65], vcc
	s_cbranch_execz .LBB4_2296
; %bb.2295:                             ;   in Loop: Header=BB4_2057 Depth=2
	v_and_b32_e32 v5, 7, v2
	v_ffbh_u32_e32 v3, v5
	v_min_u32_e32 v7, 32, v3
	v_subrev_u32_e32 v3, 28, v7
	v_lshlrev_b64 v[2:3], v3, v[2:3]
	v_lshrrev_b32_e32 v6, 3, v4
	v_sub_u32_e32 v3, 29, v7
	v_and_b32_e32 v2, 7, v2
	v_cmp_gt_u32_e32 vcc, 8, v4
	v_cndmask_b32_e32 v3, v6, v3, vcc
	v_cndmask_b32_e32 v2, v5, v2, vcc
	v_lshlrev_b32_e32 v4, 24, v30
	v_lshlrev_b32_e32 v2, 20, v2
	v_and_b32_e32 v4, 0x80000000, v4
	v_lshl_add_u32 v3, v3, 23, v0
	v_or3_b32 v3, v4, v3, v2
.LBB4_2296:                             ;   in Loop: Header=BB4_2057 Depth=2
	s_or_b64 exec, exec, s[64:65]
.LBB4_2297:                             ;   in Loop: Header=BB4_2057 Depth=2
	s_or_b64 exec, exec, s[24:25]
.LBB4_2298:                             ;   in Loop: Header=BB4_2057 Depth=2
	s_or_b64 exec, exec, s[62:63]
	v_and_b32_e32 v2, 0xff, v26
	v_cmp_ne_u16_e32 vcc, 0, v2
	s_and_saveexec_b64 s[24:25], vcc
	s_cbranch_execz .LBB4_2304
; %bb.2299:                             ;   in Loop: Header=BB4_2057 Depth=2
	v_cmp_ne_u16_e32 vcc, s75, v2
	v_bfrev_b32_e32 v16, 1
	s_and_saveexec_b64 s[62:63], vcc
	s_cbranch_execz .LBB4_2303
; %bb.2300:                             ;   in Loop: Header=BB4_2057 Depth=2
	v_and_b32_e32 v4, 0x7f, v26
	v_cmp_ne_u32_e32 vcc, s76, v4
	v_mov_b32_e32 v16, 0x7f800001
	s_and_saveexec_b64 s[64:65], vcc
	s_cbranch_execz .LBB4_2302
; %bb.2301:                             ;   in Loop: Header=BB4_2057 Depth=2
	v_and_b32_e32 v5, 7, v2
	v_ffbh_u32_e32 v6, v5
	v_min_u32_e32 v9, 32, v6
	v_subrev_u32_e32 v6, 28, v9
	v_lshlrev_b64 v[6:7], v6, v[2:3]
	v_lshrrev_b32_e32 v8, 3, v4
	v_sub_u32_e32 v2, 29, v9
	v_and_b32_e32 v6, 7, v6
	v_cmp_gt_u32_e32 vcc, 8, v4
	v_cndmask_b32_e32 v2, v8, v2, vcc
	v_cndmask_b32_e32 v4, v5, v6, vcc
	v_lshlrev_b32_e32 v5, 24, v26
	v_lshlrev_b32_e32 v4, 20, v4
	v_and_b32_e32 v5, 0x80000000, v5
	v_lshl_add_u32 v2, v2, 23, v0
	v_or3_b32 v16, v5, v2, v4
.LBB4_2302:                             ;   in Loop: Header=BB4_2057 Depth=2
	s_or_b64 exec, exec, s[64:65]
.LBB4_2303:                             ;   in Loop: Header=BB4_2057 Depth=2
	s_or_b64 exec, exec, s[62:63]
.LBB4_2304:                             ;   in Loop: Header=BB4_2057 Depth=2
	s_or_b64 exec, exec, s[24:25]
	v_max_f32_e32 v2, v16, v16
	v_max_f32_e32 v3, v3, v3
	v_min_f32_e32 v3, v3, v2
.LBB4_2305:                             ;   in Loop: Header=BB4_2057 Depth=2
	v_and_b32_sdwa v16, v3, s75 dst_sel:DWORD dst_unused:UNUSED_PAD src0_sel:BYTE_3 src1_sel:DWORD
	v_and_b32_e32 v4, 0x7f800000, v3
	v_mov_b32_e32 v5, v55
	v_and_b32_e32 v54, 0x7fffff, v3
	v_or_b32_e32 v26, 0x7e, v16
	v_cmp_ne_u64_e32 vcc, s[44:45], v[4:5]
	s_and_saveexec_b64 s[24:25], vcc
	s_xor_b64 s[62:63], exec, s[24:25]
	s_cbranch_execz .LBB4_2319
; %bb.2306:                             ;   in Loop: Header=BB4_2057 Depth=2
	v_and_b32_e32 v4, 0x7fffffff, v3
	v_mov_b32_e32 v5, v55
	v_cmp_gt_u64_e32 vcc, s[46:47], v[4:5]
	s_and_saveexec_b64 s[24:25], vcc
	s_xor_b64 s[64:65], exec, s[24:25]
	s_cbranch_execz .LBB4_2318
; %bb.2307:                             ;   in Loop: Header=BB4_2057 Depth=2
	v_cmp_ne_u32_e32 vcc, 0, v3
	v_mov_b32_e32 v26, 0
	s_and_saveexec_b64 s[66:67], vcc
	s_cbranch_execz .LBB4_2317
; %bb.2308:                             ;   in Loop: Header=BB4_2057 Depth=2
	v_bfe_u32 v2, v3, 23, 8
	v_sub_u32_e32 v4, 0x79, v2
	v_cmp_gt_u32_e32 vcc, s78, v2
	v_add_u32_e32 v3, 0xffffff81, v2
	v_cndmask_b32_e32 v4, 0, v4, vcc
	v_cmp_eq_u32_e32 vcc, 0, v2
	v_mov_b32_e32 v2, 0xffffff82
	v_cndmask_b32_e32 v26, v3, v2, vcc
	v_mov_b32_e32 v2, 0x78
	v_or_b32_e32 v5, 0x800000, v54
	v_cndmask_b32_e32 v4, v4, v2, vcc
	v_cndmask_b32_e32 v54, v5, v54, vcc
	v_add_u32_e32 v2, 20, v4
	v_lshlrev_b64 v[2:3], v2, -1
	v_add_u32_e32 v5, 19, v4
	v_lshrrev_b64 v[8:9], v4, v[54:55]
	v_not_b32_e32 v3, v3
	v_not_b32_e32 v2, v2
	v_lshlrev_b64 v[6:7], v5, 1
	v_lshrrev_b32_e32 v5, 23, v8
	v_and_b32_e32 v3, 0, v3
	v_and_b32_e32 v2, v54, v2
	v_add3_u32 v4, v4, v26, v5
	v_bfe_u32 v5, v8, 20, 1
	v_add_u32_e32 v5, -1, v5
	v_cmp_eq_u64_e32 vcc, v[2:3], v[6:7]
	v_cndmask_b32_e32 v2, 0, v5, vcc
	v_add_u32_e32 v2, v2, v8
	v_and_b32_e32 v2, 0xfffff, v2
	v_add_co_u32_e32 v2, vcc, v2, v8
	v_add_u32_e32 v26, 6, v4
	v_addc_co_u32_e32 v3, vcc, 0, v9, vcc
	v_cmp_ne_u32_e32 vcc, 0, v26
                                        ; implicit-def: $vgpr30
	s_and_saveexec_b64 s[24:25], vcc
	s_xor_b64 s[24:25], exec, s[24:25]
; %bb.2309:                             ;   in Loop: Header=BB4_2057 Depth=2
	v_add_u32_e32 v4, 7, v4
	v_cmp_lt_u64_e32 vcc, s[50:51], v[2:3]
	v_cndmask_b32_e32 v30, v26, v4, vcc
	v_cndmask_b32_e64 v4, 0, 1, vcc
	v_lshrrev_b64 v[2:3], v4, v[2:3]
; %bb.2310:                             ;   in Loop: Header=BB4_2057 Depth=2
	s_andn2_saveexec_b64 s[24:25], s[24:25]
; %bb.2311:                             ;   in Loop: Header=BB4_2057 Depth=2
	v_bfe_u32 v30, v2, 23, 1
; %bb.2312:                             ;   in Loop: Header=BB4_2057 Depth=2
	s_or_b64 exec, exec, s[24:25]
	v_lshrrev_b64 v[2:3], 20, v[2:3]
	v_cmp_gt_i32_e32 vcc, 16, v30
	v_cndmask_b32_e32 v3, 0, v3, vcc
	v_cndmask_b32_e32 v2, 7, v2, vcc
	v_cmp_ne_u32_e32 vcc, 0, v30
	v_cmp_ne_u64_e64 s[24:25], 0, v[2:3]
	s_or_b64 s[24:25], vcc, s[24:25]
                                        ; implicit-def: $vgpr26
	s_and_saveexec_b64 vcc, s[24:25]
	s_xor_b64 s[24:25], exec, vcc
; %bb.2313:                             ;   in Loop: Header=BB4_2057 Depth=2
	v_min_i32_e32 v3, 15, v30
	v_lshl_or_b32 v3, v3, 3, v16
	v_and_or_b32 v26, v2, 7, v3
                                        ; implicit-def: $vgpr16
; %bb.2314:                             ;   in Loop: Header=BB4_2057 Depth=2
	s_andn2_saveexec_b64 s[24:25], s[24:25]
; %bb.2315:                             ;   in Loop: Header=BB4_2057 Depth=2
	v_mov_b32_e32 v26, v16
; %bb.2316:                             ;   in Loop: Header=BB4_2057 Depth=2
	s_or_b64 exec, exec, s[24:25]
.LBB4_2317:                             ;   in Loop: Header=BB4_2057 Depth=2
	s_or_b64 exec, exec, s[66:67]
.LBB4_2318:                             ;   in Loop: Header=BB4_2057 Depth=2
	s_andn2_saveexec_b64 s[24:25], s[64:65]
	s_or_b64 exec, exec, s[24:25]
                                        ; implicit-def: $vgpr3
.LBB4_2319:                             ;   in Loop: Header=BB4_2057 Depth=2
	s_andn2_saveexec_b64 s[24:25], s[62:63]
; %bb.2320:                             ;   in Loop: Header=BB4_2057 Depth=2
	v_or_b32_sdwa v2, v3, s76 dst_sel:DWORD dst_unused:UNUSED_PAD src0_sel:BYTE_3 src1_sel:DWORD
	v_cmp_eq_u64_e32 vcc, 0, v[54:55]
	v_cndmask_b32_e32 v26, v2, v26, vcc
; %bb.2321:                             ;   in Loop: Header=BB4_2057 Depth=2
	s_or_b64 exec, exec, s[24:25]
	v_and_b32_e32 v2, 0xff, v28
	s_and_b64 vcc, exec, s[22:23]
	v_cmp_ne_u16_e64 s[24:25], 0, v2
	s_cbranch_vccnz .LBB4_2335
; %bb.2322:                             ;   in Loop: Header=BB4_2057 Depth=2
	v_mov_b32_e32 v30, 0
	v_mov_b32_e32 v3, 0
	s_and_saveexec_b64 s[62:63], s[24:25]
	s_cbranch_execz .LBB4_2328
; %bb.2323:                             ;   in Loop: Header=BB4_2057 Depth=2
	v_cmp_ne_u16_e32 vcc, s75, v2
	v_bfrev_b32_e32 v3, 1
	s_and_saveexec_b64 s[64:65], vcc
	s_cbranch_execz .LBB4_2327
; %bb.2324:                             ;   in Loop: Header=BB4_2057 Depth=2
	v_and_b32_e32 v4, 0x7f, v28
	v_cmp_ne_u32_e32 vcc, s76, v4
	v_mov_b32_e32 v3, 0x7f800001
	s_and_saveexec_b64 s[66:67], vcc
	s_cbranch_execz .LBB4_2326
; %bb.2325:                             ;   in Loop: Header=BB4_2057 Depth=2
	v_and_b32_e32 v3, 7, v2
	v_ffbh_u32_e32 v6, v3
	v_min_u32_e32 v8, 32, v6
	v_subrev_u32_e32 v6, 28, v8
	v_lshlrev_b64 v[6:7], v6, v[2:3]
	v_lshrrev_b32_e32 v5, 3, v4
	v_sub_u32_e32 v7, 29, v8
	v_and_b32_e32 v6, 7, v6
	v_cmp_gt_u32_e32 vcc, 8, v4
	v_cndmask_b32_e32 v4, v5, v7, vcc
	v_cndmask_b32_e32 v3, v3, v6, vcc
	v_lshlrev_b32_e32 v5, 24, v28
	v_lshlrev_b32_e32 v3, 20, v3
	v_and_b32_e32 v5, 0x80000000, v5
	v_lshl_add_u32 v4, v4, 23, v0
	v_or3_b32 v3, v5, v4, v3
.LBB4_2326:                             ;   in Loop: Header=BB4_2057 Depth=2
	s_or_b64 exec, exec, s[66:67]
.LBB4_2327:                             ;   in Loop: Header=BB4_2057 Depth=2
	s_or_b64 exec, exec, s[64:65]
.LBB4_2328:                             ;   in Loop: Header=BB4_2057 Depth=2
	s_or_b64 exec, exec, s[62:63]
	v_and_b32_e32 v16, 0xff, v25
	v_cmp_ne_u16_e32 vcc, 0, v16
	s_and_saveexec_b64 s[62:63], vcc
	s_cbranch_execz .LBB4_2334
; %bb.2329:                             ;   in Loop: Header=BB4_2057 Depth=2
	v_cmp_ne_u16_e32 vcc, s75, v16
	v_bfrev_b32_e32 v30, 1
	s_and_saveexec_b64 s[64:65], vcc
	s_cbranch_execz .LBB4_2333
; %bb.2330:                             ;   in Loop: Header=BB4_2057 Depth=2
	v_and_b32_e32 v4, 0x7f, v25
	v_cmp_ne_u32_e32 vcc, s76, v4
	v_mov_b32_e32 v30, 0x7f800001
	s_and_saveexec_b64 s[66:67], vcc
	s_cbranch_execz .LBB4_2332
; %bb.2331:                             ;   in Loop: Header=BB4_2057 Depth=2
	v_and_b32_e32 v5, 7, v16
	v_ffbh_u32_e32 v6, v5
	v_min_u32_e32 v9, 32, v6
	v_subrev_u32_e32 v6, 28, v9
	v_lshlrev_b64 v[6:7], v6, v[16:17]
	v_lshrrev_b32_e32 v8, 3, v4
	v_sub_u32_e32 v7, 29, v9
	v_and_b32_e32 v6, 7, v6
	v_cmp_gt_u32_e32 vcc, 8, v4
	v_cndmask_b32_e32 v4, v8, v7, vcc
	v_cndmask_b32_e32 v5, v5, v6, vcc
	v_lshlrev_b32_e32 v6, 24, v25
	v_lshlrev_b32_e32 v5, 20, v5
	v_and_b32_e32 v6, 0x80000000, v6
	v_lshl_add_u32 v4, v4, 23, v0
	v_or3_b32 v30, v6, v4, v5
.LBB4_2332:                             ;   in Loop: Header=BB4_2057 Depth=2
	s_or_b64 exec, exec, s[66:67]
.LBB4_2333:                             ;   in Loop: Header=BB4_2057 Depth=2
	s_or_b64 exec, exec, s[64:65]
.LBB4_2334:                             ;   in Loop: Header=BB4_2057 Depth=2
	s_or_b64 exec, exec, s[62:63]
	v_max_f32_e32 v4, v30, v30
	v_max_f32_e32 v3, v3, v3
	;; [unrolled: 1-line block ×3, first 2 shown]
	s_branch .LBB4_2349
.LBB4_2335:                             ;   in Loop: Header=BB4_2057 Depth=2
                                        ; implicit-def: $vgpr3
	s_cbranch_execz .LBB4_2349
; %bb.2336:                             ;   in Loop: Header=BB4_2057 Depth=2
	v_mov_b32_e32 v16, 0
	v_mov_b32_e32 v3, 0
	s_and_saveexec_b64 s[62:63], s[24:25]
	s_cbranch_execz .LBB4_2342
; %bb.2337:                             ;   in Loop: Header=BB4_2057 Depth=2
	v_cmp_ne_u16_e32 vcc, s75, v2
	v_bfrev_b32_e32 v3, 1
	s_and_saveexec_b64 s[24:25], vcc
	s_cbranch_execz .LBB4_2341
; %bb.2338:                             ;   in Loop: Header=BB4_2057 Depth=2
	v_and_b32_e32 v4, 0x7f, v28
	v_cmp_ne_u32_e32 vcc, s76, v4
	v_mov_b32_e32 v3, 0x7f800001
	s_and_saveexec_b64 s[64:65], vcc
	s_cbranch_execz .LBB4_2340
; %bb.2339:                             ;   in Loop: Header=BB4_2057 Depth=2
	v_and_b32_e32 v5, 7, v2
	v_ffbh_u32_e32 v3, v5
	v_min_u32_e32 v7, 32, v3
	v_subrev_u32_e32 v3, 28, v7
	v_lshlrev_b64 v[2:3], v3, v[2:3]
	v_lshrrev_b32_e32 v6, 3, v4
	v_sub_u32_e32 v3, 29, v7
	v_and_b32_e32 v2, 7, v2
	v_cmp_gt_u32_e32 vcc, 8, v4
	v_cndmask_b32_e32 v3, v6, v3, vcc
	v_cndmask_b32_e32 v2, v5, v2, vcc
	v_lshlrev_b32_e32 v4, 24, v28
	v_lshlrev_b32_e32 v2, 20, v2
	v_and_b32_e32 v4, 0x80000000, v4
	v_lshl_add_u32 v3, v3, 23, v0
	v_or3_b32 v3, v4, v3, v2
.LBB4_2340:                             ;   in Loop: Header=BB4_2057 Depth=2
	s_or_b64 exec, exec, s[64:65]
.LBB4_2341:                             ;   in Loop: Header=BB4_2057 Depth=2
	s_or_b64 exec, exec, s[24:25]
.LBB4_2342:                             ;   in Loop: Header=BB4_2057 Depth=2
	s_or_b64 exec, exec, s[62:63]
	v_and_b32_e32 v2, 0xff, v25
	v_cmp_ne_u16_e32 vcc, 0, v2
	s_and_saveexec_b64 s[24:25], vcc
	s_cbranch_execz .LBB4_2348
; %bb.2343:                             ;   in Loop: Header=BB4_2057 Depth=2
	v_cmp_ne_u16_e32 vcc, s75, v2
	v_bfrev_b32_e32 v16, 1
	s_and_saveexec_b64 s[62:63], vcc
	s_cbranch_execz .LBB4_2347
; %bb.2344:                             ;   in Loop: Header=BB4_2057 Depth=2
	v_and_b32_e32 v4, 0x7f, v25
	v_cmp_ne_u32_e32 vcc, s76, v4
	v_mov_b32_e32 v16, 0x7f800001
	s_and_saveexec_b64 s[64:65], vcc
	s_cbranch_execz .LBB4_2346
; %bb.2345:                             ;   in Loop: Header=BB4_2057 Depth=2
	v_and_b32_e32 v5, 7, v2
	v_ffbh_u32_e32 v6, v5
	v_min_u32_e32 v9, 32, v6
	v_subrev_u32_e32 v6, 28, v9
	v_lshlrev_b64 v[6:7], v6, v[2:3]
	v_lshrrev_b32_e32 v8, 3, v4
	v_sub_u32_e32 v2, 29, v9
	v_and_b32_e32 v6, 7, v6
	v_cmp_gt_u32_e32 vcc, 8, v4
	v_cndmask_b32_e32 v2, v8, v2, vcc
	v_cndmask_b32_e32 v4, v5, v6, vcc
	v_lshlrev_b32_e32 v5, 24, v25
	v_lshlrev_b32_e32 v4, 20, v4
	v_and_b32_e32 v5, 0x80000000, v5
	v_lshl_add_u32 v2, v2, 23, v0
	v_or3_b32 v16, v5, v2, v4
.LBB4_2346:                             ;   in Loop: Header=BB4_2057 Depth=2
	s_or_b64 exec, exec, s[64:65]
.LBB4_2347:                             ;   in Loop: Header=BB4_2057 Depth=2
	s_or_b64 exec, exec, s[62:63]
.LBB4_2348:                             ;   in Loop: Header=BB4_2057 Depth=2
	s_or_b64 exec, exec, s[24:25]
	v_max_f32_e32 v2, v16, v16
	v_max_f32_e32 v3, v3, v3
	v_min_f32_e32 v3, v3, v2
.LBB4_2349:                             ;   in Loop: Header=BB4_2057 Depth=2
	v_and_b32_sdwa v16, v3, s75 dst_sel:DWORD dst_unused:UNUSED_PAD src0_sel:BYTE_3 src1_sel:DWORD
	v_and_b32_e32 v4, 0x7f800000, v3
	v_mov_b32_e32 v5, v55
	v_and_b32_e32 v54, 0x7fffff, v3
	v_or_b32_e32 v25, 0x7e, v16
	v_cmp_ne_u64_e32 vcc, s[44:45], v[4:5]
	s_and_saveexec_b64 s[24:25], vcc
	s_xor_b64 s[62:63], exec, s[24:25]
	s_cbranch_execz .LBB4_2363
; %bb.2350:                             ;   in Loop: Header=BB4_2057 Depth=2
	v_and_b32_e32 v4, 0x7fffffff, v3
	v_mov_b32_e32 v5, v55
	v_cmp_gt_u64_e32 vcc, s[46:47], v[4:5]
	s_and_saveexec_b64 s[24:25], vcc
	s_xor_b64 s[64:65], exec, s[24:25]
	s_cbranch_execz .LBB4_2362
; %bb.2351:                             ;   in Loop: Header=BB4_2057 Depth=2
	v_cmp_ne_u32_e32 vcc, 0, v3
	v_mov_b32_e32 v25, 0
	s_and_saveexec_b64 s[66:67], vcc
	s_cbranch_execz .LBB4_2361
; %bb.2352:                             ;   in Loop: Header=BB4_2057 Depth=2
	v_bfe_u32 v2, v3, 23, 8
	v_sub_u32_e32 v4, 0x79, v2
	v_cmp_gt_u32_e32 vcc, s78, v2
	v_add_u32_e32 v3, 0xffffff81, v2
	v_cndmask_b32_e32 v4, 0, v4, vcc
	v_cmp_eq_u32_e32 vcc, 0, v2
	v_mov_b32_e32 v2, 0xffffff82
	v_cndmask_b32_e32 v25, v3, v2, vcc
	v_mov_b32_e32 v2, 0x78
	v_or_b32_e32 v5, 0x800000, v54
	v_cndmask_b32_e32 v4, v4, v2, vcc
	v_cndmask_b32_e32 v54, v5, v54, vcc
	v_add_u32_e32 v2, 20, v4
	v_lshlrev_b64 v[2:3], v2, -1
	v_add_u32_e32 v5, 19, v4
	v_lshrrev_b64 v[8:9], v4, v[54:55]
	v_not_b32_e32 v3, v3
	v_not_b32_e32 v2, v2
	v_lshlrev_b64 v[6:7], v5, 1
	v_lshrrev_b32_e32 v5, 23, v8
	v_and_b32_e32 v3, 0, v3
	v_and_b32_e32 v2, v54, v2
	v_add3_u32 v4, v4, v25, v5
	v_bfe_u32 v5, v8, 20, 1
	v_add_u32_e32 v5, -1, v5
	v_cmp_eq_u64_e32 vcc, v[2:3], v[6:7]
	v_cndmask_b32_e32 v2, 0, v5, vcc
	v_add_u32_e32 v2, v2, v8
	v_and_b32_e32 v2, 0xfffff, v2
	v_add_co_u32_e32 v2, vcc, v2, v8
	v_add_u32_e32 v25, 6, v4
	v_addc_co_u32_e32 v3, vcc, 0, v9, vcc
	v_cmp_ne_u32_e32 vcc, 0, v25
                                        ; implicit-def: $vgpr28
	s_and_saveexec_b64 s[24:25], vcc
	s_xor_b64 s[24:25], exec, s[24:25]
; %bb.2353:                             ;   in Loop: Header=BB4_2057 Depth=2
	v_add_u32_e32 v4, 7, v4
	v_cmp_lt_u64_e32 vcc, s[50:51], v[2:3]
	v_cndmask_b32_e32 v28, v25, v4, vcc
	v_cndmask_b32_e64 v4, 0, 1, vcc
	v_lshrrev_b64 v[2:3], v4, v[2:3]
; %bb.2354:                             ;   in Loop: Header=BB4_2057 Depth=2
	s_andn2_saveexec_b64 s[24:25], s[24:25]
; %bb.2355:                             ;   in Loop: Header=BB4_2057 Depth=2
	v_bfe_u32 v28, v2, 23, 1
; %bb.2356:                             ;   in Loop: Header=BB4_2057 Depth=2
	s_or_b64 exec, exec, s[24:25]
	v_lshrrev_b64 v[2:3], 20, v[2:3]
	v_cmp_gt_i32_e32 vcc, 16, v28
	v_cndmask_b32_e32 v3, 0, v3, vcc
	v_cndmask_b32_e32 v2, 7, v2, vcc
	v_cmp_ne_u32_e32 vcc, 0, v28
	v_cmp_ne_u64_e64 s[24:25], 0, v[2:3]
	s_or_b64 s[24:25], vcc, s[24:25]
                                        ; implicit-def: $vgpr25
	s_and_saveexec_b64 vcc, s[24:25]
	s_xor_b64 s[24:25], exec, vcc
; %bb.2357:                             ;   in Loop: Header=BB4_2057 Depth=2
	v_min_i32_e32 v3, 15, v28
	v_lshl_or_b32 v3, v3, 3, v16
	v_and_or_b32 v25, v2, 7, v3
                                        ; implicit-def: $vgpr16
; %bb.2358:                             ;   in Loop: Header=BB4_2057 Depth=2
	s_andn2_saveexec_b64 s[24:25], s[24:25]
; %bb.2359:                             ;   in Loop: Header=BB4_2057 Depth=2
	v_mov_b32_e32 v25, v16
; %bb.2360:                             ;   in Loop: Header=BB4_2057 Depth=2
	s_or_b64 exec, exec, s[24:25]
.LBB4_2361:                             ;   in Loop: Header=BB4_2057 Depth=2
	s_or_b64 exec, exec, s[66:67]
.LBB4_2362:                             ;   in Loop: Header=BB4_2057 Depth=2
	s_andn2_saveexec_b64 s[24:25], s[64:65]
	s_or_b64 exec, exec, s[24:25]
                                        ; implicit-def: $vgpr3
.LBB4_2363:                             ;   in Loop: Header=BB4_2057 Depth=2
	s_andn2_saveexec_b64 s[24:25], s[62:63]
; %bb.2364:                             ;   in Loop: Header=BB4_2057 Depth=2
	v_or_b32_sdwa v2, v3, s76 dst_sel:DWORD dst_unused:UNUSED_PAD src0_sel:BYTE_3 src1_sel:DWORD
	v_cmp_eq_u64_e32 vcc, 0, v[54:55]
	v_cndmask_b32_e32 v25, v2, v25, vcc
; %bb.2365:                             ;   in Loop: Header=BB4_2057 Depth=2
	s_or_b64 exec, exec, s[24:25]
	v_and_b32_e32 v2, 0xff, v23
	s_and_b64 vcc, exec, s[22:23]
	v_cmp_ne_u16_e64 s[22:23], 0, v2
	s_cbranch_vccnz .LBB4_2379
; %bb.2366:                             ;   in Loop: Header=BB4_2057 Depth=2
	v_mov_b32_e32 v28, 0
	v_mov_b32_e32 v3, 0
	s_and_saveexec_b64 s[24:25], s[22:23]
	s_cbranch_execz .LBB4_2372
; %bb.2367:                             ;   in Loop: Header=BB4_2057 Depth=2
	v_cmp_ne_u16_e32 vcc, s75, v2
	v_bfrev_b32_e32 v3, 1
	s_and_saveexec_b64 s[62:63], vcc
	s_cbranch_execz .LBB4_2371
; %bb.2368:                             ;   in Loop: Header=BB4_2057 Depth=2
	v_and_b32_e32 v4, 0x7f, v23
	v_cmp_ne_u32_e32 vcc, s76, v4
	v_mov_b32_e32 v3, 0x7f800001
	s_and_saveexec_b64 s[64:65], vcc
	s_cbranch_execz .LBB4_2370
; %bb.2369:                             ;   in Loop: Header=BB4_2057 Depth=2
	v_and_b32_e32 v3, 7, v2
	v_ffbh_u32_e32 v6, v3
	v_min_u32_e32 v8, 32, v6
	v_subrev_u32_e32 v6, 28, v8
	v_lshlrev_b64 v[6:7], v6, v[2:3]
	v_lshrrev_b32_e32 v5, 3, v4
	v_sub_u32_e32 v7, 29, v8
	v_and_b32_e32 v6, 7, v6
	v_cmp_gt_u32_e32 vcc, 8, v4
	v_cndmask_b32_e32 v4, v5, v7, vcc
	v_cndmask_b32_e32 v3, v3, v6, vcc
	v_lshlrev_b32_e32 v5, 24, v23
	v_lshlrev_b32_e32 v3, 20, v3
	v_and_b32_e32 v5, 0x80000000, v5
	v_lshl_add_u32 v4, v4, 23, v0
	v_or3_b32 v3, v5, v4, v3
.LBB4_2370:                             ;   in Loop: Header=BB4_2057 Depth=2
	s_or_b64 exec, exec, s[64:65]
.LBB4_2371:                             ;   in Loop: Header=BB4_2057 Depth=2
	s_or_b64 exec, exec, s[62:63]
.LBB4_2372:                             ;   in Loop: Header=BB4_2057 Depth=2
	s_or_b64 exec, exec, s[24:25]
	v_and_b32_e32 v16, 0xff, v22
	v_cmp_ne_u16_e32 vcc, 0, v16
	s_and_saveexec_b64 s[24:25], vcc
	s_cbranch_execz .LBB4_2378
; %bb.2373:                             ;   in Loop: Header=BB4_2057 Depth=2
	v_cmp_ne_u16_e32 vcc, s75, v16
	v_bfrev_b32_e32 v28, 1
	s_and_saveexec_b64 s[62:63], vcc
	s_cbranch_execz .LBB4_2377
; %bb.2374:                             ;   in Loop: Header=BB4_2057 Depth=2
	v_and_b32_e32 v4, 0x7f, v22
	v_cmp_ne_u32_e32 vcc, s76, v4
	v_mov_b32_e32 v28, 0x7f800001
	s_and_saveexec_b64 s[64:65], vcc
	s_cbranch_execz .LBB4_2376
; %bb.2375:                             ;   in Loop: Header=BB4_2057 Depth=2
	v_and_b32_e32 v5, 7, v16
	v_ffbh_u32_e32 v6, v5
	v_min_u32_e32 v9, 32, v6
	v_subrev_u32_e32 v6, 28, v9
	v_lshlrev_b64 v[6:7], v6, v[16:17]
	v_lshrrev_b32_e32 v8, 3, v4
	v_sub_u32_e32 v7, 29, v9
	v_and_b32_e32 v6, 7, v6
	v_cmp_gt_u32_e32 vcc, 8, v4
	v_cndmask_b32_e32 v4, v8, v7, vcc
	v_cndmask_b32_e32 v5, v5, v6, vcc
	v_lshlrev_b32_e32 v6, 24, v22
	v_lshlrev_b32_e32 v5, 20, v5
	v_and_b32_e32 v6, 0x80000000, v6
	v_lshl_add_u32 v4, v4, 23, v0
	v_or3_b32 v28, v6, v4, v5
.LBB4_2376:                             ;   in Loop: Header=BB4_2057 Depth=2
	s_or_b64 exec, exec, s[64:65]
.LBB4_2377:                             ;   in Loop: Header=BB4_2057 Depth=2
	s_or_b64 exec, exec, s[62:63]
.LBB4_2378:                             ;   in Loop: Header=BB4_2057 Depth=2
	s_or_b64 exec, exec, s[24:25]
	v_max_f32_e32 v4, v28, v28
	v_max_f32_e32 v3, v3, v3
	;; [unrolled: 1-line block ×3, first 2 shown]
	s_branch .LBB4_2393
.LBB4_2379:                             ;   in Loop: Header=BB4_2057 Depth=2
                                        ; implicit-def: $vgpr28
	s_cbranch_execz .LBB4_2393
; %bb.2380:                             ;   in Loop: Header=BB4_2057 Depth=2
	v_mov_b32_e32 v16, 0
	v_mov_b32_e32 v3, 0
	s_and_saveexec_b64 s[24:25], s[22:23]
	s_cbranch_execz .LBB4_2386
; %bb.2381:                             ;   in Loop: Header=BB4_2057 Depth=2
	v_cmp_ne_u16_e32 vcc, s75, v2
	v_bfrev_b32_e32 v3, 1
	s_and_saveexec_b64 s[22:23], vcc
	s_cbranch_execz .LBB4_2385
; %bb.2382:                             ;   in Loop: Header=BB4_2057 Depth=2
	v_and_b32_e32 v4, 0x7f, v23
	v_cmp_ne_u32_e32 vcc, s76, v4
	v_mov_b32_e32 v3, 0x7f800001
	s_and_saveexec_b64 s[62:63], vcc
	s_cbranch_execz .LBB4_2384
; %bb.2383:                             ;   in Loop: Header=BB4_2057 Depth=2
	v_and_b32_e32 v5, 7, v2
	v_ffbh_u32_e32 v3, v5
	v_min_u32_e32 v7, 32, v3
	v_subrev_u32_e32 v3, 28, v7
	v_lshlrev_b64 v[2:3], v3, v[2:3]
	v_lshrrev_b32_e32 v6, 3, v4
	v_sub_u32_e32 v3, 29, v7
	v_and_b32_e32 v2, 7, v2
	v_cmp_gt_u32_e32 vcc, 8, v4
	v_cndmask_b32_e32 v3, v6, v3, vcc
	v_cndmask_b32_e32 v2, v5, v2, vcc
	v_lshlrev_b32_e32 v4, 24, v23
	v_lshlrev_b32_e32 v2, 20, v2
	v_and_b32_e32 v4, 0x80000000, v4
	v_lshl_add_u32 v3, v3, 23, v0
	v_or3_b32 v3, v4, v3, v2
.LBB4_2384:                             ;   in Loop: Header=BB4_2057 Depth=2
	s_or_b64 exec, exec, s[62:63]
.LBB4_2385:                             ;   in Loop: Header=BB4_2057 Depth=2
	s_or_b64 exec, exec, s[22:23]
.LBB4_2386:                             ;   in Loop: Header=BB4_2057 Depth=2
	s_or_b64 exec, exec, s[24:25]
	v_and_b32_e32 v2, 0xff, v22
	v_cmp_ne_u16_e32 vcc, 0, v2
	s_and_saveexec_b64 s[22:23], vcc
	s_cbranch_execz .LBB4_2392
; %bb.2387:                             ;   in Loop: Header=BB4_2057 Depth=2
	v_cmp_ne_u16_e32 vcc, s75, v2
	v_bfrev_b32_e32 v16, 1
	s_and_saveexec_b64 s[24:25], vcc
	s_cbranch_execz .LBB4_2391
; %bb.2388:                             ;   in Loop: Header=BB4_2057 Depth=2
	v_and_b32_e32 v4, 0x7f, v22
	v_cmp_ne_u32_e32 vcc, s76, v4
	v_mov_b32_e32 v16, 0x7f800001
	s_and_saveexec_b64 s[62:63], vcc
	s_cbranch_execz .LBB4_2390
; %bb.2389:                             ;   in Loop: Header=BB4_2057 Depth=2
	v_and_b32_e32 v5, 7, v2
	v_ffbh_u32_e32 v6, v5
	v_min_u32_e32 v9, 32, v6
	v_subrev_u32_e32 v6, 28, v9
	v_lshlrev_b64 v[6:7], v6, v[2:3]
	v_lshrrev_b32_e32 v8, 3, v4
	v_sub_u32_e32 v2, 29, v9
	v_and_b32_e32 v6, 7, v6
	v_cmp_gt_u32_e32 vcc, 8, v4
	v_cndmask_b32_e32 v2, v8, v2, vcc
	v_cndmask_b32_e32 v4, v5, v6, vcc
	v_lshlrev_b32_e32 v5, 24, v22
	v_lshlrev_b32_e32 v4, 20, v4
	v_and_b32_e32 v5, 0x80000000, v5
	v_lshl_add_u32 v2, v2, 23, v0
	v_or3_b32 v16, v5, v2, v4
.LBB4_2390:                             ;   in Loop: Header=BB4_2057 Depth=2
	s_or_b64 exec, exec, s[62:63]
.LBB4_2391:                             ;   in Loop: Header=BB4_2057 Depth=2
	s_or_b64 exec, exec, s[24:25]
.LBB4_2392:                             ;   in Loop: Header=BB4_2057 Depth=2
	s_or_b64 exec, exec, s[22:23]
	v_max_f32_e32 v2, v16, v16
	v_max_f32_e32 v3, v3, v3
	v_min_f32_e32 v28, v3, v2
.LBB4_2393:                             ;   in Loop: Header=BB4_2057 Depth=2
	v_and_b32_sdwa v16, v28, s75 dst_sel:DWORD dst_unused:UNUSED_PAD src0_sel:BYTE_3 src1_sel:DWORD
	v_and_b32_e32 v4, 0x7f800000, v28
	v_mov_b32_e32 v5, v55
	v_and_b32_e32 v54, 0x7fffff, v28
	v_or_b32_e32 v3, 0x7e, v16
	v_cmp_ne_u64_e32 vcc, s[44:45], v[4:5]
	s_and_saveexec_b64 s[22:23], vcc
	s_xor_b64 s[24:25], exec, s[22:23]
	s_cbranch_execz .LBB4_2407
; %bb.2394:                             ;   in Loop: Header=BB4_2057 Depth=2
	v_and_b32_e32 v4, 0x7fffffff, v28
	v_mov_b32_e32 v5, v55
	v_cmp_gt_u64_e32 vcc, s[46:47], v[4:5]
	s_and_saveexec_b64 s[22:23], vcc
	s_xor_b64 s[62:63], exec, s[22:23]
	s_cbranch_execz .LBB4_2406
; %bb.2395:                             ;   in Loop: Header=BB4_2057 Depth=2
	v_cmp_ne_u32_e32 vcc, 0, v28
	v_mov_b32_e32 v3, 0
	s_and_saveexec_b64 s[64:65], vcc
	s_cbranch_execz .LBB4_2405
; %bb.2396:                             ;   in Loop: Header=BB4_2057 Depth=2
	v_bfe_u32 v2, v28, 23, 8
	v_sub_u32_e32 v4, 0x79, v2
	v_cmp_gt_u32_e32 vcc, s78, v2
	v_add_u32_e32 v3, 0xffffff81, v2
	v_cndmask_b32_e32 v4, 0, v4, vcc
	v_cmp_eq_u32_e32 vcc, 0, v2
	v_mov_b32_e32 v2, 0xffffff82
	v_cndmask_b32_e32 v22, v3, v2, vcc
	v_mov_b32_e32 v2, 0x78
	v_or_b32_e32 v5, 0x800000, v54
	v_cndmask_b32_e32 v4, v4, v2, vcc
	v_cndmask_b32_e32 v54, v5, v54, vcc
	v_add_u32_e32 v2, 20, v4
	v_lshlrev_b64 v[2:3], v2, -1
	v_add_u32_e32 v5, 19, v4
	v_lshrrev_b64 v[8:9], v4, v[54:55]
	v_not_b32_e32 v3, v3
	v_not_b32_e32 v2, v2
	v_lshlrev_b64 v[6:7], v5, 1
	v_lshrrev_b32_e32 v5, 23, v8
	v_and_b32_e32 v3, 0, v3
	v_and_b32_e32 v2, v54, v2
	v_add3_u32 v4, v4, v22, v5
	v_bfe_u32 v5, v8, 20, 1
	v_add_u32_e32 v5, -1, v5
	v_cmp_eq_u64_e32 vcc, v[2:3], v[6:7]
	v_cndmask_b32_e32 v2, 0, v5, vcc
	v_add_u32_e32 v2, v2, v8
	v_and_b32_e32 v2, 0xfffff, v2
	v_add_co_u32_e32 v2, vcc, v2, v8
	v_add_u32_e32 v23, 6, v4
	v_addc_co_u32_e32 v3, vcc, 0, v9, vcc
	v_cmp_ne_u32_e32 vcc, 0, v23
                                        ; implicit-def: $vgpr22
	s_and_saveexec_b64 s[22:23], vcc
	s_xor_b64 s[22:23], exec, s[22:23]
; %bb.2397:                             ;   in Loop: Header=BB4_2057 Depth=2
	v_add_u32_e32 v4, 7, v4
	v_cmp_lt_u64_e32 vcc, s[50:51], v[2:3]
	v_cndmask_b32_e32 v22, v23, v4, vcc
	v_cndmask_b32_e64 v4, 0, 1, vcc
	v_lshrrev_b64 v[2:3], v4, v[2:3]
; %bb.2398:                             ;   in Loop: Header=BB4_2057 Depth=2
	s_andn2_saveexec_b64 s[22:23], s[22:23]
; %bb.2399:                             ;   in Loop: Header=BB4_2057 Depth=2
	v_bfe_u32 v22, v2, 23, 1
; %bb.2400:                             ;   in Loop: Header=BB4_2057 Depth=2
	s_or_b64 exec, exec, s[22:23]
	v_lshrrev_b64 v[2:3], 20, v[2:3]
	v_cmp_gt_i32_e32 vcc, 16, v22
	v_cndmask_b32_e32 v3, 0, v3, vcc
	v_cndmask_b32_e32 v2, 7, v2, vcc
	v_cmp_ne_u32_e32 vcc, 0, v22
	v_cmp_ne_u64_e64 s[22:23], 0, v[2:3]
	s_or_b64 s[22:23], vcc, s[22:23]
                                        ; implicit-def: $vgpr3
	s_and_saveexec_b64 vcc, s[22:23]
	s_xor_b64 s[22:23], exec, vcc
; %bb.2401:                             ;   in Loop: Header=BB4_2057 Depth=2
	v_min_i32_e32 v3, 15, v22
	v_lshl_or_b32 v3, v3, 3, v16
	v_and_or_b32 v3, v2, 7, v3
                                        ; implicit-def: $vgpr16
; %bb.2402:                             ;   in Loop: Header=BB4_2057 Depth=2
	s_andn2_saveexec_b64 s[22:23], s[22:23]
; %bb.2403:                             ;   in Loop: Header=BB4_2057 Depth=2
	v_mov_b32_e32 v3, v16
; %bb.2404:                             ;   in Loop: Header=BB4_2057 Depth=2
	s_or_b64 exec, exec, s[22:23]
.LBB4_2405:                             ;   in Loop: Header=BB4_2057 Depth=2
	s_or_b64 exec, exec, s[64:65]
.LBB4_2406:                             ;   in Loop: Header=BB4_2057 Depth=2
	s_andn2_saveexec_b64 s[22:23], s[62:63]
	s_or_b64 exec, exec, s[22:23]
                                        ; implicit-def: $vgpr28
.LBB4_2407:                             ;   in Loop: Header=BB4_2057 Depth=2
	s_andn2_saveexec_b64 s[22:23], s[24:25]
	s_cbranch_execz .LBB4_2056
; %bb.2408:                             ;   in Loop: Header=BB4_2057 Depth=2
	v_or_b32_sdwa v2, v28, s76 dst_sel:DWORD dst_unused:UNUSED_PAD src0_sel:BYTE_3 src1_sel:DWORD
	v_cmp_eq_u64_e32 vcc, 0, v[54:55]
	v_cndmask_b32_e32 v3, v2, v3, vcc
	s_branch .LBB4_2056
.LBB4_2409:                             ;   in Loop: Header=BB4_49 Depth=1
	s_or_b64 exec, exec, s[60:61]
	v_accvgpr_read_b32 v8, a42
.LBB4_2410:                             ;   in Loop: Header=BB4_49 Depth=1
	s_or_b64 exec, exec, s[26:27]
	v_lshlrev_b32_e32 v2, 9, v21
	v_cmp_ne_u32_e32 vcc, v17, v2
	s_and_b64 exec, exec, vcc
	s_cbranch_execz .LBB4_2458
; %bb.2411:                             ;   in Loop: Header=BB4_49 Depth=1
	v_add_u32_e32 v3, v18, v20
	v_and_b32_e32 v3, 0xffffffc0, v3
	v_sub_u32_e32 v3, v18, v3
	v_lshlrev_b32_e32 v4, 6, v19
	v_sub_u32_e32 v3, v3, v4
	v_add_u32_e32 v2, v2, v3
	v_sub_u32_e32 v16, v17, v2
	v_cmp_lt_i32_e32 vcc, 0, v16
	s_and_b64 exec, exec, vcc
	s_cbranch_execz .LBB4_2458
; %bb.2412:                             ;   in Loop: Header=BB4_49 Depth=1
	s_trap 2
	ds_read_b128 v[4:7], v0
	ds_read_b64 v[8:9], v0
	v_add_u32_e32 v1, v2, v1
	v_ashrrev_i32_e32 v13, 31, v1
	s_bitcmp1_b32 s68, 0
	s_waitcnt lgkmcnt(0)
	v_add_co_u32_e32 v2, vcc, v4, v1
	v_addc_co_u32_e32 v3, vcc, v5, v13, vcc
	v_add_co_u32_e32 v10, vcc, v6, v1
	v_addc_co_u32_e32 v11, vcc, v7, v13, vcc
	;; [unrolled: 2-line block ×3, first 2 shown]
	v_accvgpr_read_b32 v8, a42
	s_mov_b64 s[58:59], 0
	s_cselect_b64 s[60:61], -1, 0
	s_branch .LBB4_2414
.LBB4_2413:                             ;   in Loop: Header=BB4_2414 Depth=2
	s_or_b64 exec, exec, s[22:23]
	v_accvgpr_read_b32 v4, a38
	v_add_co_u32_e32 v2, vcc, v2, v4
	v_accvgpr_read_b32 v1, a37
	v_addc_co_u32_e32 v3, vcc, v3, v1, vcc
	v_add_co_u32_e32 v10, vcc, v10, v4
	v_addc_co_u32_e32 v11, vcc, v11, v1, vcc
	v_sub_u32_e32 v16, v16, v4
	v_cmp_gt_i32_e32 vcc, 1, v16
	flat_store_byte v[12:13], v15 glc slc
	s_or_b64 s[58:59], vcc, s[58:59]
	v_add_co_u32_e32 v12, vcc, v12, v4
	v_addc_co_u32_e32 v13, vcc, v13, v1, vcc
	s_andn2_b64 exec, exec, s[58:59]
	s_cbranch_execz .LBB4_2458
.LBB4_2414:                             ;   Parent Loop BB4_49 Depth=1
                                        ; =>  This Inner Loop Header: Depth=2
	flat_load_ubyte v15, v[10:11] glc slc
	flat_load_ubyte v17, v[2:3] glc slc
	s_and_b64 vcc, exec, s[60:61]
	s_waitcnt vmcnt(0) lgkmcnt(0)
	v_cmp_ne_u16_e64 s[24:25], 0, v15
	v_cmp_ne_u16_e64 s[22:23], s75, v15
	v_and_b32_sdwa v1, sext(v15), s77 dst_sel:DWORD dst_unused:UNUSED_PAD src0_sel:BYTE_0 src1_sel:DWORD
	v_cmp_ne_u16_e64 s[26:27], 0, v17
	s_cbranch_vccz .LBB4_2428
; %bb.2415:                             ;   in Loop: Header=BB4_2414 Depth=2
	v_mov_b32_e32 v18, 0
	v_mov_b32_e32 v19, 0
	s_and_saveexec_b64 s[62:63], s[26:27]
	s_cbranch_execz .LBB4_2421
; %bb.2416:                             ;   in Loop: Header=BB4_2414 Depth=2
	v_cmp_ne_u16_e32 vcc, s75, v17
	v_bfrev_b32_e32 v19, 1
	s_and_saveexec_b64 s[64:65], vcc
	s_cbranch_execz .LBB4_2420
; %bb.2417:                             ;   in Loop: Header=BB4_2414 Depth=2
	v_and_b32_e32 v14, 0xffff, v17
	v_and_b32_e32 v4, 0x7f, v14
	v_cmp_ne_u32_e32 vcc, s76, v4
	v_mov_b32_e32 v19, 0x7f800001
	s_and_saveexec_b64 s[66:67], vcc
	s_cbranch_execz .LBB4_2419
; %bb.2418:                             ;   in Loop: Header=BB4_2414 Depth=2
	v_and_b32_e32 v5, 7, v14
	v_ffbh_u32_e32 v6, v5
	v_min_u32_e32 v9, 32, v6
	v_subrev_u32_e32 v6, 28, v9
	v_lshlrev_b64 v[6:7], v6, v[14:15]
	v_lshrrev_b32_e32 v8, 3, v4
	v_sub_u32_e32 v7, 29, v9
	v_and_b32_e32 v6, 7, v6
	v_cmp_gt_u32_e32 vcc, 8, v4
	v_cndmask_b32_e32 v4, v8, v7, vcc
	v_cndmask_b32_e32 v5, v5, v6, vcc
	v_lshlrev_b32_e32 v6, 24, v17
	v_lshlrev_b32_e32 v5, 20, v5
	v_and_b32_e32 v6, 0x80000000, v6
	v_lshl_add_u32 v4, v4, 23, v0
	v_accvgpr_read_b32 v8, a42
	v_or3_b32 v19, v6, v4, v5
.LBB4_2419:                             ;   in Loop: Header=BB4_2414 Depth=2
	s_or_b64 exec, exec, s[66:67]
.LBB4_2420:                             ;   in Loop: Header=BB4_2414 Depth=2
	s_or_b64 exec, exec, s[64:65]
.LBB4_2421:                             ;   in Loop: Header=BB4_2414 Depth=2
	s_or_b64 exec, exec, s[62:63]
	s_and_saveexec_b64 s[62:63], s[24:25]
	s_cbranch_execz .LBB4_2427
; %bb.2422:                             ;   in Loop: Header=BB4_2414 Depth=2
	v_bfrev_b32_e32 v18, 1
	s_and_saveexec_b64 s[64:65], s[22:23]
	s_cbranch_execz .LBB4_2426
; %bb.2423:                             ;   in Loop: Header=BB4_2414 Depth=2
	v_and_b32_e32 v14, 0xffff, v15
	v_and_b32_e32 v4, 0x7f, v14
	v_cmp_ne_u32_e32 vcc, s76, v4
	v_mov_b32_e32 v18, 0x7f800001
	s_and_saveexec_b64 s[66:67], vcc
	s_cbranch_execz .LBB4_2425
; %bb.2424:                             ;   in Loop: Header=BB4_2414 Depth=2
	v_and_b32_e32 v5, 7, v14
	v_ffbh_u32_e32 v6, v5
	v_min_u32_e32 v9, 32, v6
	v_subrev_u32_e32 v6, 28, v9
	v_lshlrev_b64 v[6:7], v6, v[14:15]
	v_and_b32_e32 v6, 7, v6
	v_cmp_gt_u32_e32 vcc, 8, v4
	v_lshrrev_b32_e32 v8, 3, v4
	v_sub_u32_e32 v7, 29, v9
	v_cndmask_b32_e32 v5, v5, v6, vcc
	v_cndmask_b32_e32 v4, v8, v7, vcc
	v_lshlrev_b32_e32 v5, 20, v5
	v_lshl_or_b32 v4, v4, 23, v5
	v_add_u32_e32 v4, 0x3c000000, v4
	v_accvgpr_read_b32 v8, a42
	v_or_b32_e32 v18, v4, v1
.LBB4_2425:                             ;   in Loop: Header=BB4_2414 Depth=2
	s_or_b64 exec, exec, s[66:67]
.LBB4_2426:                             ;   in Loop: Header=BB4_2414 Depth=2
	s_or_b64 exec, exec, s[64:65]
.LBB4_2427:                             ;   in Loop: Header=BB4_2414 Depth=2
	s_or_b64 exec, exec, s[62:63]
	v_max_f32_e32 v4, v18, v18
	v_max_f32_e32 v5, v19, v19
	;; [unrolled: 1-line block ×3, first 2 shown]
	s_branch .LBB4_2442
.LBB4_2428:                             ;   in Loop: Header=BB4_2414 Depth=2
                                        ; implicit-def: $vgpr14
	s_cbranch_execz .LBB4_2442
; %bb.2429:                             ;   in Loop: Header=BB4_2414 Depth=2
	v_mov_b32_e32 v18, 0
	v_mov_b32_e32 v19, 0
	s_and_saveexec_b64 s[62:63], s[26:27]
	s_cbranch_execz .LBB4_2435
; %bb.2430:                             ;   in Loop: Header=BB4_2414 Depth=2
	v_cmp_ne_u16_e32 vcc, s75, v17
	v_bfrev_b32_e32 v19, 1
	s_and_saveexec_b64 s[26:27], vcc
	s_cbranch_execz .LBB4_2434
; %bb.2431:                             ;   in Loop: Header=BB4_2414 Depth=2
	v_and_b32_e32 v14, 0xffff, v17
	v_and_b32_e32 v4, 0x7f, v14
	v_cmp_ne_u32_e32 vcc, s76, v4
	v_mov_b32_e32 v19, 0x7f800001
	s_and_saveexec_b64 s[64:65], vcc
	s_cbranch_execz .LBB4_2433
; %bb.2432:                             ;   in Loop: Header=BB4_2414 Depth=2
	v_and_b32_e32 v5, 7, v14
	v_ffbh_u32_e32 v6, v5
	v_min_u32_e32 v9, 32, v6
	v_subrev_u32_e32 v6, 28, v9
	v_lshlrev_b64 v[6:7], v6, v[14:15]
	v_lshrrev_b32_e32 v8, 3, v4
	v_sub_u32_e32 v7, 29, v9
	v_and_b32_e32 v6, 7, v6
	v_cmp_gt_u32_e32 vcc, 8, v4
	v_cndmask_b32_e32 v4, v8, v7, vcc
	v_cndmask_b32_e32 v5, v5, v6, vcc
	v_lshlrev_b32_e32 v6, 24, v17
	v_lshlrev_b32_e32 v5, 20, v5
	v_and_b32_e32 v6, 0x80000000, v6
	v_lshl_add_u32 v4, v4, 23, v0
	v_accvgpr_read_b32 v8, a42
	v_or3_b32 v19, v6, v4, v5
.LBB4_2433:                             ;   in Loop: Header=BB4_2414 Depth=2
	s_or_b64 exec, exec, s[64:65]
.LBB4_2434:                             ;   in Loop: Header=BB4_2414 Depth=2
	s_or_b64 exec, exec, s[26:27]
.LBB4_2435:                             ;   in Loop: Header=BB4_2414 Depth=2
	s_or_b64 exec, exec, s[62:63]
	s_and_saveexec_b64 s[26:27], s[24:25]
	s_cbranch_execz .LBB4_2441
; %bb.2436:                             ;   in Loop: Header=BB4_2414 Depth=2
	v_bfrev_b32_e32 v18, 1
	s_and_saveexec_b64 s[24:25], s[22:23]
	s_cbranch_execz .LBB4_2440
; %bb.2437:                             ;   in Loop: Header=BB4_2414 Depth=2
	v_and_b32_e32 v14, 0xffff, v15
	v_and_b32_e32 v4, 0x7f, v14
	v_cmp_ne_u32_e32 vcc, s76, v4
	v_mov_b32_e32 v18, 0x7f800001
	s_and_saveexec_b64 s[22:23], vcc
	s_cbranch_execz .LBB4_2439
; %bb.2438:                             ;   in Loop: Header=BB4_2414 Depth=2
	v_and_b32_e32 v5, 7, v14
	v_ffbh_u32_e32 v6, v5
	v_min_u32_e32 v9, 32, v6
	v_subrev_u32_e32 v6, 28, v9
	v_lshlrev_b64 v[6:7], v6, v[14:15]
	v_and_b32_e32 v6, 7, v6
	v_cmp_gt_u32_e32 vcc, 8, v4
	v_lshrrev_b32_e32 v8, 3, v4
	v_sub_u32_e32 v7, 29, v9
	v_cndmask_b32_e32 v5, v5, v6, vcc
	v_cndmask_b32_e32 v4, v8, v7, vcc
	v_lshlrev_b32_e32 v5, 20, v5
	v_lshl_or_b32 v4, v4, 23, v5
	v_add_u32_e32 v4, 0x3c000000, v4
	v_accvgpr_read_b32 v8, a42
	v_or_b32_e32 v18, v4, v1
.LBB4_2439:                             ;   in Loop: Header=BB4_2414 Depth=2
	s_or_b64 exec, exec, s[22:23]
.LBB4_2440:                             ;   in Loop: Header=BB4_2414 Depth=2
	s_or_b64 exec, exec, s[24:25]
.LBB4_2441:                             ;   in Loop: Header=BB4_2414 Depth=2
	s_or_b64 exec, exec, s[26:27]
	v_max_f32_e32 v1, v18, v18
	v_max_f32_e32 v4, v19, v19
	v_min_f32_e32 v14, v4, v1
.LBB4_2442:                             ;   in Loop: Header=BB4_2414 Depth=2
	v_and_b32_sdwa v1, v14, s75 dst_sel:DWORD dst_unused:UNUSED_PAD src0_sel:BYTE_3 src1_sel:DWORD
	v_and_b32_e32 v4, 0x7f800000, v14
	v_mov_b32_e32 v5, v55
	v_and_b32_e32 v54, 0x7fffff, v14
	v_or_b32_e32 v15, 0x7e, v1
	v_cmp_ne_u64_e32 vcc, s[44:45], v[4:5]
	s_and_saveexec_b64 s[22:23], vcc
	s_xor_b64 s[24:25], exec, s[22:23]
	s_cbranch_execz .LBB4_2456
; %bb.2443:                             ;   in Loop: Header=BB4_2414 Depth=2
	v_and_b32_e32 v4, 0x7fffffff, v14
	v_mov_b32_e32 v5, v55
	v_cmp_gt_u64_e32 vcc, s[46:47], v[4:5]
	s_and_saveexec_b64 s[22:23], vcc
	s_xor_b64 s[26:27], exec, s[22:23]
	s_cbranch_execz .LBB4_2455
; %bb.2444:                             ;   in Loop: Header=BB4_2414 Depth=2
	v_cmp_ne_u32_e32 vcc, 0, v14
	v_mov_b32_e32 v15, 0
	s_and_saveexec_b64 s[62:63], vcc
	s_cbranch_execz .LBB4_2454
; %bb.2445:                             ;   in Loop: Header=BB4_2414 Depth=2
	v_bfe_u32 v4, v14, 23, 8
	v_sub_u32_e32 v6, 0x79, v4
	v_cmp_gt_u32_e32 vcc, s78, v4
	v_add_u32_e32 v5, 0xffffff81, v4
	v_cndmask_b32_e32 v6, 0, v6, vcc
	v_cmp_eq_u32_e32 vcc, 0, v4
	v_mov_b32_e32 v4, 0xffffff82
	v_cndmask_b32_e32 v17, v5, v4, vcc
	v_mov_b32_e32 v4, 0x78
	v_cndmask_b32_e32 v18, v6, v4, vcc
	v_add_u32_e32 v4, 20, v18
	v_or_b32_e32 v7, 0x800000, v54
	v_lshlrev_b64 v[4:5], v4, -1
	v_cndmask_b32_e32 v54, v7, v54, vcc
	v_not_b32_e32 v4, v4
	v_not_b32_e32 v5, v5
	v_and_b32_e32 v6, v54, v4
	v_add_u32_e32 v4, 19, v18
	v_lshrrev_b64 v[14:15], v18, v[54:55]
	v_and_b32_e32 v7, 0, v5
	v_lshlrev_b64 v[8:9], v4, 1
	v_bfe_u32 v5, v14, 20, 1
	v_add_u32_e32 v5, -1, v5
	v_cmp_eq_u64_e32 vcc, v[6:7], v[8:9]
	v_cndmask_b32_e32 v5, 0, v5, vcc
	v_add_u32_e32 v5, v5, v14
	v_lshrrev_b32_e32 v4, 23, v14
	v_and_b32_e32 v5, 0xfffff, v5
	v_add3_u32 v4, v18, v17, v4
	v_add_co_u32_e32 v14, vcc, v5, v14
	v_add_u32_e32 v18, 6, v4
	v_addc_co_u32_e32 v15, vcc, 0, v15, vcc
	v_cmp_ne_u32_e32 vcc, 0, v18
                                        ; implicit-def: $vgpr17
	s_and_saveexec_b64 s[22:23], vcc
	s_xor_b64 s[22:23], exec, s[22:23]
; %bb.2446:                             ;   in Loop: Header=BB4_2414 Depth=2
	v_add_u32_e32 v4, 7, v4
	v_cmp_lt_u64_e32 vcc, s[50:51], v[14:15]
	v_cndmask_b32_e32 v17, v18, v4, vcc
	v_cndmask_b32_e64 v4, 0, 1, vcc
	v_lshrrev_b64 v[14:15], v4, v[14:15]
; %bb.2447:                             ;   in Loop: Header=BB4_2414 Depth=2
	s_andn2_saveexec_b64 s[22:23], s[22:23]
; %bb.2448:                             ;   in Loop: Header=BB4_2414 Depth=2
	v_bfe_u32 v17, v14, 23, 1
; %bb.2449:                             ;   in Loop: Header=BB4_2414 Depth=2
	s_or_b64 exec, exec, s[22:23]
	v_lshrrev_b64 v[4:5], 20, v[14:15]
	v_cmp_gt_i32_e32 vcc, 16, v17
	v_cndmask_b32_e32 v15, 0, v5, vcc
	v_cndmask_b32_e32 v14, 7, v4, vcc
	v_cmp_ne_u32_e32 vcc, 0, v17
	v_cmp_ne_u64_e64 s[22:23], 0, v[14:15]
	s_or_b64 s[22:23], vcc, s[22:23]
                                        ; implicit-def: $vgpr15
	s_mov_b64 vcc, exec
	s_and_b64 s[64:65], vcc, s[22:23]
	s_xor_b64 s[22:23], s[64:65], vcc
	v_accvgpr_read_b32 v8, a42
	s_mov_b64 exec, s[64:65]
; %bb.2450:                             ;   in Loop: Header=BB4_2414 Depth=2
	v_min_i32_e32 v4, 15, v17
	v_lshl_or_b32 v1, v4, 3, v1
	v_and_or_b32 v15, v14, 7, v1
                                        ; implicit-def: $vgpr1
; %bb.2451:                             ;   in Loop: Header=BB4_2414 Depth=2
	s_andn2_saveexec_b64 s[22:23], s[22:23]
; %bb.2452:                             ;   in Loop: Header=BB4_2414 Depth=2
	v_mov_b32_e32 v15, v1
; %bb.2453:                             ;   in Loop: Header=BB4_2414 Depth=2
	s_or_b64 exec, exec, s[22:23]
.LBB4_2454:                             ;   in Loop: Header=BB4_2414 Depth=2
	s_or_b64 exec, exec, s[62:63]
.LBB4_2455:                             ;   in Loop: Header=BB4_2414 Depth=2
	s_andn2_saveexec_b64 s[22:23], s[26:27]
	s_or_b64 exec, exec, s[22:23]
                                        ; implicit-def: $vgpr14
.LBB4_2456:                             ;   in Loop: Header=BB4_2414 Depth=2
	s_andn2_saveexec_b64 s[22:23], s[24:25]
	s_cbranch_execz .LBB4_2413
; %bb.2457:                             ;   in Loop: Header=BB4_2414 Depth=2
	v_or_b32_sdwa v1, v14, s76 dst_sel:DWORD dst_unused:UNUSED_PAD src0_sel:BYTE_3 src1_sel:DWORD
	v_cmp_eq_u64_e32 vcc, 0, v[54:55]
	v_cndmask_b32_e32 v15, v1, v15, vcc
	s_branch .LBB4_2413
.LBB4_2458:                             ;   in Loop: Header=BB4_49 Depth=1
	s_or_b64 exec, exec, s[56:57]
	v_accvgpr_read_b32 v1, a39
	v_accvgpr_read_b32 v16, a20
	;; [unrolled: 1-line block ×3, first 2 shown]
	v_cmp_ne_u32_e64 s[22:23], 0, v1
	v_accvgpr_read_b32 v17, a21
	v_accvgpr_read_b32 v21, a23
	v_mov_b32_e32 v18, 1
.LBB4_2459:                             ;   in Loop: Header=BB4_49 Depth=1
	s_and_saveexec_b64 s[24:25], s[12:13]
	s_cbranch_execz .LBB4_2478
; %bb.2460:                             ;   in Loop: Header=BB4_49 Depth=1
	s_and_saveexec_b64 s[26:27], s[38:39]
	s_xor_b64 s[26:27], exec, s[26:27]
	s_cbranch_execz .LBB4_2475
; %bb.2461:                             ;   in Loop: Header=BB4_49 Depth=1
	s_and_saveexec_b64 s[56:57], s[14:15]
	s_cbranch_execz .LBB4_2474
; %bb.2462:                             ;   in Loop: Header=BB4_49 Depth=1
	s_mov_b64 s[60:61], exec
	v_mbcnt_lo_u32_b32 v1, s60, 0
	v_mbcnt_hi_u32_b32 v1, s61, v1
	v_cmp_eq_u32_e32 vcc, 0, v1
	s_waitcnt vmcnt(0) lgkmcnt(0)
	buffer_wbinvl1_vol
	s_and_saveexec_b64 s[58:59], vcc
	s_cbranch_execz .LBB4_2464
; %bb.2463:                             ;   in Loop: Header=BB4_49 Depth=1
	s_bcnt1_i32_b64 vcc_lo, s[60:61]
	v_mov_b32_e32 v54, vcc_lo
	ds_add_u64 v0, v[54:55]
	s_trap 2
.LBB4_2464:                             ;   in Loop: Header=BB4_49 Depth=1
	s_or_b64 exec, exec, s[58:59]
	s_trap 2
	ds_read_b64 v[2:3], v0
	v_add_co_u32_e32 v16, vcc, v16, v42
	v_addc_co_u32_e32 v17, vcc, 0, v17, vcc
	s_waitcnt lgkmcnt(0)
	v_cmp_lt_u64_e32 vcc, v[2:3], v[16:17]
	s_and_saveexec_b64 s[58:59], vcc
	s_cbranch_execz .LBB4_2473
; %bb.2465:                             ;   in Loop: Header=BB4_49 Depth=1
	s_mov_b32 s80, 0
	s_mov_b64 s[60:61], 0
                                        ; implicit-def: $sgpr62_sgpr63
                                        ; implicit-def: $sgpr64_sgpr65
	s_branch .LBB4_2467
.LBB4_2466:                             ;   in Loop: Header=BB4_2467 Depth=2
	s_or_b64 exec, exec, s[68:69]
	s_and_b64 vcc, exec, vcc
	s_or_b64 s[60:61], vcc, s[60:61]
	s_andn2_b64 vcc, s[62:63], exec
	s_and_b64 s[62:63], s[64:65], exec
	s_or_b64 s[62:63], vcc, s[62:63]
	s_andn2_b64 exec, exec, s[60:61]
	s_cbranch_execz .LBB4_2471
.LBB4_2467:                             ;   Parent Loop BB4_49 Depth=1
                                        ; =>  This Inner Loop Header: Depth=2
	s_add_i32 s80, s80, 1
	s_cmpk_lg_i32 s80, 0x2710
	s_cselect_b64 s[66:67], -1, 0
	s_and_b64 vcc, exec, s[66:67]
                                        ; implicit-def: $sgpr68_sgpr69
	s_cbranch_vccnz .LBB4_2469
; %bb.2468:                             ;   in Loop: Header=BB4_2467 Depth=2
	s_trap 2
	ds_read_b64 v[2:3], v0
	s_andn2_b64 s[66:67], s[66:67], exec
	s_mov_b32 s80, 0
	s_mov_b64 s[68:69], -1
	s_waitcnt lgkmcnt(0)
	flat_load_dword v1, v[2:3] glc
	s_waitcnt vmcnt(0) lgkmcnt(0)
	buffer_invl2
	buffer_wbinvl1_vol
	v_cmp_eq_u32_e32 vcc, 0, v1
	s_and_b64 vcc, vcc, exec
	s_or_b64 s[66:67], s[66:67], vcc
.LBB4_2469:                             ;   in Loop: Header=BB4_2467 Depth=2
	s_andn2_b64 s[64:65], s[64:65], exec
	s_and_b64 s[68:69], s[68:69], exec
	s_mov_b64 vcc, -1
	s_or_b64 s[64:65], s[64:65], s[68:69]
	s_and_saveexec_b64 s[68:69], s[66:67]
	s_cbranch_execz .LBB4_2466
; %bb.2470:                             ;   in Loop: Header=BB4_2467 Depth=2
	s_sleep 1
	s_trap 2
	ds_read_b64 v[2:3], v0
	s_andn2_b64 s[64:65], s[64:65], exec
	s_waitcnt lgkmcnt(0)
	v_cmp_ge_u64_e32 vcc, v[2:3], v[16:17]
	s_orn2_b64 vcc, vcc, exec
	s_branch .LBB4_2466
.LBB4_2471:                             ;   in Loop: Header=BB4_49 Depth=1
	s_or_b64 exec, exec, s[60:61]
	s_and_saveexec_b64 vcc, s[62:63]
	s_xor_b64 vcc, exec, vcc
	s_cbranch_execz .LBB4_2473
; %bb.2472:                             ;   in Loop: Header=BB4_49 Depth=1
	ds_write_b32 v0, v18
	s_trap 2
.LBB4_2473:                             ;   in Loop: Header=BB4_49 Depth=1
	s_or_b64 exec, exec, s[58:59]
	;;#ASMSTART
	s_wakeup
	;;#ASMEND
.LBB4_2474:                             ;   in Loop: Header=BB4_49 Depth=1
	s_or_b64 exec, exec, s[56:57]
.LBB4_2475:                             ;   in Loop: Header=BB4_49 Depth=1
	s_andn2_saveexec_b64 s[26:27], s[26:27]
	s_cbranch_execz .LBB4_2477
; %bb.2476:                             ;   in Loop: Header=BB4_49 Depth=1
	s_waitcnt vmcnt(0) lgkmcnt(0)
	buffer_wbinvl1_vol
	s_barrier
.LBB4_2477:                             ;   in Loop: Header=BB4_49 Depth=1
	s_or_b64 exec, exec, s[26:27]
.LBB4_2478:                             ;   in Loop: Header=BB4_49 Depth=1
	s_or_b64 exec, exec, s[24:25]
	v_and_b32_e32 v1, 16, v62
	v_cmp_ne_u32_e32 vcc, 0, v1
	s_and_b64 s[24:25], vcc, s[22:23]
	s_and_saveexec_b64 s[22:23], s[24:25]
	s_cbranch_execz .LBB4_2480
; %bb.2479:                             ;   in Loop: Header=BB4_49 Depth=1
	s_waitcnt vmcnt(0) lgkmcnt(0)
	buffer_wbinvl1_vol
.LBB4_2480:                             ;   in Loop: Header=BB4_49 Depth=1
	s_or_b64 exec, exec, s[22:23]
	v_cmp_ne_u32_e32 vcc, 0, v1
	s_xor_b64 s[22:23], s[20:21], -1
	s_and_b64 s[24:25], vcc, s[22:23]
	s_and_saveexec_b64 s[22:23], s[24:25]
	s_cbranch_execz .LBB4_2482
; %bb.2481:                             ;   in Loop: Header=BB4_49 Depth=1
	flat_store_dword v[60:61], v18
.LBB4_2482:                             ;   in Loop: Header=BB4_49 Depth=1
	s_or_b64 exec, exec, s[22:23]
	v_and_b32_e32 v1, 48, v62
	v_cmp_ne_u32_e32 vcc, 0, v1
	s_and_saveexec_b64 s[22:23], vcc
	s_cbranch_execz .LBB4_2484
; %bb.2483:                             ;   in Loop: Header=BB4_49 Depth=1
	v_accvgpr_read_b32 v2, a12
	v_accvgpr_read_b32 v4, a14
	;; [unrolled: 1-line block ×3, first 2 shown]
	v_add_co_u32_e32 v4, vcc, 1, v4
	v_addc_co_u32_e32 v5, vcc, 0, v5, vcc
	v_accvgpr_read_b32 v3, a13
	v_accvgpr_write_b32 a15, v5
	v_accvgpr_write_b32 a14, v4
	;; [unrolled: 1-line block ×4, first 2 shown]
	flat_store_dwordx2 v[32:33], v[4:5]
.LBB4_2484:                             ;   in Loop: Header=BB4_49 Depth=1
	s_or_b64 exec, exec, s[22:23]
	v_mov_b32_e32 v1, v8
.LBB4_2485:                             ;   in Loop: Header=BB4_49 Depth=1
	s_or_b64 exec, exec, s[54:55]
	s_and_saveexec_b64 s[24:25], s[52:53]
	s_cbranch_execz .LBB4_48
; %bb.2486:                             ;   in Loop: Header=BB4_49 Depth=1
	v_and_b32_e32 v2, 12, v62
	v_cmp_ne_u32_e32 vcc, 0, v2
	s_mov_b64 s[26:27], -1
	s_and_saveexec_b64 s[22:23], vcc
	s_cbranch_execz .LBB4_2498
; %bb.2487:                             ;   in Loop: Header=BB4_49 Depth=1
	v_and_b32_e32 v2, 8, v62
	v_mov_b32_e32 v14, v8
	v_add_co_u32_e32 v4, vcc, v36, v2
	v_accvgpr_read_b32 v6, a12
	v_addc_co_u32_e32 v5, vcc, 0, v37, vcc
	v_accvgpr_read_b32 v8, a14
	v_accvgpr_read_b32 v9, a15
	v_add_co_u32_e32 v10, vcc, 1, v8
	v_addc_co_u32_e32 v11, vcc, 0, v9, vcc
	v_cmp_lt_u64_e32 vcc, v[4:5], v[10:11]
	v_mov_b32_e32 v3, 1
	v_accvgpr_read_b32 v7, a13
	s_and_saveexec_b64 s[26:27], vcc
	s_cbranch_execz .LBB4_2497
; %bb.2488:                             ;   in Loop: Header=BB4_49 Depth=1
	s_mov_b64 s[52:53], 0
	v_mov_b32_e32 v3, 0
                                        ; implicit-def: $sgpr54_sgpr55
	s_branch .LBB4_2492
.LBB4_2489:                             ;   in Loop: Header=BB4_2492 Depth=2
	s_or_b64 exec, exec, s[62:63]
	v_mov_b32_e32 v12, 0
	s_orn2_b64 s[60:61], s[60:61], exec
.LBB4_2490:                             ;   in Loop: Header=BB4_2492 Depth=2
	s_or_b64 exec, exec, s[58:59]
	s_andn2_b64 vcc, s[54:55], exec
	s_and_b64 s[54:55], s[60:61], exec
	s_or_b64 s[54:55], vcc, s[54:55]
	v_mov_b32_e32 v3, v12
.LBB4_2491:                             ;   in Loop: Header=BB4_2492 Depth=2
	s_or_b64 exec, exec, s[56:57]
	s_waitcnt vmcnt(0) lgkmcnt(0)
	v_add_co_u32_e32 v4, vcc, v36, v2
	v_addc_co_u32_e32 v5, vcc, 0, v37, vcc
	v_cmp_ge_u64_e32 vcc, v[4:5], v[10:11]
	s_xor_b64 s[56:57], s[54:55], -1
	s_or_b64 vcc, s[56:57], vcc
	s_and_b64 vcc, exec, vcc
	s_or_b64 s[52:53], vcc, s[52:53]
	s_andn2_b64 exec, exec, s[52:53]
	s_cbranch_execz .LBB4_2496
.LBB4_2492:                             ;   Parent Loop BB4_49 Depth=1
                                        ; =>  This Inner Loop Header: Depth=2
	s_sleep 1
	flat_load_dwordx2 v[36:37], v[32:33] glc
	v_and_b32_e32 v4, 64, v62
	v_cmp_eq_u32_e32 vcc, 0, v4
	s_andn2_b64 s[54:55], s[54:55], exec
	s_and_saveexec_b64 s[56:57], vcc
	s_cbranch_execz .LBB4_2491
; %bb.2493:                             ;   in Loop: Header=BB4_2492 Depth=2
	v_add_u32_e32 v12, 1, v3
	v_cmp_lt_i32_e32 vcc, s73, v3
	s_mov_b64 s[60:61], -1
	s_and_saveexec_b64 s[58:59], vcc
	s_cbranch_execz .LBB4_2490
; %bb.2494:                             ;   in Loop: Header=BB4_2492 Depth=2
	s_trap 2
	ds_read_b64 v[4:5], v0
	s_waitcnt vmcnt(0) lgkmcnt(0)
	flat_load_dword v3, v[4:5] glc
	s_waitcnt vmcnt(0) lgkmcnt(0)
	buffer_invl2
	buffer_wbinvl1_vol
	v_cmp_ne_u32_e32 vcc, 0, v3
	s_and_saveexec_b64 s[62:63], vcc
	s_cbranch_execz .LBB4_2489
; %bb.2495:                             ;   in Loop: Header=BB4_2492 Depth=2
	v_or_b32_e32 v62, 64, v62
	s_xor_b64 s[60:61], exec, -1
	ds_write_b32 v0, v3
	s_trap 2
	s_branch .LBB4_2489
.LBB4_2496:                             ;   in Loop: Header=BB4_49 Depth=1
	s_or_b64 exec, exec, s[52:53]
	v_and_b32_e32 v3, 12, v62
.LBB4_2497:                             ;   in Loop: Header=BB4_49 Depth=1
	s_or_b64 exec, exec, s[26:27]
	v_cmp_eq_u32_e32 vcc, 0, v3
	s_orn2_b64 s[26:27], vcc, exec
	v_mov_b32_e32 v8, v14
	;;#ASMSTART
	s_wakeup
	;;#ASMEND
.LBB4_2498:                             ;   in Loop: Header=BB4_49 Depth=1
	s_or_b64 exec, exec, s[22:23]
	v_accvgpr_read_b32 v2, a40
	v_sub_u32_e32 v1, v2, v1
	s_xor_b64 s[22:23], s[26:27], -1
	v_min_i32_e32 v2, v8, v1
	s_and_saveexec_b64 s[26:27], s[22:23]
	s_cbranch_execz .LBB4_2510
; %bb.2499:                             ;   in Loop: Header=BB4_49 Depth=1
	v_accvgpr_read_b32 v4, a12
	v_and_b32_e32 v1, 0x108, v62
	v_accvgpr_read_b32 v6, a14
	v_cmp_ne_u32_e32 vcc, s74, v1
	v_and_b32_e32 v10, 7, v6
	v_accvgpr_read_b32 v5, a13
	v_accvgpr_read_b32 v7, a15
	s_and_saveexec_b64 s[22:23], vcc
	s_xor_b64 s[22:23], exec, s[22:23]
	s_andn2_saveexec_b64 s[22:23], s[22:23]
	s_cbranch_execz .LBB4_2501
; %bb.2500:                             ;   in Loop: Header=BB4_49 Depth=1
	v_accvgpr_read_b32 v4, a12
	v_accvgpr_read_b32 v5, a13
	v_mad_u64_u32 v[4:5], vcc, v10, 24, v[4:5]
	v_ashrrev_i32_e32 v3, 31, v2
	v_accvgpr_read_b32 v6, a14
	v_accvgpr_read_b32 v7, a15
	flat_store_dwordx2 v[4:5], v[2:3] offset:8
.LBB4_2501:                             ;   in Loop: Header=BB4_49 Depth=1
	s_or_b64 exec, exec, s[22:23]
	v_and_b32_e32 v1, 0x100, v62
	v_cmp_ne_u32_e32 vcc, 0, v1
	s_mov_b64 s[22:23], -1
                                        ; implicit-def: $vgpr12_vgpr13
	s_and_saveexec_b64 s[52:53], vcc
	s_cbranch_execz .LBB4_2505
; %bb.2502:                             ;   in Loop: Header=BB4_49 Depth=1
	v_accvgpr_read_b32 v4, a12
	v_accvgpr_read_b32 v5, a13
	v_mad_u64_u32 v[14:15], s[22:23], v10, 24, v[4:5]
	v_mov_b32_e32 v4, v15
	v_mad_u64_u32 v[4:5], s[22:23], v55, 24, v[4:5]
	v_mov_b32_e32 v15, v4
	flat_load_dword v1, v[14:15]
	v_accvgpr_read_b32 v6, a14
	v_accvgpr_read_b32 v7, a15
                                        ; implicit-def: $vgpr12_vgpr13
	s_waitcnt vmcnt(0) lgkmcnt(0)
	v_cmp_ne_u32_e32 vcc, 1, v1
	v_cmp_eq_u32_e64 s[22:23], 1, v1
	s_and_saveexec_b64 s[54:55], s[22:23]
	s_cbranch_execz .LBB4_2504
; %bb.2503:                             ;   in Loop: Header=BB4_49 Depth=1
	flat_load_dword v12, v[14:15] offset:4 glc
	s_waitcnt vmcnt(0) lgkmcnt(0)
	v_ashrrev_i32_e32 v13, 31, v12
.LBB4_2504:                             ;   in Loop: Header=BB4_49 Depth=1
	s_or_b64 exec, exec, s[54:55]
	s_orn2_b64 s[22:23], vcc, exec
.LBB4_2505:                             ;   in Loop: Header=BB4_49 Depth=1
	s_or_b64 exec, exec, s[52:53]
	s_and_saveexec_b64 vcc, s[22:23]
; %bb.2506:                             ;   in Loop: Header=BB4_49 Depth=1
	v_accvgpr_read_b32 v4, a16
	v_accvgpr_read_b32 v3, a3
	v_mul_lo_u32 v1, v55, v4
	v_mul_lo_u32 v3, v10, v3
	v_mad_u64_u32 v[12:13], s[22:23], v10, v4, 0
	v_add3_u32 v13, v13, v3, v1
; %bb.2507:                             ;   in Loop: Header=BB4_49 Depth=1
	s_or_b64 exec, exec, vcc
	v_accvgpr_read_b32 v4, a18
	v_accvgpr_read_b32 v5, a19
	v_add_co_u32_e32 v4, vcc, v4, v12
	v_addc_co_u32_e32 v5, vcc, v5, v13, vcc
	v_and_b32_e32 v1, 0x2000, v62
	v_cmp_ne_u32_e32 vcc, 0, v1
	s_trap 2
	ds_write_b64 v0, v[4:5]
	s_and_saveexec_b64 s[22:23], vcc
	s_cbranch_execz .LBB4_2509
; %bb.2508:                             ;   in Loop: Header=BB4_49 Depth=1
	ds_read_b64 v[4:5], v0 offset:584
	s_waitcnt lgkmcnt(0)
	v_add_co_u32_e32 v4, vcc, 1, v4
	v_addc_co_u32_e32 v5, vcc, 0, v5, vcc
	ds_write_b64 v0, v[4:5] offset:584
.LBB4_2509:                             ;   in Loop: Header=BB4_49 Depth=1
	s_or_b64 exec, exec, s[22:23]
	v_accvgpr_read_b32 v4, a12
	v_accvgpr_read_b32 v6, a14
	;; [unrolled: 1-line block ×3, first 2 shown]
	v_add_co_u32_e32 v6, vcc, 1, v6
	v_addc_co_u32_e32 v7, vcc, 0, v7, vcc
	v_accvgpr_read_b32 v5, a13
	v_accvgpr_write_b32 a15, v7
	v_accvgpr_write_b32 a14, v6
	;; [unrolled: 1-line block ×4, first 2 shown]
.LBB4_2510:                             ;   in Loop: Header=BB4_49 Depth=1
	s_or_b64 exec, exec, s[26:27]
	s_and_saveexec_b64 s[22:23], s[12:13]
	s_cbranch_execz .LBB4_2529
; %bb.2511:                             ;   in Loop: Header=BB4_49 Depth=1
	s_and_saveexec_b64 s[26:27], s[38:39]
	s_xor_b64 s[26:27], exec, s[26:27]
	s_cbranch_execz .LBB4_2526
; %bb.2512:                             ;   in Loop: Header=BB4_49 Depth=1
	s_and_saveexec_b64 s[52:53], s[14:15]
	s_cbranch_execz .LBB4_2525
; %bb.2513:                             ;   in Loop: Header=BB4_49 Depth=1
	s_mov_b64 s[56:57], exec
	v_mbcnt_lo_u32_b32 v1, s56, 0
	v_mbcnt_hi_u32_b32 v1, s57, v1
	v_cmp_eq_u32_e32 vcc, 0, v1
	s_waitcnt vmcnt(0) lgkmcnt(0)
	buffer_wbinvl1_vol
	s_and_saveexec_b64 s[54:55], vcc
	s_cbranch_execz .LBB4_2515
; %bb.2514:                             ;   in Loop: Header=BB4_49 Depth=1
	s_bcnt1_i32_b64 vcc_lo, s[56:57]
	v_mov_b32_e32 v54, vcc_lo
	ds_add_u64 v0, v[54:55]
	s_trap 2
.LBB4_2515:                             ;   in Loop: Header=BB4_49 Depth=1
	s_or_b64 exec, exec, s[54:55]
	s_trap 2
	ds_read_b64 v[4:5], v0
	v_add_co_u32_e32 v16, vcc, v16, v42
	v_addc_co_u32_e32 v17, vcc, 0, v17, vcc
	s_waitcnt lgkmcnt(0)
	v_cmp_lt_u64_e32 vcc, v[4:5], v[16:17]
	s_and_saveexec_b64 s[54:55], vcc
	s_cbranch_execz .LBB4_2524
; %bb.2516:                             ;   in Loop: Header=BB4_49 Depth=1
	s_mov_b32 s66, 0
	s_mov_b64 s[56:57], 0
                                        ; implicit-def: $sgpr58_sgpr59
                                        ; implicit-def: $sgpr60_sgpr61
	s_branch .LBB4_2518
.LBB4_2517:                             ;   in Loop: Header=BB4_2518 Depth=2
	s_or_b64 exec, exec, s[64:65]
	s_and_b64 vcc, exec, vcc
	s_or_b64 s[56:57], vcc, s[56:57]
	s_andn2_b64 vcc, s[58:59], exec
	s_and_b64 s[58:59], s[60:61], exec
	s_or_b64 s[58:59], vcc, s[58:59]
	s_andn2_b64 exec, exec, s[56:57]
	s_cbranch_execz .LBB4_2522
.LBB4_2518:                             ;   Parent Loop BB4_49 Depth=1
                                        ; =>  This Inner Loop Header: Depth=2
	s_add_i32 s66, s66, 1
	s_cmpk_lg_i32 s66, 0x2710
	s_cselect_b64 s[62:63], -1, 0
	s_and_b64 vcc, exec, s[62:63]
                                        ; implicit-def: $sgpr64_sgpr65
	s_cbranch_vccnz .LBB4_2520
; %bb.2519:                             ;   in Loop: Header=BB4_2518 Depth=2
	s_trap 2
	ds_read_b64 v[4:5], v0
	s_andn2_b64 s[62:63], s[62:63], exec
	s_mov_b32 s66, 0
	s_mov_b64 s[64:65], -1
	s_waitcnt lgkmcnt(0)
	flat_load_dword v1, v[4:5] glc
	s_waitcnt vmcnt(0) lgkmcnt(0)
	buffer_invl2
	buffer_wbinvl1_vol
	v_cmp_eq_u32_e32 vcc, 0, v1
	s_and_b64 vcc, vcc, exec
	s_or_b64 s[62:63], s[62:63], vcc
.LBB4_2520:                             ;   in Loop: Header=BB4_2518 Depth=2
	s_andn2_b64 s[60:61], s[60:61], exec
	s_and_b64 s[64:65], s[64:65], exec
	s_mov_b64 vcc, -1
	s_or_b64 s[60:61], s[60:61], s[64:65]
	s_and_saveexec_b64 s[64:65], s[62:63]
	s_cbranch_execz .LBB4_2517
; %bb.2521:                             ;   in Loop: Header=BB4_2518 Depth=2
	s_sleep 1
	s_trap 2
	ds_read_b64 v[4:5], v0
	s_andn2_b64 s[60:61], s[60:61], exec
	s_waitcnt lgkmcnt(0)
	v_cmp_ge_u64_e32 vcc, v[4:5], v[16:17]
	s_orn2_b64 vcc, vcc, exec
	s_branch .LBB4_2517
.LBB4_2522:                             ;   in Loop: Header=BB4_49 Depth=1
	s_or_b64 exec, exec, s[56:57]
	s_and_saveexec_b64 vcc, s[58:59]
	s_xor_b64 vcc, exec, vcc
	s_cbranch_execz .LBB4_2524
; %bb.2523:                             ;   in Loop: Header=BB4_49 Depth=1
	ds_write_b32 v0, v18
	s_trap 2
.LBB4_2524:                             ;   in Loop: Header=BB4_49 Depth=1
	s_or_b64 exec, exec, s[54:55]
	;;#ASMSTART
	s_wakeup
	;;#ASMEND
.LBB4_2525:                             ;   in Loop: Header=BB4_49 Depth=1
	s_or_b64 exec, exec, s[52:53]
.LBB4_2526:                             ;   in Loop: Header=BB4_49 Depth=1
	s_andn2_saveexec_b64 s[26:27], s[26:27]
	s_cbranch_execz .LBB4_2528
; %bb.2527:                             ;   in Loop: Header=BB4_49 Depth=1
	s_waitcnt vmcnt(0) lgkmcnt(0)
	buffer_wbinvl1_vol
	s_barrier
.LBB4_2528:                             ;   in Loop: Header=BB4_49 Depth=1
	s_or_b64 exec, exec, s[26:27]
.LBB4_2529:                             ;   in Loop: Header=BB4_49 Depth=1
	s_or_b64 exec, exec, s[22:23]
	s_trap 2
	ds_read_b32 v3, v0
	v_cmp_lt_i32_e32 vcc, 0, v2
	v_and_b32_e32 v1, 16, v62
	s_waitcnt lgkmcnt(0)
	v_readfirstlane_b32 s22, v3
	s_cmp_eq_u32 s22, 0
	s_cselect_b64 s[22:23], -1, 0
	s_and_b64 s[22:23], vcc, s[22:23]
	v_cmp_ne_u32_e32 vcc, 0, v1
	s_and_b64 s[26:27], vcc, s[22:23]
	s_and_saveexec_b64 s[22:23], s[26:27]
	s_cbranch_execz .LBB4_2531
; %bb.2530:                             ;   in Loop: Header=BB4_49 Depth=1
	s_waitcnt vmcnt(0)
	buffer_wbinvl1_vol
.LBB4_2531:                             ;   in Loop: Header=BB4_49 Depth=1
	s_or_b64 exec, exec, s[22:23]
	v_cmp_ne_u32_e32 vcc, 0, v1
	s_xor_b64 s[22:23], s[20:21], -1
	s_and_b64 s[26:27], vcc, s[22:23]
	s_and_saveexec_b64 s[22:23], s[26:27]
	s_cbranch_execz .LBB4_2533
; %bb.2532:                             ;   in Loop: Header=BB4_49 Depth=1
	flat_store_dword v[60:61], v18
.LBB4_2533:                             ;   in Loop: Header=BB4_49 Depth=1
	s_or_b64 exec, exec, s[22:23]
	v_and_b32_e32 v1, 48, v62
	v_cmp_ne_u32_e32 vcc, 0, v1
	s_and_saveexec_b64 s[22:23], vcc
	s_cbranch_execz .LBB4_47
; %bb.2534:                             ;   in Loop: Header=BB4_49 Depth=1
	v_accvgpr_read_b32 v2, a12
	v_accvgpr_read_b32 v4, a14
	;; [unrolled: 1-line block ×3, first 2 shown]
	v_add_co_u32_e32 v4, vcc, 1, v4
	v_addc_co_u32_e32 v5, vcc, 0, v5, vcc
	v_accvgpr_read_b32 v3, a13
	v_accvgpr_write_b32 a15, v5
	v_accvgpr_write_b32 a14, v4
	;; [unrolled: 1-line block ×4, first 2 shown]
	flat_store_dwordx2 v[32:33], v[4:5]
	s_branch .LBB4_47
.LBB4_2535:
	s_or_b64 exec, exec, s[40:41]
	v_accvgpr_read_b32 v45, a11
	v_accvgpr_read_b32 v55, a15
	v_accvgpr_read_b32 v44, a10
	v_accvgpr_read_b32 v54, a14
	v_accvgpr_read_b32 v53, a13
	v_accvgpr_read_b32 v52, a12
.LBB4_2536:
	s_or_b64 exec, exec, s[36:37]
                                        ; implicit-def: $vgpr38_vgpr39
                                        ; implicit-def: $vgpr40_vgpr41
                                        ; implicit-def: $agpr16
                                        ; implicit-def: $vgpr36_vgpr37
                                        ; implicit-def: $agpr18_agpr19
                                        ; implicit-def: $vgpr32_vgpr33
                                        ; implicit-def: $vgpr58
                                        ; implicit-def: $vgpr1
                                        ; implicit-def: $vgpr20_vgpr21
.LBB4_2537:
	s_andn2_saveexec_b64 s[24:25], s[34:35]
	s_cbranch_execz .LBB4_5022
; %bb.2538:
	v_pk_mov_b32 v[16:17], 0, 0
	s_and_saveexec_b64 s[26:27], s[6:7]
	s_cbranch_execz .LBB4_5021
; %bb.2539:
	v_and_b32_e32 v0, 63, v47
	v_cmp_eq_u32_e64 s[12:13], 0, v0
	v_ashrrev_i32_e32 v0, 31, v58
	v_lshrrev_b32_e32 v0, 26, v0
	s_waitcnt lgkmcnt(0)
	v_accvgpr_write_b32 a12, v52
	v_add_u32_e32 v0, v58, v0
	v_accvgpr_write_b32 a13, v53
	v_accvgpr_write_b32 a14, v54
	;; [unrolled: 1-line block ×3, first 2 shown]
	v_ashrrev_i32_e32 v55, 6, v0
	v_and_b32_e32 v0, 0xffffffc0, v0
	v_sub_u32_e32 v2, v58, v0
	v_lshlrev_b32_e32 v0, 11, v55
	v_lshl_add_u32 v0, v2, 4, v0
	v_lshrrev_b32_e32 v60, 6, v46
	v_cmp_le_i32_e64 s[14:15], v2, v1
	v_accvgpr_write_b32 a26, v0
	v_ashrrev_i32_e32 v1, 31, v0
	v_mov_b32_e32 v0, 0xfffff800
	v_lshl_add_u32 v0, v60, 11, v0
	s_movk_i32 s18, 0x800
	v_accvgpr_write_b32 a27, v1
	v_ashrrev_i32_e32 v1, 31, v0
	v_add_co_u32_e64 v0, s[18:19], s18, v0
	v_accvgpr_write_b32 a28, v0
	v_addc_co_u32_e64 v0, s[18:19], 0, v1, s[18:19]
	v_lshlrev_b32_e32 v57, 10, v60
	v_accvgpr_write_b32 a29, v0
	v_add_u32_e32 v0, 0xfffffc00, v57
	s_movk_i32 s18, 0x400
	v_ashrrev_i32_e32 v1, 31, v0
	v_add_co_u32_e64 v59, s[18:19], s18, v0
	v_addc_co_u32_e64 v0, s[18:19], 0, v1, s[18:19]
	v_accvgpr_write_b32 a32, v0
	v_mov_b32_e32 v0, 0xfffffe00
	v_lshl_add_u32 v0, v60, 9, v0
	s_movk_i32 s18, 0x200
	v_ashrrev_i32_e32 v1, 31, v0
	v_add_co_u32_e64 v0, s[18:19], s18, v0
	s_ashr_i32 s6, s70, 31
	v_accvgpr_write_b32 a33, v0
	v_addc_co_u32_e64 v0, s[18:19], 0, v1, s[18:19]
	s_lshr_b32 s6, s6, 24
	v_accvgpr_write_b32 a34, v0
	v_and_b32_e32 v0, 0xffffffc0, v46
	s_add_i32 s6, s70, s6
	v_cmp_eq_u32_e32 vcc, 64, v46
	v_ashrrev_i32_e32 v1, 31, v0
	v_pk_mov_b32 v[42:43], 0, 0
	s_mov_b32 s44, -1
	s_ashr_i32 s66, s6, 8
	v_cmp_ge_i32_e64 s[6:7], v58, v46
	v_cmp_ne_u32_e64 s[10:11], 64, v46
	v_cmp_ne_u32_sdwa s[34:35], v56, v46 src0_sel:WORD_0 src1_sel:DWORD
	v_mov_b32_e32 v53, 0
	s_movk_i32 s67, 0xffc0
	v_cmp_gt_i32_e64 s[16:17], 1, v2
	v_accvgpr_write_b32 a25, v2
	v_accvgpr_write_b32 a36, v0
	;; [unrolled: 1-line block ×3, first 2 shown]
	s_mov_b64 s[36:37], 0
	s_movk_i32 s68, 0x270e
	s_xor_b64 s[38:39], vcc, -1
	s_movk_i32 s69, 0x80
	s_movk_i32 s71, 0x7f
	s_brev_b32 s72, 1
	s_mov_b64 s[40:41], 0x7f800000
	s_mov_b64 s[42:43], 0x43e00001
	s_movk_i32 s73, 0x7a
	s_mov_b32 s45, 0xffffff
	s_mov_b64 s[46:47], 0xffffff
	s_mov_b32 s74, 0xc0c0500
	v_bfrev_b32_e32 v51, 60
	v_pk_mov_b32 v[16:17], v[42:43], v[42:43] op_sel:[0,1]
	s_trap 2
	s_branch .LBB4_2542
.LBB4_2540:                             ;   in Loop: Header=BB4_2542 Depth=1
	s_or_b64 exec, exec, s[18:19]
.LBB4_2541:                             ;   in Loop: Header=BB4_2542 Depth=1
	s_or_b64 exec, exec, s[20:21]
	v_add_co_u32_e32 v42, vcc, v42, v20
	v_accvgpr_read_b32 v41, a5
	v_addc_co_u32_e32 v43, vcc, 0, v43, vcc
	v_accvgpr_read_b32 v40, a4
	v_cmp_ge_u64_e32 vcc, v[42:43], v[40:41]
	s_or_b64 s[36:37], vcc, s[36:37]
	s_andn2_b64 exec, exec, s[36:37]
	s_cbranch_execz .LBB4_5020
.LBB4_2542:                             ; =>This Loop Header: Depth=1
                                        ;     Child Loop BB4_2553 Depth 2
                                        ;     Child Loop BB4_2575 Depth 2
	;; [unrolled: 1-line block ×10, first 2 shown]
	v_sub_co_u32_e32 v0, vcc, v40, v42
	v_subb_co_u32_e32 v1, vcc, v41, v43, vcc
	v_cmp_lt_u64_e32 vcc, v[20:21], v[0:1]
	v_cndmask_b32_e64 v3, v1, 0, vcc
	v_cndmask_b32_e32 v2, v0, v20, vcc
	v_add_u32_e32 v0, 15, v2
	v_cmp_eq_u64_e32 vcc, 0, v[2:3]
	v_accvgpr_write_b32 a4, v40
	v_and_b32_e32 v0, 0x7ffffff0, v0
	s_or_b64 s[48:49], s[6:7], vcc
	v_accvgpr_write_b32 a5, v41
	v_max_i32_e32 v8, s66, v0
	v_accvgpr_write_b32 a38, v2
	s_xor_b64 s[18:19], s[48:49], -1
	v_mov_b32_e32 v0, v53
	s_and_saveexec_b64 s[50:51], s[18:19]
	s_cbranch_execz .LBB4_4974
; %bb.2543:                             ;   in Loop: Header=BB4_2542 Depth=1
	s_and_saveexec_b64 s[18:19], s[4:5]
	s_cbranch_execz .LBB4_2545
; %bb.2544:                             ;   in Loop: Header=BB4_2542 Depth=1
	s_trap 2
	ds_read2_b64 v[0:3], v0 offset1:1
	v_add_co_u32_e32 v6, vcc, v42, v38
	v_addc_co_u32_e32 v7, vcc, v43, v39, vcc
	s_waitcnt lgkmcnt(0)
	ds_read_b64 v[4:5], v0
	v_add_co_u32_e32 v0, vcc, v0, v6
	v_addc_co_u32_e32 v1, vcc, v1, v7, vcc
	ds_write_b64 v0, v[0:1]
	v_add_co_u32_e32 v0, vcc, v2, v6
	v_addc_co_u32_e32 v1, vcc, v3, v7, vcc
	ds_write_b64 v0, v[0:1]
	s_waitcnt lgkmcnt(0)
	v_add_co_u32_e32 v0, vcc, v4, v6
	v_addc_co_u32_e32 v1, vcc, v5, v7, vcc
	v_cmp_ne_u64_e32 vcc, 0, v[4:5]
	v_cndmask_b32_e32 v1, 0, v1, vcc
	v_cndmask_b32_e32 v0, 0, v0, vcc
	ds_write_b64 v0, v[0:1]
.LBB4_2545:                             ;   in Loop: Header=BB4_2542 Depth=1
	s_or_b64 exec, exec, s[18:19]
	v_and_b32_e32 v0, 4, v62
	v_cmp_ne_u32_e32 vcc, 0, v0
	s_mov_b64 s[20:21], -1
	s_and_saveexec_b64 s[18:19], vcc
	s_cbranch_execnz .LBB4_2548
; %bb.2546:                             ;   in Loop: Header=BB4_2542 Depth=1
	s_or_b64 exec, exec, s[18:19]
	s_xor_b64 s[18:19], s[20:21], -1
	s_and_saveexec_b64 s[20:21], s[18:19]
	s_cbranch_execnz .LBB4_2559
.LBB4_2547:                             ;   in Loop: Header=BB4_2542 Depth=1
	s_or_b64 exec, exec, s[20:21]
	s_and_saveexec_b64 s[18:19], s[10:11]
	s_cbranch_execnz .LBB4_2568
	s_branch .LBB4_2586
.LBB4_2548:                             ;   in Loop: Header=BB4_2542 Depth=1
	v_accvgpr_read_b32 v0, a12
	v_accvgpr_read_b32 v2, a14
	;; [unrolled: 1-line block ×3, first 2 shown]
	v_add_co_u32_e32 v2, vcc, 1, v2
	v_addc_co_u32_e32 v3, vcc, 0, v3, vcc
	v_cmp_lt_u64_e32 vcc, v[36:37], v[2:3]
	v_mov_b32_e32 v0, 1
	v_accvgpr_read_b32 v1, a13
	s_and_saveexec_b64 s[20:21], vcc
	s_cbranch_execz .LBB4_2558
; %bb.2549:                             ;   in Loop: Header=BB4_2542 Depth=1
	s_mov_b64 s[22:23], 0
	v_mov_b32_e32 v0, 0
                                        ; implicit-def: $sgpr52_sgpr53
	s_branch .LBB4_2553
.LBB4_2550:                             ;   in Loop: Header=BB4_2553 Depth=2
	s_or_b64 exec, exec, s[60:61]
	v_mov_b32_e32 v1, 0
	s_orn2_b64 s[58:59], s[58:59], exec
.LBB4_2551:                             ;   in Loop: Header=BB4_2553 Depth=2
	s_or_b64 exec, exec, s[56:57]
	s_andn2_b64 vcc, s[52:53], exec
	s_and_b64 s[52:53], s[58:59], exec
	s_or_b64 s[52:53], vcc, s[52:53]
	v_mov_b32_e32 v0, v1
.LBB4_2552:                             ;   in Loop: Header=BB4_2553 Depth=2
	s_or_b64 exec, exec, s[54:55]
	s_waitcnt vmcnt(0) lgkmcnt(0)
	v_cmp_ge_u64_e32 vcc, v[36:37], v[2:3]
	s_xor_b64 s[54:55], s[52:53], -1
	s_or_b64 vcc, s[54:55], vcc
	s_and_b64 vcc, exec, vcc
	s_or_b64 s[22:23], vcc, s[22:23]
	s_andn2_b64 exec, exec, s[22:23]
	s_cbranch_execz .LBB4_2557
.LBB4_2553:                             ;   Parent Loop BB4_2542 Depth=1
                                        ; =>  This Inner Loop Header: Depth=2
	s_sleep 1
	flat_load_dwordx2 v[36:37], v[32:33] glc
	v_and_b32_e32 v1, 64, v62
	v_cmp_eq_u32_e32 vcc, 0, v1
	s_andn2_b64 s[52:53], s[52:53], exec
	s_and_saveexec_b64 s[54:55], vcc
	s_cbranch_execz .LBB4_2552
; %bb.2554:                             ;   in Loop: Header=BB4_2553 Depth=2
	v_add_u32_e32 v1, 1, v0
	v_cmp_lt_i32_e32 vcc, s68, v0
	s_mov_b64 s[58:59], -1
	s_and_saveexec_b64 s[56:57], vcc
	s_cbranch_execz .LBB4_2551
; %bb.2555:                             ;   in Loop: Header=BB4_2553 Depth=2
	s_trap 2
	ds_read_b64 v[0:1], v0
	s_waitcnt vmcnt(0) lgkmcnt(0)
	flat_load_dword v0, v[0:1] glc
	s_waitcnt vmcnt(0) lgkmcnt(0)
	buffer_invl2
	buffer_wbinvl1_vol
	v_cmp_ne_u32_e32 vcc, 0, v0
	s_and_saveexec_b64 s[60:61], vcc
	s_cbranch_execz .LBB4_2550
; %bb.2556:                             ;   in Loop: Header=BB4_2553 Depth=2
	v_or_b32_e32 v62, 64, v62
	s_xor_b64 s[58:59], exec, -1
	ds_write_b32 v0, v0
	s_trap 2
	s_branch .LBB4_2550
.LBB4_2557:                             ;   in Loop: Header=BB4_2542 Depth=1
	s_or_b64 exec, exec, s[22:23]
	v_and_b32_e32 v0, 4, v62
.LBB4_2558:                             ;   in Loop: Header=BB4_2542 Depth=1
	s_or_b64 exec, exec, s[20:21]
	v_cmp_eq_u32_e32 vcc, 0, v0
	s_orn2_b64 s[20:21], vcc, exec
	;;#ASMSTART
	s_wakeup
	;;#ASMEND
	s_or_b64 exec, exec, s[18:19]
	s_xor_b64 s[18:19], s[20:21], -1
	s_and_saveexec_b64 s[20:21], s[18:19]
	s_cbranch_execz .LBB4_2547
.LBB4_2559:                             ;   in Loop: Header=BB4_2542 Depth=1
	v_and_b32_e32 v0, 0x100, v62
	v_cmp_ne_u32_e32 vcc, 0, v0
	v_accvgpr_read_b32 v0, a12
	v_accvgpr_read_b32 v2, a14
	;; [unrolled: 1-line block ×3, first 2 shown]
	v_and_b32_e32 v0, 7, v2
	s_mov_b64 s[18:19], -1
	v_accvgpr_read_b32 v1, a13
                                        ; implicit-def: $vgpr2_vgpr3
	s_and_saveexec_b64 s[22:23], vcc
	s_cbranch_execz .LBB4_2563
; %bb.2560:                             ;   in Loop: Header=BB4_2542 Depth=1
	v_accvgpr_read_b32 v2, a12
	v_accvgpr_read_b32 v3, a13
	v_mad_u64_u32 v[10:11], s[18:19], v0, 24, v[2:3]
	flat_load_dword v1, v[10:11]
	v_accvgpr_read_b32 v4, a14
	v_accvgpr_read_b32 v5, a15
                                        ; implicit-def: $vgpr2_vgpr3
	s_waitcnt vmcnt(0) lgkmcnt(0)
	v_cmp_ne_u32_e32 vcc, 1, v1
	v_cmp_eq_u32_e64 s[18:19], 1, v1
	s_and_saveexec_b64 s[52:53], s[18:19]
	s_cbranch_execz .LBB4_2562
; %bb.2561:                             ;   in Loop: Header=BB4_2542 Depth=1
	flat_load_dword v2, v[10:11] offset:4 glc
	s_waitcnt vmcnt(0) lgkmcnt(0)
	v_ashrrev_i32_e32 v3, 31, v2
.LBB4_2562:                             ;   in Loop: Header=BB4_2542 Depth=1
	s_or_b64 exec, exec, s[52:53]
	s_orn2_b64 s[18:19], vcc, exec
.LBB4_2563:                             ;   in Loop: Header=BB4_2542 Depth=1
	s_or_b64 exec, exec, s[22:23]
	s_and_saveexec_b64 s[22:23], s[18:19]
; %bb.2564:                             ;   in Loop: Header=BB4_2542 Depth=1
	v_accvgpr_read_b32 v2, a16
	v_mad_i64_i32 v[2:3], s[18:19], v0, v2, 0
; %bb.2565:                             ;   in Loop: Header=BB4_2542 Depth=1
	s_or_b64 exec, exec, s[22:23]
	v_accvgpr_read_b32 v0, a18
	v_accvgpr_read_b32 v1, a19
	v_add_co_u32_e32 v0, vcc, v0, v2
	v_addc_co_u32_e32 v1, vcc, v1, v3, vcc
	ds_write_b64 v0, v[0:1] offset:728
	v_and_b32_e32 v0, 0x2000, v62
	v_cmp_ne_u32_e32 vcc, 0, v0
	s_and_saveexec_b64 s[18:19], vcc
	s_cbranch_execz .LBB4_2567
; %bb.2566:                             ;   in Loop: Header=BB4_2542 Depth=1
	ds_read_b64 v[0:1], v0 offset:584
	s_waitcnt lgkmcnt(0)
	v_add_co_u32_e32 v0, vcc, 1, v0
	v_addc_co_u32_e32 v1, vcc, 0, v1, vcc
	ds_write_b64 v0, v[0:1] offset:584
.LBB4_2567:                             ;   in Loop: Header=BB4_2542 Depth=1
	s_or_b64 exec, exec, s[18:19]
	v_accvgpr_read_b32 v0, a12
	v_accvgpr_read_b32 v2, a14
	;; [unrolled: 1-line block ×3, first 2 shown]
	v_add_co_u32_e32 v2, vcc, 1, v2
	v_addc_co_u32_e32 v3, vcc, 0, v3, vcc
	v_accvgpr_read_b32 v1, a13
	v_accvgpr_write_b32 a15, v3
	v_accvgpr_write_b32 a14, v2
	;; [unrolled: 1-line block ×4, first 2 shown]
	s_or_b64 exec, exec, s[20:21]
	s_and_saveexec_b64 s[18:19], s[10:11]
	s_cbranch_execz .LBB4_2586
.LBB4_2568:                             ;   in Loop: Header=BB4_2542 Depth=1
	s_and_saveexec_b64 s[20:21], s[34:35]
	s_xor_b64 s[20:21], exec, s[20:21]
	s_cbranch_execz .LBB4_2583
; %bb.2569:                             ;   in Loop: Header=BB4_2542 Depth=1
	s_and_saveexec_b64 s[22:23], s[12:13]
	s_cbranch_execz .LBB4_2582
; %bb.2570:                             ;   in Loop: Header=BB4_2542 Depth=1
	s_mov_b64 s[54:55], exec
	v_mbcnt_lo_u32_b32 v0, s54, 0
	v_mbcnt_hi_u32_b32 v0, s55, v0
	v_cmp_eq_u32_e32 vcc, 0, v0
	s_waitcnt vmcnt(0) lgkmcnt(0)
	buffer_wbinvl1_vol
	s_and_saveexec_b64 s[52:53], vcc
	s_cbranch_execz .LBB4_2572
; %bb.2571:                             ;   in Loop: Header=BB4_2542 Depth=1
	s_bcnt1_i32_b64 vcc_lo, s[54:55]
	v_mov_b32_e32 v52, vcc_lo
	ds_add_u64 v0, v[52:53]
	s_trap 2
.LBB4_2572:                             ;   in Loop: Header=BB4_2542 Depth=1
	s_or_b64 exec, exec, s[52:53]
	s_trap 2
	ds_read_b64 v[0:1], v0
	v_add_co_u32_e32 v16, vcc, v16, v60
	v_addc_co_u32_e32 v17, vcc, 0, v17, vcc
	s_waitcnt lgkmcnt(0)
	v_cmp_lt_u64_e32 vcc, v[0:1], v[16:17]
	s_and_saveexec_b64 s[52:53], vcc
	s_cbranch_execz .LBB4_2581
; %bb.2573:                             ;   in Loop: Header=BB4_2542 Depth=1
	s_mov_b32 s64, 0
	s_mov_b64 s[54:55], 0
                                        ; implicit-def: $sgpr56_sgpr57
                                        ; implicit-def: $sgpr58_sgpr59
	s_branch .LBB4_2575
.LBB4_2574:                             ;   in Loop: Header=BB4_2575 Depth=2
	s_or_b64 exec, exec, s[62:63]
	s_and_b64 vcc, exec, vcc
	s_or_b64 s[54:55], vcc, s[54:55]
	s_andn2_b64 vcc, s[56:57], exec
	s_and_b64 s[56:57], s[58:59], exec
	s_or_b64 s[56:57], vcc, s[56:57]
	s_andn2_b64 exec, exec, s[54:55]
	s_cbranch_execz .LBB4_2579
.LBB4_2575:                             ;   Parent Loop BB4_2542 Depth=1
                                        ; =>  This Inner Loop Header: Depth=2
	s_add_i32 s64, s64, 1
	s_cmpk_lg_i32 s64, 0x2710
	s_cselect_b64 s[60:61], -1, 0
	s_and_b64 vcc, exec, s[60:61]
                                        ; implicit-def: $sgpr62_sgpr63
	s_cbranch_vccnz .LBB4_2577
; %bb.2576:                             ;   in Loop: Header=BB4_2575 Depth=2
	s_trap 2
	ds_read_b64 v[0:1], v0
	s_andn2_b64 s[60:61], s[60:61], exec
	s_mov_b32 s64, 0
	s_mov_b64 s[62:63], -1
	s_waitcnt lgkmcnt(0)
	flat_load_dword v0, v[0:1] glc
	s_waitcnt vmcnt(0) lgkmcnt(0)
	buffer_invl2
	buffer_wbinvl1_vol
	v_cmp_eq_u32_e32 vcc, 0, v0
	s_and_b64 vcc, vcc, exec
	s_or_b64 s[60:61], s[60:61], vcc
.LBB4_2577:                             ;   in Loop: Header=BB4_2575 Depth=2
	s_andn2_b64 s[58:59], s[58:59], exec
	s_and_b64 s[62:63], s[62:63], exec
	s_mov_b64 vcc, -1
	s_or_b64 s[58:59], s[58:59], s[62:63]
	s_and_saveexec_b64 s[62:63], s[60:61]
	s_cbranch_execz .LBB4_2574
; %bb.2578:                             ;   in Loop: Header=BB4_2575 Depth=2
	s_sleep 1
	s_trap 2
	ds_read_b64 v[0:1], v0
	s_andn2_b64 s[58:59], s[58:59], exec
	s_waitcnt lgkmcnt(0)
	v_cmp_ge_u64_e32 vcc, v[0:1], v[16:17]
	s_orn2_b64 vcc, vcc, exec
	s_branch .LBB4_2574
.LBB4_2579:                             ;   in Loop: Header=BB4_2542 Depth=1
	s_or_b64 exec, exec, s[54:55]
	s_and_saveexec_b64 vcc, s[56:57]
	s_xor_b64 vcc, exec, vcc
	s_cbranch_execz .LBB4_2581
; %bb.2580:                             ;   in Loop: Header=BB4_2542 Depth=1
	v_mov_b32_e32 v0, 1
	ds_write_b32 v0, v0
	s_trap 2
.LBB4_2581:                             ;   in Loop: Header=BB4_2542 Depth=1
	s_or_b64 exec, exec, s[52:53]
	;;#ASMSTART
	s_wakeup
	;;#ASMEND
.LBB4_2582:                             ;   in Loop: Header=BB4_2542 Depth=1
	s_or_b64 exec, exec, s[22:23]
.LBB4_2583:                             ;   in Loop: Header=BB4_2542 Depth=1
	s_andn2_saveexec_b64 s[20:21], s[20:21]
	s_cbranch_execz .LBB4_2585
; %bb.2584:                             ;   in Loop: Header=BB4_2542 Depth=1
	s_waitcnt vmcnt(0) lgkmcnt(0)
	buffer_wbinvl1_vol
	s_barrier
.LBB4_2585:                             ;   in Loop: Header=BB4_2542 Depth=1
	s_or_b64 exec, exec, s[20:21]
.LBB4_2586:                             ;   in Loop: Header=BB4_2542 Depth=1
	s_or_b64 exec, exec, s[18:19]
	s_trap 2
	ds_read_b32 v1, v0
	v_and_b32_e32 v0, 0x4000, v62
	v_cmp_ne_u32_e32 vcc, 0, v0
	s_and_b64 s[20:21], s[38:39], vcc
	s_and_saveexec_b64 s[18:19], s[20:21]
	s_cbranch_execz .LBB4_2605
; %bb.2587:                             ;   in Loop: Header=BB4_2542 Depth=1
	s_and_saveexec_b64 s[20:21], s[34:35]
	s_xor_b64 s[20:21], exec, s[20:21]
	s_cbranch_execz .LBB4_2602
; %bb.2588:                             ;   in Loop: Header=BB4_2542 Depth=1
	s_and_saveexec_b64 s[22:23], s[12:13]
	s_cbranch_execz .LBB4_2601
; %bb.2589:                             ;   in Loop: Header=BB4_2542 Depth=1
	s_mov_b64 s[54:55], exec
	v_mbcnt_lo_u32_b32 v0, s54, 0
	v_mbcnt_hi_u32_b32 v0, s55, v0
	v_cmp_eq_u32_e32 vcc, 0, v0
	s_waitcnt vmcnt(0) lgkmcnt(0)
	buffer_wbinvl1_vol
	s_and_saveexec_b64 s[52:53], vcc
	s_cbranch_execz .LBB4_2591
; %bb.2590:                             ;   in Loop: Header=BB4_2542 Depth=1
	s_bcnt1_i32_b64 vcc_lo, s[54:55]
	v_mov_b32_e32 v52, vcc_lo
	ds_add_u64 v0, v[52:53]
	s_trap 2
.LBB4_2591:                             ;   in Loop: Header=BB4_2542 Depth=1
	s_or_b64 exec, exec, s[52:53]
	s_trap 2
	ds_read_b64 v[2:3], v0
	v_add_co_u32_e32 v16, vcc, v16, v60
	v_addc_co_u32_e32 v17, vcc, 0, v17, vcc
	s_waitcnt lgkmcnt(0)
	v_cmp_lt_u64_e32 vcc, v[2:3], v[16:17]
	s_and_saveexec_b64 s[52:53], vcc
	s_cbranch_execz .LBB4_2600
; %bb.2592:                             ;   in Loop: Header=BB4_2542 Depth=1
	s_mov_b32 s64, 0
	s_mov_b64 s[54:55], 0
                                        ; implicit-def: $sgpr56_sgpr57
                                        ; implicit-def: $sgpr58_sgpr59
	s_branch .LBB4_2594
.LBB4_2593:                             ;   in Loop: Header=BB4_2594 Depth=2
	s_or_b64 exec, exec, s[62:63]
	s_and_b64 vcc, exec, vcc
	s_or_b64 s[54:55], vcc, s[54:55]
	s_andn2_b64 vcc, s[56:57], exec
	s_and_b64 s[56:57], s[58:59], exec
	s_or_b64 s[56:57], vcc, s[56:57]
	s_andn2_b64 exec, exec, s[54:55]
	s_cbranch_execz .LBB4_2598
.LBB4_2594:                             ;   Parent Loop BB4_2542 Depth=1
                                        ; =>  This Inner Loop Header: Depth=2
	s_add_i32 s64, s64, 1
	s_cmpk_lg_i32 s64, 0x2710
	s_cselect_b64 s[60:61], -1, 0
	s_and_b64 vcc, exec, s[60:61]
                                        ; implicit-def: $sgpr62_sgpr63
	s_cbranch_vccnz .LBB4_2596
; %bb.2595:                             ;   in Loop: Header=BB4_2594 Depth=2
	s_trap 2
	ds_read_b64 v[2:3], v0
	s_andn2_b64 s[60:61], s[60:61], exec
	s_mov_b32 s64, 0
	s_mov_b64 s[62:63], -1
	s_waitcnt lgkmcnt(0)
	flat_load_dword v0, v[2:3] glc
	s_waitcnt vmcnt(0) lgkmcnt(0)
	buffer_invl2
	buffer_wbinvl1_vol
	v_cmp_eq_u32_e32 vcc, 0, v0
	s_and_b64 vcc, vcc, exec
	s_or_b64 s[60:61], s[60:61], vcc
.LBB4_2596:                             ;   in Loop: Header=BB4_2594 Depth=2
	s_andn2_b64 s[58:59], s[58:59], exec
	s_and_b64 s[62:63], s[62:63], exec
	s_mov_b64 vcc, -1
	s_or_b64 s[58:59], s[58:59], s[62:63]
	s_and_saveexec_b64 s[62:63], s[60:61]
	s_cbranch_execz .LBB4_2593
; %bb.2597:                             ;   in Loop: Header=BB4_2594 Depth=2
	s_sleep 1
	s_trap 2
	ds_read_b64 v[2:3], v0
	s_andn2_b64 s[58:59], s[58:59], exec
	s_waitcnt lgkmcnt(0)
	v_cmp_ge_u64_e32 vcc, v[2:3], v[16:17]
	s_orn2_b64 vcc, vcc, exec
	s_branch .LBB4_2593
.LBB4_2598:                             ;   in Loop: Header=BB4_2542 Depth=1
	s_or_b64 exec, exec, s[54:55]
	s_and_saveexec_b64 vcc, s[56:57]
	s_xor_b64 vcc, exec, vcc
	s_cbranch_execz .LBB4_2600
; %bb.2599:                             ;   in Loop: Header=BB4_2542 Depth=1
	v_mov_b32_e32 v0, 1
	ds_write_b32 v0, v0
	s_trap 2
.LBB4_2600:                             ;   in Loop: Header=BB4_2542 Depth=1
	s_or_b64 exec, exec, s[52:53]
	;;#ASMSTART
	s_wakeup
	;;#ASMEND
.LBB4_2601:                             ;   in Loop: Header=BB4_2542 Depth=1
	s_or_b64 exec, exec, s[22:23]
.LBB4_2602:                             ;   in Loop: Header=BB4_2542 Depth=1
	s_andn2_saveexec_b64 s[20:21], s[20:21]
	s_cbranch_execz .LBB4_2604
; %bb.2603:                             ;   in Loop: Header=BB4_2542 Depth=1
	s_waitcnt vmcnt(0) lgkmcnt(0)
	buffer_wbinvl1_vol
	s_barrier
.LBB4_2604:                             ;   in Loop: Header=BB4_2542 Depth=1
	s_or_b64 exec, exec, s[20:21]
.LBB4_2605:                             ;   in Loop: Header=BB4_2542 Depth=1
	s_or_b64 exec, exec, s[18:19]
	s_trap 2
	ds_read_b64 v[2:3], v0
	v_accvgpr_read_b32 v0, a38
	v_min_u32_e32 v8, v8, v0
	s_waitcnt lgkmcnt(0)
	v_readfirstlane_b32 s18, v2
	v_readfirstlane_b32 s19, v3
	s_cmp_eq_u64 s[18:19], 0
	s_cselect_b64 s[18:19], -1, 0
	s_or_b64 s[20:21], s[18:19], s[18:19]
	s_mov_b64 s[18:19], 0
	s_and_b64 vcc, exec, s[20:21]
	s_cbranch_vccnz .LBB4_4950
; %bb.2606:                             ;   in Loop: Header=BB4_2542 Depth=1
	s_trap 2
	ds_read_b64 v[2:3], v0
	s_mov_b64 s[20:21], -1
	s_waitcnt lgkmcnt(0)
	v_readfirstlane_b32 s64, v2
	s_and_saveexec_b64 s[18:19], s[14:15]
	s_cbranch_execz .LBB4_2608
; %bb.2607:                             ;   in Loop: Header=BB4_2542 Depth=1
	ds_read_b32 v0, v0 offset:720
	s_waitcnt lgkmcnt(0)
	v_and_b32_e32 v0, 15, v0
	v_cmp_eq_u32_e32 vcc, 0, v0
	s_orn2_b64 s[20:21], vcc, exec
.LBB4_2608:                             ;   in Loop: Header=BB4_2542 Depth=1
	s_or_b64 exec, exec, s[18:19]
	s_and_saveexec_b64 s[18:19], s[16:17]
	s_cbranch_execz .LBB4_2610
; %bb.2609:                             ;   in Loop: Header=BB4_2542 Depth=1
	ds_read_b32 v0, v0 offset:784
	s_waitcnt lgkmcnt(0)
	v_and_b32_e32 v0, 15, v0
	v_cmp_eq_u32_e32 vcc, 0, v0
	s_and_b64 s[22:23], s[20:21], vcc
	s_andn2_b64 s[20:21], s[20:21], exec
	s_and_b64 s[22:23], s[22:23], exec
	s_or_b64 s[20:21], s[20:21], s[22:23]
.LBB4_2610:                             ;   in Loop: Header=BB4_2542 Depth=1
	s_or_b64 exec, exec, s[18:19]
	s_xor_b64 s[20:21], s[20:21], -1
	v_accvgpr_write_b32 a21, v17
	v_cmp_eq_u32_e32 vcc, 0, v1
	v_cndmask_b32_e64 v1, 0, 1, s[20:21]
	v_accvgpr_write_b32 a23, v21
	v_accvgpr_write_b32 a20, v16
	v_cndmask_b32_e32 v17, 0, v8, vcc
	;;#ASMSTART
	;;#ASMEND
	v_accvgpr_write_b32 a22, v20
	v_mov_b32_e32 v0, 0
	v_accvgpr_write_b32 a37, v8
	s_mov_b64 s[18:19], -1
	v_cmp_ne_u32_e32 vcc, 0, v1
	v_accvgpr_write_b32 a39, v17
	v_mov_b32_e32 v18, v58
	v_mov_b32_e32 v1, v55
	s_cbranch_vccz .LBB4_2612
; %bb.2611:                             ;   in Loop: Header=BB4_2542 Depth=1
	s_and_saveexec_b64 s[52:53], s[18:19]
	s_cbranch_execnz .LBB4_4545
	s_branch .LBB4_4949
.LBB4_2612:                             ;   in Loop: Header=BB4_2542 Depth=1
	v_accvgpr_read_b32 v0, a39
	v_accvgpr_write_b32 a10, v44
	v_lshrrev_b32_e32 v0, 11, v0
	v_accvgpr_write_b32 a11, v45
	v_accvgpr_write_b32 a6, v38
	v_sub_u32_e32 v45, v0, v55
	v_accvgpr_write_b32 a7, v39
	v_cmp_lt_i32_e32 vcc, 0, v45
	s_and_saveexec_b64 s[22:23], vcc
	s_cbranch_execz .LBB4_3896
; %bb.2613:                             ;   in Loop: Header=BB4_2542 Depth=1
	s_trap 2
	ds_read_b128 v[0:3], v0
	v_accvgpr_read_b32 v6, a26
	v_accvgpr_write_b32 a0, v46
	v_accvgpr_read_b32 v7, a27
	v_accvgpr_write_b32 a1, v47
	s_waitcnt lgkmcnt(0)
	ds_read_b64 v[4:5], v0
	v_add_co_u32_e32 v46, vcc, v0, v6
	v_addc_co_u32_e32 v47, vcc, v1, v7, vcc
	v_accvgpr_write_b32 a2, v56
	v_add_co_u32_e32 v56, vcc, v2, v6
	v_accvgpr_write_b32 a30, v57
	v_addc_co_u32_e32 v57, vcc, v3, v7, vcc
	v_accvgpr_write_b32 a3, v58
	s_waitcnt lgkmcnt(0)
	v_add_co_u32_e32 v58, vcc, v4, v6
	s_bitcmp1_b32 s64, 0
	v_accvgpr_write_b32 a31, v59
	v_accvgpr_write_b32 a17, v55
	v_addc_co_u32_e32 v59, vcc, v5, v7, vcc
	s_mov_b64 s[52:53], 0
	s_cselect_b64 s[54:55], -1, 0
	s_branch .LBB4_2615
.LBB4_2614:                             ;   in Loop: Header=BB4_2615 Depth=2
	s_or_b64 exec, exec, s[18:19]
	v_lshlrev_b32_e32 v3, 8, v30
	v_perm_b32 v3, v3, v41, s74
	v_lshl_or_b32 v3, v31, 16, v3
	v_lshl_or_b32 v39, v23, 24, v3
	v_and_b32_e32 v3, 0xff, v35
	v_lshlrev_b32_e32 v4, 24, v5
	v_lshlrev_b32_e32 v5, 8, v34
	;; [unrolled: 1-line block ×3, first 2 shown]
	v_perm_b32 v5, v5, v55, s74
	v_or3_b32 v38, v4, v3, v5
	v_and_b32_e32 v3, 0xff, v50
	v_lshlrev_b32_e32 v5, 8, v60
	v_lshlrev_b32_e32 v4, 24, v44
	;; [unrolled: 1-line block ×3, first 2 shown]
	v_perm_b32 v5, v5, v28, s74
	v_or3_b32 v40, v4, v3, v5
	v_lshlrev_b32_e32 v3, 8, v22
	v_perm_b32 v3, v3, v29, s74
	v_lshl_or_b32 v3, v26, 16, v3
	v_lshl_or_b32 v41, v21, 24, v3
	v_lshlrev_b32_e32 v3, 8, v19
	v_perm_b32 v0, v3, v0, s74
	v_lshl_or_b32 v0, v20, 16, v0
	v_lshl_or_b32 v17, v15, 24, v0
	v_and_b32_e32 v0, 0xff, v27
	v_lshlrev_b32_e32 v4, 8, v25
	v_lshlrev_b32_e32 v3, 24, v54
	;; [unrolled: 1-line block ×3, first 2 shown]
	v_perm_b32 v4, v4, v24, s74
	v_or3_b32 v16, v3, v0, v4
	v_and_b32_e32 v0, 0xff, v1
	v_lshlrev_b32_e32 v3, 8, v61
	v_lshlrev_b32_e32 v1, 24, v48
	;; [unrolled: 1-line block ×3, first 2 shown]
	v_perm_b32 v3, v3, v18, s74
	v_or3_b32 v18, v1, v0, v3
	v_lshlrev_b32_e32 v0, 8, v11
	v_perm_b32 v0, v0, v49, s74
	v_lshl_or_b32 v0, v14, 16, v0
	v_lshl_or_b32 v19, v2, 24, v0
	v_accvgpr_read_b32 v0, a28
	v_add_co_u32_e32 v46, vcc, v46, v0
	v_accvgpr_read_b32 v1, a29
	v_addc_co_u32_e32 v47, vcc, v47, v1, vcc
	v_add_co_u32_e32 v56, vcc, v56, v0
	v_accvgpr_read_b32 v60, a24
	v_addc_co_u32_e32 v57, vcc, v57, v1, vcc
	v_sub_u32_e32 v45, v45, v60
	v_cmp_gt_i32_e32 vcc, 1, v45
	global_store_dwordx4 v[58:59], v[38:41], off glc slc
	global_store_dwordx4 v[58:59], v[16:19], off offset:1024 glc slc
	s_or_b64 s[52:53], vcc, s[52:53]
	v_add_co_u32_e32 v58, vcc, v58, v0
	v_addc_co_u32_e32 v59, vcc, v59, v1, vcc
	s_andn2_b64 exec, exec, s[52:53]
	s_cbranch_execz .LBB4_3895
.LBB4_2615:                             ;   Parent Loop BB4_2542 Depth=1
                                        ; =>  This Inner Loop Header: Depth=2
	global_load_dwordx4 v[22:25], v[46:47], off glc slc
	global_load_dwordx4 v[14:17], v[46:47], off offset:1024 glc slc
	global_load_dwordx4 v[18:21], v[56:57], off glc slc
	global_load_dwordx4 v[10:13], v[56:57], off offset:1024 glc slc
	s_and_b64 vcc, exec, s[54:55]
	s_waitcnt vmcnt(0)
	v_cmp_ne_u16_sdwa s[18:19], v22, v53 src0_sel:BYTE_0 src1_sel:DWORD
	s_cbranch_vccz .LBB4_2629
; %bb.2616:                             ;   in Loop: Header=BB4_2615 Depth=2
	v_mov_b32_e32 v1, 0
	v_mov_b32_e32 v0, 0
	s_and_saveexec_b64 s[20:21], s[18:19]
	s_cbranch_execz .LBB4_2622
; %bb.2617:                             ;   in Loop: Header=BB4_2615 Depth=2
	v_cmp_ne_u16_sdwa vcc, v22, s69 src0_sel:BYTE_0 src1_sel:DWORD
	v_bfrev_b32_e32 v0, 1
	s_and_saveexec_b64 s[56:57], vcc
	s_cbranch_execz .LBB4_2621
; %bb.2618:                             ;   in Loop: Header=BB4_2615 Depth=2
	v_and_b32_e32 v2, 0x7f, v22
	v_cmp_ne_u32_e32 vcc, s71, v2
	v_mov_b32_e32 v0, 0x7f800001
	s_and_saveexec_b64 s[58:59], vcc
	s_cbranch_execz .LBB4_2620
; %bb.2619:                             ;   in Loop: Header=BB4_2615 Depth=2
	v_and_b32_e32 v0, 7, v22
	v_ffbh_u32_e32 v0, v0
	v_min_u32_e32 v0, 32, v0
	v_subrev_u32_e32 v4, 28, v0
	v_cmp_gt_u32_e32 vcc, 8, v2
	v_lshrrev_b32_e32 v3, 3, v2
	v_sub_u32_e32 v0, 29, v0
	v_cndmask_b32_e32 v2, 0, v4, vcc
	v_cndmask_b32_e32 v0, v3, v0, vcc
	v_lshlrev_b64 v[2:3], v2, v[22:23]
	v_lshlrev_b32_e32 v2, 20, v2
	v_lshlrev_b32_e32 v3, 24, v22
	v_and_b32_e32 v2, 0x700000, v2
	v_and_b32_e32 v3, 0x80000000, v3
	v_lshl_add_u32 v0, v0, 23, v51
	v_or3_b32 v0, v3, v0, v2
.LBB4_2620:                             ;   in Loop: Header=BB4_2615 Depth=2
	s_or_b64 exec, exec, s[58:59]
.LBB4_2621:                             ;   in Loop: Header=BB4_2615 Depth=2
	s_or_b64 exec, exec, s[56:57]
.LBB4_2622:                             ;   in Loop: Header=BB4_2615 Depth=2
	s_or_b64 exec, exec, s[20:21]
	v_cmp_ne_u16_sdwa vcc, v18, v53 src0_sel:BYTE_0 src1_sel:DWORD
	s_and_saveexec_b64 s[20:21], vcc
	s_cbranch_execz .LBB4_2628
; %bb.2623:                             ;   in Loop: Header=BB4_2615 Depth=2
	v_cmp_ne_u16_sdwa vcc, v18, s69 src0_sel:BYTE_0 src1_sel:DWORD
	v_bfrev_b32_e32 v1, 1
	s_and_saveexec_b64 s[56:57], vcc
	s_cbranch_execz .LBB4_2627
; %bb.2624:                             ;   in Loop: Header=BB4_2615 Depth=2
	v_and_b32_e32 v2, 0x7f, v18
	v_cmp_ne_u32_e32 vcc, s71, v2
	v_mov_b32_e32 v1, 0x7f800001
	s_and_saveexec_b64 s[58:59], vcc
	s_cbranch_execz .LBB4_2626
; %bb.2625:                             ;   in Loop: Header=BB4_2615 Depth=2
	v_and_b32_e32 v1, 7, v18
	v_ffbh_u32_e32 v1, v1
	v_min_u32_e32 v1, 32, v1
	v_subrev_u32_e32 v4, 28, v1
	v_cmp_gt_u32_e32 vcc, 8, v2
	v_lshrrev_b32_e32 v3, 3, v2
	v_sub_u32_e32 v1, 29, v1
	v_cndmask_b32_e32 v2, 0, v4, vcc
	v_cndmask_b32_e32 v1, v3, v1, vcc
	v_lshlrev_b64 v[2:3], v2, v[18:19]
	v_lshlrev_b32_e32 v2, 20, v2
	v_lshlrev_b32_e32 v3, 24, v18
	v_and_b32_e32 v2, 0x700000, v2
	v_and_b32_e32 v3, 0x80000000, v3
	v_lshl_add_u32 v1, v1, 23, v51
	v_or3_b32 v1, v3, v1, v2
.LBB4_2626:                             ;   in Loop: Header=BB4_2615 Depth=2
	s_or_b64 exec, exec, s[58:59]
.LBB4_2627:                             ;   in Loop: Header=BB4_2615 Depth=2
	s_or_b64 exec, exec, s[56:57]
.LBB4_2628:                             ;   in Loop: Header=BB4_2615 Depth=2
	s_or_b64 exec, exec, s[20:21]
	v_max_f32_e32 v1, v1, v1
	v_max_f32_e32 v0, v0, v0
	;; [unrolled: 1-line block ×3, first 2 shown]
	s_branch .LBB4_2643
.LBB4_2629:                             ;   in Loop: Header=BB4_2615 Depth=2
                                        ; implicit-def: $vgpr1
	s_cbranch_execz .LBB4_2643
; %bb.2630:                             ;   in Loop: Header=BB4_2615 Depth=2
	v_mov_b32_e32 v1, 0
	v_mov_b32_e32 v0, 0
	s_and_saveexec_b64 s[20:21], s[18:19]
	s_cbranch_execz .LBB4_2636
; %bb.2631:                             ;   in Loop: Header=BB4_2615 Depth=2
	v_cmp_ne_u16_sdwa vcc, v22, s69 src0_sel:BYTE_0 src1_sel:DWORD
	v_bfrev_b32_e32 v0, 1
	s_and_saveexec_b64 s[18:19], vcc
	s_cbranch_execz .LBB4_2635
; %bb.2632:                             ;   in Loop: Header=BB4_2615 Depth=2
	v_and_b32_e32 v2, 0x7f, v22
	v_cmp_ne_u32_e32 vcc, s71, v2
	v_mov_b32_e32 v0, 0x7f800001
	s_and_saveexec_b64 s[56:57], vcc
	s_cbranch_execz .LBB4_2634
; %bb.2633:                             ;   in Loop: Header=BB4_2615 Depth=2
	v_and_b32_e32 v0, 7, v22
	v_ffbh_u32_e32 v0, v0
	v_min_u32_e32 v0, 32, v0
	v_subrev_u32_e32 v4, 28, v0
	v_cmp_gt_u32_e32 vcc, 8, v2
	v_lshrrev_b32_e32 v3, 3, v2
	v_sub_u32_e32 v0, 29, v0
	v_cndmask_b32_e32 v2, 0, v4, vcc
	v_cndmask_b32_e32 v0, v3, v0, vcc
	v_lshlrev_b64 v[2:3], v2, v[22:23]
	v_lshlrev_b32_e32 v2, 20, v2
	v_lshlrev_b32_e32 v3, 24, v22
	v_and_b32_e32 v2, 0x700000, v2
	v_and_b32_e32 v3, 0x80000000, v3
	v_lshl_add_u32 v0, v0, 23, v51
	v_or3_b32 v0, v3, v0, v2
.LBB4_2634:                             ;   in Loop: Header=BB4_2615 Depth=2
	s_or_b64 exec, exec, s[56:57]
.LBB4_2635:                             ;   in Loop: Header=BB4_2615 Depth=2
	s_or_b64 exec, exec, s[18:19]
.LBB4_2636:                             ;   in Loop: Header=BB4_2615 Depth=2
	s_or_b64 exec, exec, s[20:21]
	v_cmp_ne_u16_sdwa s[20:21], v18, v53 src0_sel:BYTE_0 src1_sel:DWORD
	s_and_saveexec_b64 s[18:19], s[20:21]
	s_cbranch_execz .LBB4_2642
; %bb.2637:                             ;   in Loop: Header=BB4_2615 Depth=2
	v_cmp_ne_u16_sdwa vcc, v18, s69 src0_sel:BYTE_0 src1_sel:DWORD
	v_bfrev_b32_e32 v1, 1
	s_and_saveexec_b64 s[20:21], vcc
	s_cbranch_execz .LBB4_2641
; %bb.2638:                             ;   in Loop: Header=BB4_2615 Depth=2
	v_and_b32_e32 v2, 0x7f, v18
	v_cmp_ne_u32_e32 vcc, s71, v2
	v_mov_b32_e32 v1, 0x7f800001
	s_and_saveexec_b64 s[56:57], vcc
	s_cbranch_execz .LBB4_2640
; %bb.2639:                             ;   in Loop: Header=BB4_2615 Depth=2
	v_and_b32_e32 v1, 7, v18
	v_ffbh_u32_e32 v1, v1
	v_min_u32_e32 v1, 32, v1
	v_subrev_u32_e32 v4, 28, v1
	v_cmp_gt_u32_e32 vcc, 8, v2
	v_lshrrev_b32_e32 v3, 3, v2
	v_sub_u32_e32 v1, 29, v1
	v_cndmask_b32_e32 v2, 0, v4, vcc
	v_cndmask_b32_e32 v1, v3, v1, vcc
	v_lshlrev_b64 v[2:3], v2, v[18:19]
	v_lshlrev_b32_e32 v2, 20, v2
	v_lshlrev_b32_e32 v3, 24, v18
	v_and_b32_e32 v2, 0x700000, v2
	v_and_b32_e32 v3, 0x80000000, v3
	v_lshl_add_u32 v1, v1, 23, v51
	v_or3_b32 v1, v3, v1, v2
.LBB4_2640:                             ;   in Loop: Header=BB4_2615 Depth=2
	s_or_b64 exec, exec, s[56:57]
.LBB4_2641:                             ;   in Loop: Header=BB4_2615 Depth=2
	s_or_b64 exec, exec, s[20:21]
.LBB4_2642:                             ;   in Loop: Header=BB4_2615 Depth=2
	s_or_b64 exec, exec, s[18:19]
	v_max_f32_e32 v1, v1, v1
	v_max_f32_e32 v0, v0, v0
	v_min_f32_e32 v1, v0, v1
.LBB4_2643:                             ;   in Loop: Header=BB4_2615 Depth=2
	v_and_b32_sdwa v0, v1, s69 dst_sel:DWORD dst_unused:UNUSED_PAD src0_sel:BYTE_3 src1_sel:DWORD
	v_and_b32_e32 v2, 0x7f800000, v1
	v_mov_b32_e32 v3, v53
	v_and_b32_e32 v52, 0x7fffff, v1
	v_or_b32_e32 v55, 0x7e, v0
	v_cmp_ne_u64_e32 vcc, s[40:41], v[2:3]
	s_and_saveexec_b64 s[18:19], vcc
	s_xor_b64 s[20:21], exec, s[18:19]
	s_cbranch_execz .LBB4_2653
; %bb.2644:                             ;   in Loop: Header=BB4_2615 Depth=2
	v_and_b32_e32 v2, 0x7fffffff, v1
	v_mov_b32_e32 v3, v53
	v_cmp_gt_u64_e32 vcc, s[42:43], v[2:3]
	s_and_saveexec_b64 s[56:57], vcc
	s_cbranch_execz .LBB4_2652
; %bb.2645:                             ;   in Loop: Header=BB4_2615 Depth=2
	v_cmp_ne_u32_e32 vcc, 0, v1
	v_mov_b32_e32 v55, 0
	s_and_saveexec_b64 s[58:59], vcc
	s_cbranch_execz .LBB4_2651
; %bb.2646:                             ;   in Loop: Header=BB4_2615 Depth=2
	v_bfe_u32 v1, v1, 23, 8
	v_sub_u32_e32 v3, 0x79, v1
	v_cmp_gt_u32_e32 vcc, s73, v1
	v_add_u32_e32 v2, 0xffffff81, v1
	v_cndmask_b32_e32 v3, 0, v3, vcc
	v_cmp_eq_u32_e32 vcc, 0, v1
	v_mov_b32_e32 v1, 0xffffff82
	v_cndmask_b32_e32 v1, v2, v1, vcc
	v_mov_b32_e32 v2, 0x78
	v_or_b32_e32 v4, 0x800000, v52
	v_cndmask_b32_e32 v8, v3, v2, vcc
	v_cndmask_b32_e32 v52, v4, v52, vcc
	v_add_u32_e32 v2, 20, v8
	v_lshlrev_b64 v[2:3], v2, -1
	v_lshrrev_b64 v[6:7], v8, v[52:53]
	v_not_b32_e32 v3, v3
	v_not_b32_e32 v2, v2
	v_add_u32_e32 v4, 19, v8
	v_lshrrev_b32_e32 v9, 23, v6
	v_and_b32_e32 v3, 0, v3
	v_and_b32_e32 v2, v52, v2
	v_lshlrev_b64 v[4:5], v4, 1
	v_add3_u32 v27, v8, v1, v9
	v_bfe_u32 v1, v6, 20, 1
	v_add_u32_e32 v1, -1, v1
	v_cmp_eq_u64_e32 vcc, v[2:3], v[4:5]
	v_cndmask_b32_e32 v1, 0, v1, vcc
	v_add_u32_e32 v1, v1, v6
	v_and_b32_e32 v1, 0xfffff, v1
	v_add_co_u32_e32 v2, vcc, v1, v6
	v_add_u32_e32 v26, 6, v27
	v_addc_co_u32_e32 v3, vcc, 0, v7, vcc
	v_cmp_ne_u32_e32 vcc, 0, v26
                                        ; implicit-def: $vgpr1
	s_and_saveexec_b64 s[18:19], vcc
	s_xor_b64 s[18:19], exec, s[18:19]
; %bb.2647:                             ;   in Loop: Header=BB4_2615 Depth=2
	v_cmp_lt_u64_e32 vcc, s[46:47], v[2:3]
	v_add_u32_e32 v1, 7, v27
	v_cndmask_b32_e64 v4, 0, 1, vcc
	v_cndmask_b32_e32 v1, v26, v1, vcc
	v_lshrrev_b64 v[2:3], v4, v[2:3]
; %bb.2648:                             ;   in Loop: Header=BB4_2615 Depth=2
	s_andn2_saveexec_b64 s[18:19], s[18:19]
; %bb.2649:                             ;   in Loop: Header=BB4_2615 Depth=2
	v_bfe_u32 v1, v2, 23, 1
; %bb.2650:                             ;   in Loop: Header=BB4_2615 Depth=2
	s_or_b64 exec, exec, s[18:19]
	v_lshrrev_b64 v[2:3], 20, v[2:3]
	v_cmp_gt_i32_e32 vcc, 16, v1
	v_cndmask_b32_e32 v3, 0, v3, vcc
	v_cndmask_b32_e32 v2, 7, v2, vcc
	v_cmp_eq_u32_e32 vcc, 0, v1
	v_min_i32_e32 v1, 15, v1
	v_cmp_eq_u64_e64 s[18:19], 0, v[2:3]
	v_lshlrev_b32_e32 v1, 3, v1
	v_and_or_b32 v1, v2, 7, v1
	s_and_b64 s[18:19], vcc, s[18:19]
	v_cndmask_b32_e64 v1, v1, 0, s[18:19]
	v_or_b32_e32 v55, v1, v0
.LBB4_2651:                             ;   in Loop: Header=BB4_2615 Depth=2
	s_or_b64 exec, exec, s[58:59]
.LBB4_2652:                             ;   in Loop: Header=BB4_2615 Depth=2
	s_or_b64 exec, exec, s[56:57]
                                        ; implicit-def: $vgpr1
.LBB4_2653:                             ;   in Loop: Header=BB4_2615 Depth=2
	s_andn2_saveexec_b64 s[18:19], s[20:21]
; %bb.2654:                             ;   in Loop: Header=BB4_2615 Depth=2
	v_or_b32_sdwa v0, v1, s71 dst_sel:DWORD dst_unused:UNUSED_PAD src0_sel:BYTE_3 src1_sel:DWORD
	v_cmp_eq_u64_e32 vcc, 0, v[52:53]
	v_cndmask_b32_e32 v55, v0, v55, vcc
; %bb.2655:                             ;   in Loop: Header=BB4_2615 Depth=2
	s_or_b64 exec, exec, s[18:19]
	v_lshrrev_b16_e32 v28, 8, v22
	v_lshrrev_b16_e32 v2, 8, v18
	v_cmp_ne_u16_e64 s[18:19], 0, v28
	s_and_b64 vcc, exec, s[54:55]
	s_cbranch_vccz .LBB4_2669
; %bb.2656:                             ;   in Loop: Header=BB4_2615 Depth=2
	v_mov_b32_e32 v1, 0
	v_mov_b32_e32 v0, 0
	s_and_saveexec_b64 s[20:21], s[18:19]
	s_cbranch_execz .LBB4_2662
; %bb.2657:                             ;   in Loop: Header=BB4_2615 Depth=2
	v_cmp_ne_u16_e32 vcc, s69, v28
	v_bfrev_b32_e32 v0, 1
	s_and_saveexec_b64 s[56:57], vcc
	s_cbranch_execz .LBB4_2661
; %bb.2658:                             ;   in Loop: Header=BB4_2615 Depth=2
	v_and_b32_e32 v3, 0x7f, v28
	v_cmp_ne_u32_e32 vcc, s71, v3
	v_mov_b32_e32 v0, 0x7f800001
	s_and_saveexec_b64 s[58:59], vcc
	s_cbranch_execz .LBB4_2660
; %bb.2659:                             ;   in Loop: Header=BB4_2615 Depth=2
	v_and_b32_e32 v0, 7, v28
	v_ffbh_u32_e32 v4, v0
	v_min_u32_e32 v7, 32, v4
	v_subrev_u32_e32 v4, 28, v7
	v_lshlrev_b64 v[4:5], v4, v[28:29]
	v_lshrrev_b32_e32 v6, 3, v3
	v_sub_u32_e32 v5, 29, v7
	v_and_b32_e32 v4, 7, v4
	v_cmp_gt_u32_e32 vcc, 8, v3
	v_cndmask_b32_e32 v3, v6, v5, vcc
	v_cndmask_b32_e32 v0, v0, v4, vcc
	v_lshlrev_b32_e32 v4, 16, v22
	v_lshlrev_b32_e32 v0, 20, v0
	v_and_b32_e32 v4, 0x80000000, v4
	v_lshl_add_u32 v3, v3, 23, v51
	v_or3_b32 v0, v4, v3, v0
.LBB4_2660:                             ;   in Loop: Header=BB4_2615 Depth=2
	s_or_b64 exec, exec, s[58:59]
.LBB4_2661:                             ;   in Loop: Header=BB4_2615 Depth=2
	s_or_b64 exec, exec, s[56:57]
.LBB4_2662:                             ;   in Loop: Header=BB4_2615 Depth=2
	s_or_b64 exec, exec, s[20:21]
	v_cmp_ne_u16_e32 vcc, 0, v2
	s_and_saveexec_b64 s[20:21], vcc
	s_cbranch_execz .LBB4_2668
; %bb.2663:                             ;   in Loop: Header=BB4_2615 Depth=2
	v_cmp_ne_u16_e32 vcc, s69, v2
	v_bfrev_b32_e32 v1, 1
	s_and_saveexec_b64 s[56:57], vcc
	s_cbranch_execz .LBB4_2667
; %bb.2664:                             ;   in Loop: Header=BB4_2615 Depth=2
	v_and_b32_e32 v3, 0x7f, v2
	v_cmp_ne_u32_e32 vcc, s71, v3
	v_mov_b32_e32 v1, 0x7f800001
	s_and_saveexec_b64 s[58:59], vcc
	s_cbranch_execz .LBB4_2666
; %bb.2665:                             ;   in Loop: Header=BB4_2615 Depth=2
	v_and_b32_e32 v1, 7, v2
	v_ffbh_u32_e32 v4, v1
	v_min_u32_e32 v7, 32, v4
	v_subrev_u32_e32 v4, 28, v7
	v_lshlrev_b64 v[4:5], v4, v[2:3]
	v_lshrrev_b32_e32 v6, 3, v3
	v_sub_u32_e32 v5, 29, v7
	v_and_b32_e32 v4, 7, v4
	v_cmp_gt_u32_e32 vcc, 8, v3
	v_cndmask_b32_e32 v3, v6, v5, vcc
	v_cndmask_b32_e32 v1, v1, v4, vcc
	v_lshlrev_b32_e32 v4, 16, v18
	v_lshlrev_b32_e32 v1, 20, v1
	v_and_b32_e32 v4, 0x80000000, v4
	v_lshl_add_u32 v3, v3, 23, v51
	v_or3_b32 v1, v4, v3, v1
.LBB4_2666:                             ;   in Loop: Header=BB4_2615 Depth=2
	s_or_b64 exec, exec, s[58:59]
.LBB4_2667:                             ;   in Loop: Header=BB4_2615 Depth=2
	s_or_b64 exec, exec, s[56:57]
.LBB4_2668:                             ;   in Loop: Header=BB4_2615 Depth=2
	s_or_b64 exec, exec, s[20:21]
	v_max_f32_e32 v1, v1, v1
	v_max_f32_e32 v0, v0, v0
	v_max_f32_e32 v1, v0, v1
	s_branch .LBB4_2683
.LBB4_2669:                             ;   in Loop: Header=BB4_2615 Depth=2
                                        ; implicit-def: $vgpr1
	s_cbranch_execz .LBB4_2683
; %bb.2670:                             ;   in Loop: Header=BB4_2615 Depth=2
	v_mov_b32_e32 v1, 0
	v_mov_b32_e32 v0, 0
	s_and_saveexec_b64 s[20:21], s[18:19]
	s_cbranch_execz .LBB4_2676
; %bb.2671:                             ;   in Loop: Header=BB4_2615 Depth=2
	v_cmp_ne_u16_e32 vcc, s69, v28
	v_bfrev_b32_e32 v0, 1
	s_and_saveexec_b64 s[18:19], vcc
	s_cbranch_execz .LBB4_2675
; %bb.2672:                             ;   in Loop: Header=BB4_2615 Depth=2
	v_and_b32_e32 v3, 0x7f, v28
	v_cmp_ne_u32_e32 vcc, s71, v3
	v_mov_b32_e32 v0, 0x7f800001
	s_and_saveexec_b64 s[56:57], vcc
	s_cbranch_execz .LBB4_2674
; %bb.2673:                             ;   in Loop: Header=BB4_2615 Depth=2
	v_and_b32_e32 v0, 7, v28
	v_ffbh_u32_e32 v4, v0
	v_min_u32_e32 v7, 32, v4
	v_subrev_u32_e32 v4, 28, v7
	v_lshlrev_b64 v[4:5], v4, v[28:29]
	v_lshrrev_b32_e32 v6, 3, v3
	v_sub_u32_e32 v5, 29, v7
	v_and_b32_e32 v4, 7, v4
	v_cmp_gt_u32_e32 vcc, 8, v3
	v_cndmask_b32_e32 v3, v6, v5, vcc
	v_cndmask_b32_e32 v0, v0, v4, vcc
	v_lshlrev_b32_e32 v4, 16, v22
	v_lshlrev_b32_e32 v0, 20, v0
	v_and_b32_e32 v4, 0x80000000, v4
	v_lshl_add_u32 v3, v3, 23, v51
	v_or3_b32 v0, v4, v3, v0
.LBB4_2674:                             ;   in Loop: Header=BB4_2615 Depth=2
	s_or_b64 exec, exec, s[56:57]
.LBB4_2675:                             ;   in Loop: Header=BB4_2615 Depth=2
	s_or_b64 exec, exec, s[18:19]
.LBB4_2676:                             ;   in Loop: Header=BB4_2615 Depth=2
	s_or_b64 exec, exec, s[20:21]
	v_cmp_ne_u16_e32 vcc, 0, v2
	s_and_saveexec_b64 s[18:19], vcc
	s_cbranch_execz .LBB4_2682
; %bb.2677:                             ;   in Loop: Header=BB4_2615 Depth=2
	v_cmp_ne_u16_e32 vcc, s69, v2
	v_bfrev_b32_e32 v1, 1
	s_and_saveexec_b64 s[20:21], vcc
	s_cbranch_execz .LBB4_2681
; %bb.2678:                             ;   in Loop: Header=BB4_2615 Depth=2
	v_and_b32_e32 v3, 0x7f, v2
	v_cmp_ne_u32_e32 vcc, s71, v3
	v_mov_b32_e32 v1, 0x7f800001
	s_and_saveexec_b64 s[56:57], vcc
	s_cbranch_execz .LBB4_2680
; %bb.2679:                             ;   in Loop: Header=BB4_2615 Depth=2
	v_and_b32_e32 v1, 7, v2
	v_ffbh_u32_e32 v4, v1
	v_min_u32_e32 v7, 32, v4
	v_subrev_u32_e32 v4, 28, v7
	v_lshlrev_b64 v[4:5], v4, v[2:3]
	v_lshrrev_b32_e32 v6, 3, v3
	v_sub_u32_e32 v2, 29, v7
	v_and_b32_e32 v4, 7, v4
	v_cmp_gt_u32_e32 vcc, 8, v3
	v_cndmask_b32_e32 v2, v6, v2, vcc
	v_cndmask_b32_e32 v1, v1, v4, vcc
	v_lshlrev_b32_e32 v3, 16, v18
	v_lshlrev_b32_e32 v1, 20, v1
	v_and_b32_e32 v3, 0x80000000, v3
	v_lshl_add_u32 v2, v2, 23, v51
	v_or3_b32 v1, v3, v2, v1
.LBB4_2680:                             ;   in Loop: Header=BB4_2615 Depth=2
	s_or_b64 exec, exec, s[56:57]
.LBB4_2681:                             ;   in Loop: Header=BB4_2615 Depth=2
	s_or_b64 exec, exec, s[20:21]
.LBB4_2682:                             ;   in Loop: Header=BB4_2615 Depth=2
	s_or_b64 exec, exec, s[18:19]
	v_max_f32_e32 v1, v1, v1
	v_max_f32_e32 v0, v0, v0
	v_min_f32_e32 v1, v0, v1
.LBB4_2683:                             ;   in Loop: Header=BB4_2615 Depth=2
	v_and_b32_sdwa v0, v1, s69 dst_sel:DWORD dst_unused:UNUSED_PAD src0_sel:BYTE_3 src1_sel:DWORD
	v_and_b32_e32 v2, 0x7f800000, v1
	v_mov_b32_e32 v3, v53
	v_and_b32_e32 v52, 0x7fffff, v1
	v_or_b32_e32 v34, 0x7e, v0
	v_cmp_ne_u64_e32 vcc, s[40:41], v[2:3]
	s_and_saveexec_b64 s[18:19], vcc
	s_xor_b64 s[20:21], exec, s[18:19]
	s_cbranch_execz .LBB4_2693
; %bb.2684:                             ;   in Loop: Header=BB4_2615 Depth=2
	v_and_b32_e32 v2, 0x7fffffff, v1
	v_mov_b32_e32 v3, v53
	v_cmp_gt_u64_e32 vcc, s[42:43], v[2:3]
	s_and_saveexec_b64 s[56:57], vcc
	s_cbranch_execz .LBB4_2692
; %bb.2685:                             ;   in Loop: Header=BB4_2615 Depth=2
	v_cmp_ne_u32_e32 vcc, 0, v1
	v_mov_b32_e32 v34, 0
	s_and_saveexec_b64 s[58:59], vcc
	s_cbranch_execz .LBB4_2691
; %bb.2686:                             ;   in Loop: Header=BB4_2615 Depth=2
	v_bfe_u32 v1, v1, 23, 8
	v_sub_u32_e32 v3, 0x79, v1
	v_cmp_gt_u32_e32 vcc, s73, v1
	v_add_u32_e32 v2, 0xffffff81, v1
	v_cndmask_b32_e32 v3, 0, v3, vcc
	v_cmp_eq_u32_e32 vcc, 0, v1
	v_mov_b32_e32 v1, 0xffffff82
	v_cndmask_b32_e32 v1, v2, v1, vcc
	v_mov_b32_e32 v2, 0x78
	v_or_b32_e32 v4, 0x800000, v52
	v_cndmask_b32_e32 v8, v3, v2, vcc
	v_cndmask_b32_e32 v52, v4, v52, vcc
	v_add_u32_e32 v2, 20, v8
	v_lshlrev_b64 v[2:3], v2, -1
	v_lshrrev_b64 v[6:7], v8, v[52:53]
	v_not_b32_e32 v3, v3
	v_not_b32_e32 v2, v2
	v_add_u32_e32 v4, 19, v8
	v_lshrrev_b32_e32 v9, 23, v6
	v_and_b32_e32 v3, 0, v3
	v_and_b32_e32 v2, v52, v2
	v_lshlrev_b64 v[4:5], v4, 1
	v_add3_u32 v27, v8, v1, v9
	v_bfe_u32 v1, v6, 20, 1
	v_add_u32_e32 v1, -1, v1
	v_cmp_eq_u64_e32 vcc, v[2:3], v[4:5]
	v_cndmask_b32_e32 v1, 0, v1, vcc
	v_add_u32_e32 v1, v1, v6
	v_and_b32_e32 v1, 0xfffff, v1
	v_add_co_u32_e32 v2, vcc, v1, v6
	v_add_u32_e32 v26, 6, v27
	v_addc_co_u32_e32 v3, vcc, 0, v7, vcc
	v_cmp_ne_u32_e32 vcc, 0, v26
                                        ; implicit-def: $vgpr1
	s_and_saveexec_b64 s[18:19], vcc
	s_xor_b64 s[18:19], exec, s[18:19]
; %bb.2687:                             ;   in Loop: Header=BB4_2615 Depth=2
	v_cmp_lt_u64_e32 vcc, s[46:47], v[2:3]
	v_add_u32_e32 v1, 7, v27
	v_cndmask_b32_e64 v4, 0, 1, vcc
	v_cndmask_b32_e32 v1, v26, v1, vcc
	v_lshrrev_b64 v[2:3], v4, v[2:3]
; %bb.2688:                             ;   in Loop: Header=BB4_2615 Depth=2
	s_andn2_saveexec_b64 s[18:19], s[18:19]
; %bb.2689:                             ;   in Loop: Header=BB4_2615 Depth=2
	v_bfe_u32 v1, v2, 23, 1
; %bb.2690:                             ;   in Loop: Header=BB4_2615 Depth=2
	s_or_b64 exec, exec, s[18:19]
	v_lshrrev_b64 v[2:3], 20, v[2:3]
	v_cmp_gt_i32_e32 vcc, 16, v1
	v_cndmask_b32_e32 v3, 0, v3, vcc
	v_cndmask_b32_e32 v2, 7, v2, vcc
	v_cmp_eq_u32_e32 vcc, 0, v1
	v_min_i32_e32 v1, 15, v1
	v_cmp_eq_u64_e64 s[18:19], 0, v[2:3]
	v_lshlrev_b32_e32 v1, 3, v1
	v_and_or_b32 v1, v2, 7, v1
	s_and_b64 s[18:19], vcc, s[18:19]
	v_cndmask_b32_e64 v1, v1, 0, s[18:19]
	v_or_b32_e32 v34, v1, v0
.LBB4_2691:                             ;   in Loop: Header=BB4_2615 Depth=2
	s_or_b64 exec, exec, s[58:59]
.LBB4_2692:                             ;   in Loop: Header=BB4_2615 Depth=2
	s_or_b64 exec, exec, s[56:57]
                                        ; implicit-def: $vgpr1
.LBB4_2693:                             ;   in Loop: Header=BB4_2615 Depth=2
	s_andn2_saveexec_b64 s[18:19], s[20:21]
; %bb.2694:                             ;   in Loop: Header=BB4_2615 Depth=2
	v_or_b32_sdwa v0, v1, s71 dst_sel:DWORD dst_unused:UNUSED_PAD src0_sel:BYTE_3 src1_sel:DWORD
	v_cmp_eq_u64_e32 vcc, 0, v[52:53]
	v_cndmask_b32_e32 v34, v0, v34, vcc
; %bb.2695:                             ;   in Loop: Header=BB4_2615 Depth=2
	s_or_b64 exec, exec, s[18:19]
	v_lshrrev_b32_e32 v28, 16, v22
	v_lshrrev_b32_e32 v2, 16, v18
	v_cmp_ne_u16_sdwa s[18:19], v28, v53 src0_sel:BYTE_0 src1_sel:DWORD
	s_and_b64 vcc, exec, s[54:55]
	s_cbranch_vccz .LBB4_2709
; %bb.2696:                             ;   in Loop: Header=BB4_2615 Depth=2
	v_mov_b32_e32 v1, 0
	v_mov_b32_e32 v0, 0
	s_and_saveexec_b64 s[20:21], s[18:19]
	s_cbranch_execz .LBB4_2702
; %bb.2697:                             ;   in Loop: Header=BB4_2615 Depth=2
	v_cmp_ne_u16_sdwa vcc, v28, s69 src0_sel:BYTE_0 src1_sel:DWORD
	v_bfrev_b32_e32 v0, 1
	s_and_saveexec_b64 s[56:57], vcc
	s_cbranch_execz .LBB4_2701
; %bb.2698:                             ;   in Loop: Header=BB4_2615 Depth=2
	v_bfe_u32 v3, v22, 16, 7
	v_cmp_ne_u32_e32 vcc, s71, v3
	v_mov_b32_e32 v0, 0x7f800001
	s_and_saveexec_b64 s[58:59], vcc
	s_cbranch_execz .LBB4_2700
; %bb.2699:                             ;   in Loop: Header=BB4_2615 Depth=2
	v_and_b32_e32 v0, 7, v28
	v_ffbh_u32_e32 v4, v0
	v_min_u32_e32 v7, 32, v4
	v_subrev_u32_e32 v4, 28, v7
	v_lshlrev_b64 v[4:5], v4, v[28:29]
	v_lshrrev_b32_e32 v6, 3, v3
	v_sub_u32_e32 v5, 29, v7
	v_and_b32_e32 v4, 7, v4
	v_cmp_gt_u32_e32 vcc, 8, v3
	v_cndmask_b32_e32 v3, v6, v5, vcc
	v_cndmask_b32_e32 v0, v0, v4, vcc
	v_lshlrev_b32_e32 v4, 24, v28
	v_lshlrev_b32_e32 v0, 20, v0
	v_and_b32_e32 v4, 0x80000000, v4
	v_lshl_add_u32 v3, v3, 23, v51
	v_or3_b32 v0, v4, v3, v0
.LBB4_2700:                             ;   in Loop: Header=BB4_2615 Depth=2
	s_or_b64 exec, exec, s[58:59]
.LBB4_2701:                             ;   in Loop: Header=BB4_2615 Depth=2
	s_or_b64 exec, exec, s[56:57]
.LBB4_2702:                             ;   in Loop: Header=BB4_2615 Depth=2
	s_or_b64 exec, exec, s[20:21]
	v_cmp_ne_u16_sdwa vcc, v2, v53 src0_sel:BYTE_0 src1_sel:DWORD
	s_and_saveexec_b64 s[20:21], vcc
	s_cbranch_execz .LBB4_2708
; %bb.2703:                             ;   in Loop: Header=BB4_2615 Depth=2
	v_cmp_ne_u16_sdwa vcc, v2, s69 src0_sel:BYTE_0 src1_sel:DWORD
	v_bfrev_b32_e32 v1, 1
	s_and_saveexec_b64 s[56:57], vcc
	s_cbranch_execz .LBB4_2707
; %bb.2704:                             ;   in Loop: Header=BB4_2615 Depth=2
	v_bfe_u32 v3, v18, 16, 7
	v_cmp_ne_u32_e32 vcc, s71, v3
	v_mov_b32_e32 v1, 0x7f800001
	s_and_saveexec_b64 s[58:59], vcc
	s_cbranch_execz .LBB4_2706
; %bb.2705:                             ;   in Loop: Header=BB4_2615 Depth=2
	v_and_b32_e32 v1, 7, v2
	v_ffbh_u32_e32 v4, v1
	v_min_u32_e32 v7, 32, v4
	v_subrev_u32_e32 v4, 28, v7
	v_lshlrev_b64 v[4:5], v4, v[2:3]
	v_lshrrev_b32_e32 v6, 3, v3
	v_sub_u32_e32 v5, 29, v7
	v_and_b32_e32 v4, 7, v4
	v_cmp_gt_u32_e32 vcc, 8, v3
	v_cndmask_b32_e32 v3, v6, v5, vcc
	v_cndmask_b32_e32 v1, v1, v4, vcc
	v_lshlrev_b32_e32 v4, 24, v2
	v_lshlrev_b32_e32 v1, 20, v1
	v_and_b32_e32 v4, 0x80000000, v4
	v_lshl_add_u32 v3, v3, 23, v51
	v_or3_b32 v1, v4, v3, v1
.LBB4_2706:                             ;   in Loop: Header=BB4_2615 Depth=2
	s_or_b64 exec, exec, s[58:59]
.LBB4_2707:                             ;   in Loop: Header=BB4_2615 Depth=2
	s_or_b64 exec, exec, s[56:57]
.LBB4_2708:                             ;   in Loop: Header=BB4_2615 Depth=2
	s_or_b64 exec, exec, s[20:21]
	v_max_f32_e32 v1, v1, v1
	v_max_f32_e32 v0, v0, v0
	;; [unrolled: 1-line block ×3, first 2 shown]
	s_branch .LBB4_2723
.LBB4_2709:                             ;   in Loop: Header=BB4_2615 Depth=2
                                        ; implicit-def: $vgpr1
	s_cbranch_execz .LBB4_2723
; %bb.2710:                             ;   in Loop: Header=BB4_2615 Depth=2
	v_mov_b32_e32 v1, 0
	v_mov_b32_e32 v0, 0
	s_and_saveexec_b64 s[20:21], s[18:19]
	s_cbranch_execz .LBB4_2716
; %bb.2711:                             ;   in Loop: Header=BB4_2615 Depth=2
	v_cmp_ne_u16_sdwa vcc, v28, s69 src0_sel:BYTE_0 src1_sel:DWORD
	v_bfrev_b32_e32 v0, 1
	s_and_saveexec_b64 s[18:19], vcc
	s_cbranch_execz .LBB4_2715
; %bb.2712:                             ;   in Loop: Header=BB4_2615 Depth=2
	v_bfe_u32 v3, v22, 16, 7
	v_cmp_ne_u32_e32 vcc, s71, v3
	v_mov_b32_e32 v0, 0x7f800001
	s_and_saveexec_b64 s[56:57], vcc
	s_cbranch_execz .LBB4_2714
; %bb.2713:                             ;   in Loop: Header=BB4_2615 Depth=2
	v_and_b32_e32 v0, 7, v28
	v_ffbh_u32_e32 v4, v0
	v_min_u32_e32 v7, 32, v4
	v_subrev_u32_e32 v4, 28, v7
	v_lshlrev_b64 v[4:5], v4, v[28:29]
	v_lshrrev_b32_e32 v6, 3, v3
	v_sub_u32_e32 v5, 29, v7
	v_and_b32_e32 v4, 7, v4
	v_cmp_gt_u32_e32 vcc, 8, v3
	v_cndmask_b32_e32 v3, v6, v5, vcc
	v_cndmask_b32_e32 v0, v0, v4, vcc
	v_lshlrev_b32_e32 v4, 24, v28
	v_lshlrev_b32_e32 v0, 20, v0
	v_and_b32_e32 v4, 0x80000000, v4
	v_lshl_add_u32 v3, v3, 23, v51
	v_or3_b32 v0, v4, v3, v0
.LBB4_2714:                             ;   in Loop: Header=BB4_2615 Depth=2
	s_or_b64 exec, exec, s[56:57]
.LBB4_2715:                             ;   in Loop: Header=BB4_2615 Depth=2
	s_or_b64 exec, exec, s[18:19]
.LBB4_2716:                             ;   in Loop: Header=BB4_2615 Depth=2
	s_or_b64 exec, exec, s[20:21]
	v_cmp_ne_u16_sdwa s[20:21], v2, v53 src0_sel:BYTE_0 src1_sel:DWORD
	s_and_saveexec_b64 s[18:19], s[20:21]
	s_cbranch_execz .LBB4_2722
; %bb.2717:                             ;   in Loop: Header=BB4_2615 Depth=2
	v_cmp_ne_u16_sdwa vcc, v2, s69 src0_sel:BYTE_0 src1_sel:DWORD
	v_bfrev_b32_e32 v1, 1
	s_and_saveexec_b64 s[20:21], vcc
	s_cbranch_execz .LBB4_2721
; %bb.2718:                             ;   in Loop: Header=BB4_2615 Depth=2
	v_bfe_u32 v3, v18, 16, 7
	v_cmp_ne_u32_e32 vcc, s71, v3
	v_mov_b32_e32 v1, 0x7f800001
	s_and_saveexec_b64 s[56:57], vcc
	s_cbranch_execz .LBB4_2720
; %bb.2719:                             ;   in Loop: Header=BB4_2615 Depth=2
	v_and_b32_e32 v1, 7, v2
	v_ffbh_u32_e32 v4, v1
	v_min_u32_e32 v7, 32, v4
	v_subrev_u32_e32 v4, 28, v7
	v_lshlrev_b64 v[4:5], v4, v[2:3]
	v_lshrrev_b32_e32 v6, 3, v3
	v_sub_u32_e32 v5, 29, v7
	v_and_b32_e32 v4, 7, v4
	v_cmp_gt_u32_e32 vcc, 8, v3
	v_cndmask_b32_e32 v3, v6, v5, vcc
	v_cndmask_b32_e32 v1, v1, v4, vcc
	v_lshlrev_b32_e32 v2, 24, v2
	v_lshlrev_b32_e32 v1, 20, v1
	v_and_b32_e32 v2, 0x80000000, v2
	v_lshl_add_u32 v3, v3, 23, v51
	v_or3_b32 v1, v2, v3, v1
.LBB4_2720:                             ;   in Loop: Header=BB4_2615 Depth=2
	s_or_b64 exec, exec, s[56:57]
.LBB4_2721:                             ;   in Loop: Header=BB4_2615 Depth=2
	s_or_b64 exec, exec, s[20:21]
.LBB4_2722:                             ;   in Loop: Header=BB4_2615 Depth=2
	s_or_b64 exec, exec, s[18:19]
	v_max_f32_e32 v1, v1, v1
	v_max_f32_e32 v0, v0, v0
	v_min_f32_e32 v1, v0, v1
.LBB4_2723:                             ;   in Loop: Header=BB4_2615 Depth=2
	v_and_b32_sdwa v0, v1, s69 dst_sel:DWORD dst_unused:UNUSED_PAD src0_sel:BYTE_3 src1_sel:DWORD
	v_and_b32_e32 v2, 0x7f800000, v1
	v_mov_b32_e32 v3, v53
	v_and_b32_e32 v52, 0x7fffff, v1
	v_or_b32_e32 v35, 0x7e, v0
	v_cmp_ne_u64_e32 vcc, s[40:41], v[2:3]
	s_and_saveexec_b64 s[18:19], vcc
	s_xor_b64 s[20:21], exec, s[18:19]
	s_cbranch_execz .LBB4_2733
; %bb.2724:                             ;   in Loop: Header=BB4_2615 Depth=2
	v_and_b32_e32 v2, 0x7fffffff, v1
	v_mov_b32_e32 v3, v53
	v_cmp_gt_u64_e32 vcc, s[42:43], v[2:3]
	s_and_saveexec_b64 s[56:57], vcc
	s_cbranch_execz .LBB4_2732
; %bb.2725:                             ;   in Loop: Header=BB4_2615 Depth=2
	v_cmp_ne_u32_e32 vcc, 0, v1
	v_mov_b32_e32 v35, 0
	s_and_saveexec_b64 s[58:59], vcc
	s_cbranch_execz .LBB4_2731
; %bb.2726:                             ;   in Loop: Header=BB4_2615 Depth=2
	v_bfe_u32 v1, v1, 23, 8
	v_sub_u32_e32 v3, 0x79, v1
	v_cmp_gt_u32_e32 vcc, s73, v1
	v_add_u32_e32 v2, 0xffffff81, v1
	v_cndmask_b32_e32 v3, 0, v3, vcc
	v_cmp_eq_u32_e32 vcc, 0, v1
	v_mov_b32_e32 v1, 0xffffff82
	v_cndmask_b32_e32 v1, v2, v1, vcc
	v_mov_b32_e32 v2, 0x78
	v_or_b32_e32 v4, 0x800000, v52
	v_cndmask_b32_e32 v8, v3, v2, vcc
	v_cndmask_b32_e32 v52, v4, v52, vcc
	v_add_u32_e32 v2, 20, v8
	v_lshlrev_b64 v[2:3], v2, -1
	v_lshrrev_b64 v[6:7], v8, v[52:53]
	v_not_b32_e32 v3, v3
	v_not_b32_e32 v2, v2
	v_add_u32_e32 v4, 19, v8
	v_lshrrev_b32_e32 v9, 23, v6
	v_and_b32_e32 v3, 0, v3
	v_and_b32_e32 v2, v52, v2
	v_lshlrev_b64 v[4:5], v4, 1
	v_add3_u32 v27, v8, v1, v9
	v_bfe_u32 v1, v6, 20, 1
	v_add_u32_e32 v1, -1, v1
	v_cmp_eq_u64_e32 vcc, v[2:3], v[4:5]
	v_cndmask_b32_e32 v1, 0, v1, vcc
	v_add_u32_e32 v1, v1, v6
	v_and_b32_e32 v1, 0xfffff, v1
	v_add_co_u32_e32 v2, vcc, v1, v6
	v_add_u32_e32 v26, 6, v27
	v_addc_co_u32_e32 v3, vcc, 0, v7, vcc
	v_cmp_ne_u32_e32 vcc, 0, v26
                                        ; implicit-def: $vgpr1
	s_and_saveexec_b64 s[18:19], vcc
	s_xor_b64 s[18:19], exec, s[18:19]
; %bb.2727:                             ;   in Loop: Header=BB4_2615 Depth=2
	v_cmp_lt_u64_e32 vcc, s[46:47], v[2:3]
	v_add_u32_e32 v1, 7, v27
	v_cndmask_b32_e64 v4, 0, 1, vcc
	v_cndmask_b32_e32 v1, v26, v1, vcc
	v_lshrrev_b64 v[2:3], v4, v[2:3]
; %bb.2728:                             ;   in Loop: Header=BB4_2615 Depth=2
	s_andn2_saveexec_b64 s[18:19], s[18:19]
; %bb.2729:                             ;   in Loop: Header=BB4_2615 Depth=2
	v_bfe_u32 v1, v2, 23, 1
; %bb.2730:                             ;   in Loop: Header=BB4_2615 Depth=2
	s_or_b64 exec, exec, s[18:19]
	v_lshrrev_b64 v[2:3], 20, v[2:3]
	v_cmp_gt_i32_e32 vcc, 16, v1
	v_cndmask_b32_e32 v3, 0, v3, vcc
	v_cndmask_b32_e32 v2, 7, v2, vcc
	v_cmp_eq_u32_e32 vcc, 0, v1
	v_min_i32_e32 v1, 15, v1
	v_cmp_eq_u64_e64 s[18:19], 0, v[2:3]
	v_lshlrev_b32_e32 v1, 3, v1
	v_and_or_b32 v1, v2, 7, v1
	s_and_b64 s[18:19], vcc, s[18:19]
	v_cndmask_b32_e64 v1, v1, 0, s[18:19]
	v_or_b32_e32 v35, v1, v0
.LBB4_2731:                             ;   in Loop: Header=BB4_2615 Depth=2
	s_or_b64 exec, exec, s[58:59]
.LBB4_2732:                             ;   in Loop: Header=BB4_2615 Depth=2
	s_or_b64 exec, exec, s[56:57]
                                        ; implicit-def: $vgpr1
.LBB4_2733:                             ;   in Loop: Header=BB4_2615 Depth=2
	s_andn2_saveexec_b64 s[18:19], s[20:21]
; %bb.2734:                             ;   in Loop: Header=BB4_2615 Depth=2
	v_or_b32_sdwa v0, v1, s71 dst_sel:DWORD dst_unused:UNUSED_PAD src0_sel:BYTE_3 src1_sel:DWORD
	v_cmp_eq_u64_e32 vcc, 0, v[52:53]
	v_cndmask_b32_e32 v35, v0, v35, vcc
; %bb.2735:                             ;   in Loop: Header=BB4_2615 Depth=2
	s_or_b64 exec, exec, s[18:19]
	v_lshrrev_b32_e32 v28, 24, v22
	v_lshrrev_b32_e32 v2, 24, v18
	v_cmp_lt_u32_e64 s[18:19], s45, v22
	s_and_b64 vcc, exec, s[54:55]
	s_cbranch_vccz .LBB4_2749
; %bb.2736:                             ;   in Loop: Header=BB4_2615 Depth=2
	v_mov_b32_e32 v1, 0
	v_mov_b32_e32 v0, 0
	s_and_saveexec_b64 s[20:21], s[18:19]
	s_cbranch_execz .LBB4_2742
; %bb.2737:                             ;   in Loop: Header=BB4_2615 Depth=2
	v_cmp_ne_u32_e32 vcc, s69, v28
	v_bfrev_b32_e32 v0, 1
	s_and_saveexec_b64 s[56:57], vcc
	s_cbranch_execz .LBB4_2741
; %bb.2738:                             ;   in Loop: Header=BB4_2615 Depth=2
	v_bfe_u32 v3, v22, 24, 7
	v_cmp_ne_u32_e32 vcc, s71, v3
	v_mov_b32_e32 v0, 0x7f800001
	s_and_saveexec_b64 s[58:59], vcc
	s_cbranch_execz .LBB4_2740
; %bb.2739:                             ;   in Loop: Header=BB4_2615 Depth=2
	v_and_b32_e32 v0, 7, v28
	v_ffbh_u32_e32 v4, v0
	v_min_u32_e32 v7, 32, v4
	v_subrev_u32_e32 v4, 28, v7
	v_lshlrev_b64 v[4:5], v4, v[28:29]
	v_lshrrev_b32_e32 v6, 3, v3
	v_sub_u32_e32 v5, 29, v7
	v_and_b32_e32 v4, 7, v4
	v_cmp_gt_u32_e32 vcc, 8, v3
	v_cndmask_b32_e32 v3, v6, v5, vcc
	v_cndmask_b32_e32 v0, v0, v4, vcc
	v_lshlrev_b32_e32 v4, 24, v28
	v_lshlrev_b32_e32 v0, 20, v0
	v_and_b32_e32 v4, 0x80000000, v4
	v_lshl_add_u32 v3, v3, 23, v51
	v_or3_b32 v0, v4, v3, v0
.LBB4_2740:                             ;   in Loop: Header=BB4_2615 Depth=2
	s_or_b64 exec, exec, s[58:59]
.LBB4_2741:                             ;   in Loop: Header=BB4_2615 Depth=2
	s_or_b64 exec, exec, s[56:57]
.LBB4_2742:                             ;   in Loop: Header=BB4_2615 Depth=2
	s_or_b64 exec, exec, s[20:21]
	v_cmp_lt_u32_e32 vcc, s45, v18
	s_and_saveexec_b64 s[20:21], vcc
	s_cbranch_execz .LBB4_2748
; %bb.2743:                             ;   in Loop: Header=BB4_2615 Depth=2
	v_cmp_ne_u32_e32 vcc, s69, v2
	v_bfrev_b32_e32 v1, 1
	s_and_saveexec_b64 s[56:57], vcc
	s_cbranch_execz .LBB4_2747
; %bb.2744:                             ;   in Loop: Header=BB4_2615 Depth=2
	v_bfe_u32 v3, v18, 24, 7
	v_cmp_ne_u32_e32 vcc, s71, v3
	v_mov_b32_e32 v1, 0x7f800001
	s_and_saveexec_b64 s[58:59], vcc
	s_cbranch_execz .LBB4_2746
; %bb.2745:                             ;   in Loop: Header=BB4_2615 Depth=2
	v_and_b32_e32 v1, 7, v2
	v_ffbh_u32_e32 v4, v1
	v_min_u32_e32 v7, 32, v4
	v_subrev_u32_e32 v4, 28, v7
	v_lshlrev_b64 v[4:5], v4, v[2:3]
	v_lshrrev_b32_e32 v6, 3, v3
	v_sub_u32_e32 v5, 29, v7
	v_and_b32_e32 v4, 7, v4
	v_cmp_gt_u32_e32 vcc, 8, v3
	v_cndmask_b32_e32 v3, v6, v5, vcc
	v_cndmask_b32_e32 v1, v1, v4, vcc
	v_lshlrev_b32_e32 v4, 24, v2
	v_lshlrev_b32_e32 v1, 20, v1
	v_and_b32_e32 v4, 0x80000000, v4
	v_lshl_add_u32 v3, v3, 23, v51
	v_or3_b32 v1, v4, v3, v1
.LBB4_2746:                             ;   in Loop: Header=BB4_2615 Depth=2
	s_or_b64 exec, exec, s[58:59]
.LBB4_2747:                             ;   in Loop: Header=BB4_2615 Depth=2
	s_or_b64 exec, exec, s[56:57]
.LBB4_2748:                             ;   in Loop: Header=BB4_2615 Depth=2
	s_or_b64 exec, exec, s[20:21]
	v_max_f32_e32 v1, v1, v1
	v_max_f32_e32 v0, v0, v0
	;; [unrolled: 1-line block ×3, first 2 shown]
	s_branch .LBB4_2763
.LBB4_2749:                             ;   in Loop: Header=BB4_2615 Depth=2
                                        ; implicit-def: $vgpr1
	s_cbranch_execz .LBB4_2763
; %bb.2750:                             ;   in Loop: Header=BB4_2615 Depth=2
	v_mov_b32_e32 v1, 0
	v_mov_b32_e32 v0, 0
	s_and_saveexec_b64 s[20:21], s[18:19]
	s_cbranch_execz .LBB4_2756
; %bb.2751:                             ;   in Loop: Header=BB4_2615 Depth=2
	v_cmp_ne_u32_e32 vcc, s69, v28
	v_bfrev_b32_e32 v0, 1
	s_and_saveexec_b64 s[18:19], vcc
	s_cbranch_execz .LBB4_2755
; %bb.2752:                             ;   in Loop: Header=BB4_2615 Depth=2
	v_bfe_u32 v3, v22, 24, 7
	v_cmp_ne_u32_e32 vcc, s71, v3
	v_mov_b32_e32 v0, 0x7f800001
	s_and_saveexec_b64 s[56:57], vcc
	s_cbranch_execz .LBB4_2754
; %bb.2753:                             ;   in Loop: Header=BB4_2615 Depth=2
	v_and_b32_e32 v0, 7, v28
	v_ffbh_u32_e32 v4, v0
	v_min_u32_e32 v7, 32, v4
	v_subrev_u32_e32 v4, 28, v7
	v_lshlrev_b64 v[4:5], v4, v[28:29]
	v_lshrrev_b32_e32 v6, 3, v3
	v_sub_u32_e32 v5, 29, v7
	v_and_b32_e32 v4, 7, v4
	v_cmp_gt_u32_e32 vcc, 8, v3
	v_cndmask_b32_e32 v3, v6, v5, vcc
	v_cndmask_b32_e32 v0, v0, v4, vcc
	v_lshlrev_b32_e32 v4, 24, v28
	v_lshlrev_b32_e32 v0, 20, v0
	v_and_b32_e32 v4, 0x80000000, v4
	v_lshl_add_u32 v3, v3, 23, v51
	v_or3_b32 v0, v4, v3, v0
.LBB4_2754:                             ;   in Loop: Header=BB4_2615 Depth=2
	s_or_b64 exec, exec, s[56:57]
.LBB4_2755:                             ;   in Loop: Header=BB4_2615 Depth=2
	s_or_b64 exec, exec, s[18:19]
.LBB4_2756:                             ;   in Loop: Header=BB4_2615 Depth=2
	s_or_b64 exec, exec, s[20:21]
	v_cmp_lt_u32_e32 vcc, s45, v18
	s_and_saveexec_b64 s[18:19], vcc
	s_cbranch_execz .LBB4_2762
; %bb.2757:                             ;   in Loop: Header=BB4_2615 Depth=2
	v_cmp_ne_u32_e32 vcc, s69, v2
	v_bfrev_b32_e32 v1, 1
	s_and_saveexec_b64 s[20:21], vcc
	s_cbranch_execz .LBB4_2761
; %bb.2758:                             ;   in Loop: Header=BB4_2615 Depth=2
	v_bfe_u32 v3, v18, 24, 7
	v_cmp_ne_u32_e32 vcc, s71, v3
	v_mov_b32_e32 v1, 0x7f800001
	s_and_saveexec_b64 s[56:57], vcc
	s_cbranch_execz .LBB4_2760
; %bb.2759:                             ;   in Loop: Header=BB4_2615 Depth=2
	v_and_b32_e32 v1, 7, v2
	v_ffbh_u32_e32 v4, v1
	v_min_u32_e32 v7, 32, v4
	v_subrev_u32_e32 v4, 28, v7
	v_lshlrev_b64 v[4:5], v4, v[2:3]
	v_lshrrev_b32_e32 v6, 3, v3
	v_sub_u32_e32 v5, 29, v7
	v_and_b32_e32 v4, 7, v4
	v_cmp_gt_u32_e32 vcc, 8, v3
	v_cndmask_b32_e32 v3, v6, v5, vcc
	v_cndmask_b32_e32 v1, v1, v4, vcc
	v_lshlrev_b32_e32 v2, 24, v2
	v_lshlrev_b32_e32 v1, 20, v1
	v_and_b32_e32 v2, 0x80000000, v2
	v_lshl_add_u32 v3, v3, 23, v51
	v_or3_b32 v1, v2, v3, v1
.LBB4_2760:                             ;   in Loop: Header=BB4_2615 Depth=2
	s_or_b64 exec, exec, s[56:57]
.LBB4_2761:                             ;   in Loop: Header=BB4_2615 Depth=2
	s_or_b64 exec, exec, s[20:21]
.LBB4_2762:                             ;   in Loop: Header=BB4_2615 Depth=2
	s_or_b64 exec, exec, s[18:19]
	v_max_f32_e32 v1, v1, v1
	v_max_f32_e32 v0, v0, v0
	v_min_f32_e32 v1, v0, v1
.LBB4_2763:                             ;   in Loop: Header=BB4_2615 Depth=2
	v_and_b32_sdwa v0, v1, s69 dst_sel:DWORD dst_unused:UNUSED_PAD src0_sel:BYTE_3 src1_sel:DWORD
	v_and_b32_e32 v2, 0x7f800000, v1
	v_mov_b32_e32 v3, v53
	v_and_b32_e32 v52, 0x7fffff, v1
	v_or_b32_e32 v5, 0x7e, v0
	v_cmp_ne_u64_e32 vcc, s[40:41], v[2:3]
	s_and_saveexec_b64 s[18:19], vcc
	s_xor_b64 s[20:21], exec, s[18:19]
	s_cbranch_execz .LBB4_2773
; %bb.2764:                             ;   in Loop: Header=BB4_2615 Depth=2
	v_and_b32_e32 v2, 0x7fffffff, v1
	v_mov_b32_e32 v3, v53
	v_cmp_gt_u64_e32 vcc, s[42:43], v[2:3]
	s_and_saveexec_b64 s[56:57], vcc
	s_cbranch_execz .LBB4_2772
; %bb.2765:                             ;   in Loop: Header=BB4_2615 Depth=2
	v_cmp_ne_u32_e32 vcc, 0, v1
	v_mov_b32_e32 v5, 0
	s_and_saveexec_b64 s[58:59], vcc
	s_cbranch_execz .LBB4_2771
; %bb.2766:                             ;   in Loop: Header=BB4_2615 Depth=2
	v_bfe_u32 v1, v1, 23, 8
	v_sub_u32_e32 v3, 0x79, v1
	v_cmp_gt_u32_e32 vcc, s73, v1
	v_add_u32_e32 v2, 0xffffff81, v1
	v_cndmask_b32_e32 v3, 0, v3, vcc
	v_cmp_eq_u32_e32 vcc, 0, v1
	v_mov_b32_e32 v1, 0xffffff82
	v_cndmask_b32_e32 v1, v2, v1, vcc
	v_mov_b32_e32 v2, 0x78
	v_or_b32_e32 v4, 0x800000, v52
	v_cndmask_b32_e32 v8, v3, v2, vcc
	v_cndmask_b32_e32 v52, v4, v52, vcc
	v_add_u32_e32 v2, 20, v8
	v_lshlrev_b64 v[2:3], v2, -1
	v_lshrrev_b64 v[6:7], v8, v[52:53]
	v_not_b32_e32 v3, v3
	v_not_b32_e32 v2, v2
	v_add_u32_e32 v4, 19, v8
	v_lshrrev_b32_e32 v9, 23, v6
	v_and_b32_e32 v3, 0, v3
	v_and_b32_e32 v2, v52, v2
	v_lshlrev_b64 v[4:5], v4, 1
	v_add3_u32 v27, v8, v1, v9
	v_bfe_u32 v1, v6, 20, 1
	v_add_u32_e32 v1, -1, v1
	v_cmp_eq_u64_e32 vcc, v[2:3], v[4:5]
	v_cndmask_b32_e32 v1, 0, v1, vcc
	v_add_u32_e32 v1, v1, v6
	v_and_b32_e32 v1, 0xfffff, v1
	v_add_co_u32_e32 v2, vcc, v1, v6
	v_add_u32_e32 v26, 6, v27
	v_addc_co_u32_e32 v3, vcc, 0, v7, vcc
	v_cmp_ne_u32_e32 vcc, 0, v26
                                        ; implicit-def: $vgpr1
	s_and_saveexec_b64 s[18:19], vcc
	s_xor_b64 s[18:19], exec, s[18:19]
; %bb.2767:                             ;   in Loop: Header=BB4_2615 Depth=2
	v_cmp_lt_u64_e32 vcc, s[46:47], v[2:3]
	v_add_u32_e32 v1, 7, v27
	v_cndmask_b32_e64 v4, 0, 1, vcc
	v_cndmask_b32_e32 v1, v26, v1, vcc
	v_lshrrev_b64 v[2:3], v4, v[2:3]
; %bb.2768:                             ;   in Loop: Header=BB4_2615 Depth=2
	s_andn2_saveexec_b64 s[18:19], s[18:19]
; %bb.2769:                             ;   in Loop: Header=BB4_2615 Depth=2
	v_bfe_u32 v1, v2, 23, 1
; %bb.2770:                             ;   in Loop: Header=BB4_2615 Depth=2
	s_or_b64 exec, exec, s[18:19]
	v_lshrrev_b64 v[2:3], 20, v[2:3]
	v_cmp_gt_i32_e32 vcc, 16, v1
	v_cndmask_b32_e32 v3, 0, v3, vcc
	v_cndmask_b32_e32 v2, 7, v2, vcc
	v_cmp_eq_u32_e32 vcc, 0, v1
	v_min_i32_e32 v1, 15, v1
	v_cmp_eq_u64_e64 s[18:19], 0, v[2:3]
	v_lshlrev_b32_e32 v1, 3, v1
	v_and_or_b32 v1, v2, 7, v1
	s_and_b64 s[18:19], vcc, s[18:19]
	v_cndmask_b32_e64 v1, v1, 0, s[18:19]
	v_or_b32_e32 v5, v1, v0
.LBB4_2771:                             ;   in Loop: Header=BB4_2615 Depth=2
	s_or_b64 exec, exec, s[58:59]
.LBB4_2772:                             ;   in Loop: Header=BB4_2615 Depth=2
	s_or_b64 exec, exec, s[56:57]
                                        ; implicit-def: $vgpr1
.LBB4_2773:                             ;   in Loop: Header=BB4_2615 Depth=2
	s_andn2_saveexec_b64 s[18:19], s[20:21]
; %bb.2774:                             ;   in Loop: Header=BB4_2615 Depth=2
	v_or_b32_sdwa v0, v1, s71 dst_sel:DWORD dst_unused:UNUSED_PAD src0_sel:BYTE_3 src1_sel:DWORD
	v_cmp_eq_u64_e32 vcc, 0, v[52:53]
	v_cndmask_b32_e32 v5, v0, v5, vcc
; %bb.2775:                             ;   in Loop: Header=BB4_2615 Depth=2
	s_or_b64 exec, exec, s[18:19]
	v_mov_b32_e32 v52, v23
	v_mov_b32_e32 v2, v19
	;; [unrolled: 1-line block ×3, first 2 shown]
	v_cmp_ne_u16_sdwa s[18:19], v23, v53 src0_sel:BYTE_0 src1_sel:DWORD
	s_and_b64 vcc, exec, s[54:55]
	s_cbranch_vccz .LBB4_2789
; %bb.2776:                             ;   in Loop: Header=BB4_2615 Depth=2
	v_mov_b32_e32 v1, 0
	v_mov_b32_e32 v0, 0
	s_and_saveexec_b64 s[20:21], s[18:19]
	s_cbranch_execz .LBB4_2782
; %bb.2777:                             ;   in Loop: Header=BB4_2615 Depth=2
	v_cmp_ne_u16_sdwa vcc, v23, s69 src0_sel:BYTE_0 src1_sel:DWORD
	v_bfrev_b32_e32 v0, 1
	s_and_saveexec_b64 s[56:57], vcc
	s_cbranch_execz .LBB4_2781
; %bb.2778:                             ;   in Loop: Header=BB4_2615 Depth=2
	v_and_b32_e32 v4, 0x7f, v23
	v_cmp_ne_u32_e32 vcc, s71, v4
	v_mov_b32_e32 v0, 0x7f800001
	s_and_saveexec_b64 s[58:59], vcc
	s_cbranch_execz .LBB4_2780
; %bb.2779:                             ;   in Loop: Header=BB4_2615 Depth=2
	v_and_b32_e32 v0, 7, v23
	v_ffbh_u32_e32 v0, v0
	v_min_u32_e32 v0, 32, v0
	v_subrev_u32_e32 v7, 28, v0
	v_cmp_gt_u32_e32 vcc, 8, v4
	v_lshrrev_b32_e32 v6, 3, v4
	v_sub_u32_e32 v0, 29, v0
	v_cndmask_b32_e32 v4, 0, v7, vcc
	v_cndmask_b32_e32 v0, v6, v0, vcc
	v_lshlrev_b64 v[6:7], v4, v[52:53]
	v_lshlrev_b32_e32 v4, 20, v6
	v_lshlrev_b32_e32 v6, 24, v52
	v_and_b32_e32 v4, 0x700000, v4
	v_and_b32_e32 v6, 0x80000000, v6
	v_lshl_add_u32 v0, v0, 23, v51
	v_or3_b32 v0, v6, v0, v4
.LBB4_2780:                             ;   in Loop: Header=BB4_2615 Depth=2
	s_or_b64 exec, exec, s[58:59]
.LBB4_2781:                             ;   in Loop: Header=BB4_2615 Depth=2
	s_or_b64 exec, exec, s[56:57]
.LBB4_2782:                             ;   in Loop: Header=BB4_2615 Depth=2
	s_or_b64 exec, exec, s[20:21]
	v_cmp_ne_u16_sdwa vcc, v19, v53 src0_sel:BYTE_0 src1_sel:DWORD
	s_and_saveexec_b64 s[20:21], vcc
	s_cbranch_execz .LBB4_2788
; %bb.2783:                             ;   in Loop: Header=BB4_2615 Depth=2
	v_cmp_ne_u16_sdwa vcc, v19, s69 src0_sel:BYTE_0 src1_sel:DWORD
	v_bfrev_b32_e32 v1, 1
	s_and_saveexec_b64 s[56:57], vcc
	s_cbranch_execz .LBB4_2787
; %bb.2784:                             ;   in Loop: Header=BB4_2615 Depth=2
	v_and_b32_e32 v4, 0x7f, v19
	v_cmp_ne_u32_e32 vcc, s71, v4
	v_mov_b32_e32 v1, 0x7f800001
	s_and_saveexec_b64 s[58:59], vcc
	s_cbranch_execz .LBB4_2786
; %bb.2785:                             ;   in Loop: Header=BB4_2615 Depth=2
	v_and_b32_e32 v1, 7, v19
	v_ffbh_u32_e32 v1, v1
	v_min_u32_e32 v1, 32, v1
	v_subrev_u32_e32 v7, 28, v1
	v_cmp_gt_u32_e32 vcc, 8, v4
	v_lshrrev_b32_e32 v6, 3, v4
	v_sub_u32_e32 v1, 29, v1
	v_cndmask_b32_e32 v4, 0, v7, vcc
	v_cndmask_b32_e32 v1, v6, v1, vcc
	v_lshlrev_b64 v[6:7], v4, v[2:3]
	v_lshlrev_b32_e32 v4, 20, v6
	v_lshlrev_b32_e32 v6, 24, v2
	v_and_b32_e32 v4, 0x700000, v4
	v_and_b32_e32 v6, 0x80000000, v6
	v_lshl_add_u32 v1, v1, 23, v51
	v_or3_b32 v1, v6, v1, v4
.LBB4_2786:                             ;   in Loop: Header=BB4_2615 Depth=2
	s_or_b64 exec, exec, s[58:59]
.LBB4_2787:                             ;   in Loop: Header=BB4_2615 Depth=2
	s_or_b64 exec, exec, s[56:57]
.LBB4_2788:                             ;   in Loop: Header=BB4_2615 Depth=2
	s_or_b64 exec, exec, s[20:21]
	v_max_f32_e32 v1, v1, v1
	v_max_f32_e32 v0, v0, v0
	;; [unrolled: 1-line block ×3, first 2 shown]
	s_branch .LBB4_2803
.LBB4_2789:                             ;   in Loop: Header=BB4_2615 Depth=2
                                        ; implicit-def: $vgpr1
	s_cbranch_execz .LBB4_2803
; %bb.2790:                             ;   in Loop: Header=BB4_2615 Depth=2
	v_mov_b32_e32 v1, 0
	v_mov_b32_e32 v0, 0
	s_and_saveexec_b64 s[20:21], s[18:19]
	s_cbranch_execz .LBB4_2796
; %bb.2791:                             ;   in Loop: Header=BB4_2615 Depth=2
	v_cmp_ne_u16_sdwa vcc, v23, s69 src0_sel:BYTE_0 src1_sel:DWORD
	v_bfrev_b32_e32 v0, 1
	s_and_saveexec_b64 s[18:19], vcc
	s_cbranch_execz .LBB4_2795
; %bb.2792:                             ;   in Loop: Header=BB4_2615 Depth=2
	v_and_b32_e32 v4, 0x7f, v23
	v_cmp_ne_u32_e32 vcc, s71, v4
	v_mov_b32_e32 v0, 0x7f800001
	s_and_saveexec_b64 s[56:57], vcc
	s_cbranch_execz .LBB4_2794
; %bb.2793:                             ;   in Loop: Header=BB4_2615 Depth=2
	v_and_b32_e32 v0, 7, v23
	v_ffbh_u32_e32 v0, v0
	v_min_u32_e32 v0, 32, v0
	v_subrev_u32_e32 v7, 28, v0
	v_cmp_gt_u32_e32 vcc, 8, v4
	v_lshrrev_b32_e32 v6, 3, v4
	v_sub_u32_e32 v0, 29, v0
	v_cndmask_b32_e32 v4, 0, v7, vcc
	v_cndmask_b32_e32 v0, v6, v0, vcc
	v_lshlrev_b64 v[6:7], v4, v[52:53]
	v_lshlrev_b32_e32 v4, 20, v6
	v_lshlrev_b32_e32 v6, 24, v52
	v_and_b32_e32 v4, 0x700000, v4
	v_and_b32_e32 v6, 0x80000000, v6
	v_lshl_add_u32 v0, v0, 23, v51
	v_or3_b32 v0, v6, v0, v4
.LBB4_2794:                             ;   in Loop: Header=BB4_2615 Depth=2
	s_or_b64 exec, exec, s[56:57]
.LBB4_2795:                             ;   in Loop: Header=BB4_2615 Depth=2
	s_or_b64 exec, exec, s[18:19]
.LBB4_2796:                             ;   in Loop: Header=BB4_2615 Depth=2
	s_or_b64 exec, exec, s[20:21]
	v_cmp_ne_u16_sdwa s[20:21], v19, v53 src0_sel:BYTE_0 src1_sel:DWORD
	s_and_saveexec_b64 s[18:19], s[20:21]
	s_cbranch_execz .LBB4_2802
; %bb.2797:                             ;   in Loop: Header=BB4_2615 Depth=2
	v_cmp_ne_u16_sdwa vcc, v19, s69 src0_sel:BYTE_0 src1_sel:DWORD
	v_bfrev_b32_e32 v1, 1
	s_and_saveexec_b64 s[20:21], vcc
	s_cbranch_execz .LBB4_2801
; %bb.2798:                             ;   in Loop: Header=BB4_2615 Depth=2
	v_and_b32_e32 v4, 0x7f, v19
	v_cmp_ne_u32_e32 vcc, s71, v4
	v_mov_b32_e32 v1, 0x7f800001
	s_and_saveexec_b64 s[56:57], vcc
	s_cbranch_execz .LBB4_2800
; %bb.2799:                             ;   in Loop: Header=BB4_2615 Depth=2
	v_and_b32_e32 v1, 7, v19
	v_ffbh_u32_e32 v1, v1
	v_min_u32_e32 v1, 32, v1
	v_subrev_u32_e32 v7, 28, v1
	v_cmp_gt_u32_e32 vcc, 8, v4
	v_lshrrev_b32_e32 v6, 3, v4
	v_sub_u32_e32 v1, 29, v1
	v_cndmask_b32_e32 v4, 0, v7, vcc
	v_cndmask_b32_e32 v1, v6, v1, vcc
	v_lshlrev_b64 v[6:7], v4, v[2:3]
	v_lshlrev_b32_e32 v3, 20, v6
	v_lshlrev_b32_e32 v4, 24, v2
	v_and_b32_e32 v3, 0x700000, v3
	v_and_b32_e32 v4, 0x80000000, v4
	v_lshl_add_u32 v1, v1, 23, v51
	v_or3_b32 v1, v4, v1, v3
.LBB4_2800:                             ;   in Loop: Header=BB4_2615 Depth=2
	s_or_b64 exec, exec, s[56:57]
.LBB4_2801:                             ;   in Loop: Header=BB4_2615 Depth=2
	s_or_b64 exec, exec, s[20:21]
.LBB4_2802:                             ;   in Loop: Header=BB4_2615 Depth=2
	s_or_b64 exec, exec, s[18:19]
	v_max_f32_e32 v1, v1, v1
	v_max_f32_e32 v0, v0, v0
	v_min_f32_e32 v1, v0, v1
.LBB4_2803:                             ;   in Loop: Header=BB4_2615 Depth=2
	v_and_b32_sdwa v0, v1, s69 dst_sel:DWORD dst_unused:UNUSED_PAD src0_sel:BYTE_3 src1_sel:DWORD
	v_and_b32_e32 v6, 0x7f800000, v1
	v_mov_b32_e32 v7, v53
	v_and_b32_e32 v30, 0x7fffff, v1
	v_mov_b32_e32 v31, v53
	v_or_b32_e32 v41, 0x7e, v0
	v_cmp_ne_u64_e32 vcc, s[40:41], v[6:7]
	s_and_saveexec_b64 s[18:19], vcc
	s_xor_b64 s[20:21], exec, s[18:19]
	s_cbranch_execz .LBB4_2813
; %bb.2804:                             ;   in Loop: Header=BB4_2615 Depth=2
	v_and_b32_e32 v6, 0x7fffffff, v1
	v_mov_b32_e32 v7, v53
	v_cmp_gt_u64_e32 vcc, s[42:43], v[6:7]
	s_and_saveexec_b64 s[56:57], vcc
	s_cbranch_execz .LBB4_2812
; %bb.2805:                             ;   in Loop: Header=BB4_2615 Depth=2
	v_cmp_ne_u32_e32 vcc, 0, v1
	v_mov_b32_e32 v41, 0
	s_and_saveexec_b64 s[58:59], vcc
	s_cbranch_execz .LBB4_2811
; %bb.2806:                             ;   in Loop: Header=BB4_2615 Depth=2
	v_bfe_u32 v1, v1, 23, 8
	v_sub_u32_e32 v4, 0x79, v1
	v_cmp_gt_u32_e32 vcc, s73, v1
	v_add_u32_e32 v3, 0xffffff81, v1
	v_cndmask_b32_e32 v4, 0, v4, vcc
	v_cmp_eq_u32_e32 vcc, 0, v1
	v_mov_b32_e32 v1, 0xffffff82
	v_cndmask_b32_e32 v1, v3, v1, vcc
	v_mov_b32_e32 v3, 0x78
	v_cndmask_b32_e32 v3, v4, v3, vcc
	v_or_b32_e32 v6, 0x800000, v30
	v_add_u32_e32 v4, 20, v3
	v_cndmask_b32_e32 v30, v6, v30, vcc
	v_lshlrev_b64 v[6:7], v4, -1
	v_not_b32_e32 v4, v7
	v_and_b32_e32 v7, 0, v4
	v_add_u32_e32 v4, 19, v3
	v_lshrrev_b64 v[28:29], v3, v[30:31]
	v_not_b32_e32 v6, v6
	v_lshlrev_b64 v[8:9], v4, 1
	v_lshrrev_b32_e32 v4, 23, v28
	v_and_b32_e32 v6, v30, v6
	v_add3_u32 v26, v3, v1, v4
	v_bfe_u32 v1, v28, 20, 1
	v_add_u32_e32 v1, -1, v1
	v_cmp_eq_u64_e32 vcc, v[6:7], v[8:9]
	v_cndmask_b32_e32 v1, 0, v1, vcc
	v_add_u32_e32 v1, v1, v28
	v_and_b32_e32 v1, 0xfffff, v1
	v_add_co_u32_e32 v30, vcc, v1, v28
	v_add_u32_e32 v3, 6, v26
	v_addc_co_u32_e32 v31, vcc, 0, v29, vcc
	v_cmp_ne_u32_e32 vcc, 0, v3
                                        ; implicit-def: $vgpr1
	s_and_saveexec_b64 s[18:19], vcc
	s_xor_b64 s[18:19], exec, s[18:19]
; %bb.2807:                             ;   in Loop: Header=BB4_2615 Depth=2
	v_add_u32_e32 v1, 7, v26
	v_cmp_lt_u64_e32 vcc, s[46:47], v[30:31]
	v_cndmask_b32_e32 v1, v3, v1, vcc
	v_cndmask_b32_e64 v3, 0, 1, vcc
	v_lshrrev_b64 v[30:31], v3, v[30:31]
; %bb.2808:                             ;   in Loop: Header=BB4_2615 Depth=2
	s_andn2_saveexec_b64 s[18:19], s[18:19]
; %bb.2809:                             ;   in Loop: Header=BB4_2615 Depth=2
	v_bfe_u32 v1, v30, 23, 1
; %bb.2810:                             ;   in Loop: Header=BB4_2615 Depth=2
	s_or_b64 exec, exec, s[18:19]
	v_lshrrev_b64 v[6:7], 20, v[30:31]
	v_cmp_gt_i32_e32 vcc, 16, v1
	v_cndmask_b32_e32 v7, 0, v7, vcc
	v_cndmask_b32_e32 v6, 7, v6, vcc
	v_cmp_eq_u32_e32 vcc, 0, v1
	v_min_i32_e32 v1, 15, v1
	v_cmp_eq_u64_e64 s[18:19], 0, v[6:7]
	v_lshlrev_b32_e32 v1, 3, v1
	v_and_or_b32 v1, v6, 7, v1
	s_and_b64 s[18:19], vcc, s[18:19]
	v_cndmask_b32_e64 v1, v1, 0, s[18:19]
	v_or_b32_e32 v41, v1, v0
.LBB4_2811:                             ;   in Loop: Header=BB4_2615 Depth=2
	s_or_b64 exec, exec, s[58:59]
.LBB4_2812:                             ;   in Loop: Header=BB4_2615 Depth=2
	s_or_b64 exec, exec, s[56:57]
                                        ; implicit-def: $vgpr1
                                        ; implicit-def: $vgpr30_vgpr31
.LBB4_2813:                             ;   in Loop: Header=BB4_2615 Depth=2
	s_andn2_saveexec_b64 s[18:19], s[20:21]
; %bb.2814:                             ;   in Loop: Header=BB4_2615 Depth=2
	v_or_b32_sdwa v0, v1, s71 dst_sel:DWORD dst_unused:UNUSED_PAD src0_sel:BYTE_3 src1_sel:DWORD
	v_cmp_eq_u64_e32 vcc, 0, v[30:31]
	v_cndmask_b32_e32 v41, v0, v41, vcc
; %bb.2815:                             ;   in Loop: Header=BB4_2615 Depth=2
	s_or_b64 exec, exec, s[18:19]
	v_lshrrev_b16_e32 v30, 8, v52
	v_lshrrev_b16_e32 v28, 8, v2
	v_cmp_ne_u16_e64 s[18:19], 0, v30
	s_and_b64 vcc, exec, s[54:55]
	s_cbranch_vccz .LBB4_2829
; %bb.2816:                             ;   in Loop: Header=BB4_2615 Depth=2
	v_mov_b32_e32 v1, 0
	v_mov_b32_e32 v0, 0
	s_and_saveexec_b64 s[20:21], s[18:19]
	s_cbranch_execz .LBB4_2822
; %bb.2817:                             ;   in Loop: Header=BB4_2615 Depth=2
	v_cmp_ne_u16_e32 vcc, s69, v30
	v_bfrev_b32_e32 v0, 1
	s_and_saveexec_b64 s[56:57], vcc
	s_cbranch_execz .LBB4_2821
; %bb.2818:                             ;   in Loop: Header=BB4_2615 Depth=2
	v_and_b32_e32 v3, 0x7f, v30
	v_cmp_ne_u32_e32 vcc, s71, v3
	v_mov_b32_e32 v0, 0x7f800001
	s_and_saveexec_b64 s[58:59], vcc
	s_cbranch_execz .LBB4_2820
; %bb.2819:                             ;   in Loop: Header=BB4_2615 Depth=2
	v_and_b32_e32 v0, 7, v30
	v_ffbh_u32_e32 v6, v0
	v_min_u32_e32 v8, 32, v6
	v_subrev_u32_e32 v6, 28, v8
	v_lshlrev_b64 v[6:7], v6, v[30:31]
	v_lshrrev_b32_e32 v4, 3, v3
	v_sub_u32_e32 v7, 29, v8
	v_and_b32_e32 v6, 7, v6
	v_cmp_gt_u32_e32 vcc, 8, v3
	v_cndmask_b32_e32 v3, v4, v7, vcc
	v_cndmask_b32_e32 v0, v0, v6, vcc
	v_lshlrev_b32_e32 v4, 16, v52
	v_lshlrev_b32_e32 v0, 20, v0
	v_and_b32_e32 v4, 0x80000000, v4
	v_lshl_add_u32 v3, v3, 23, v51
	v_or3_b32 v0, v4, v3, v0
.LBB4_2820:                             ;   in Loop: Header=BB4_2615 Depth=2
	s_or_b64 exec, exec, s[58:59]
.LBB4_2821:                             ;   in Loop: Header=BB4_2615 Depth=2
	s_or_b64 exec, exec, s[56:57]
.LBB4_2822:                             ;   in Loop: Header=BB4_2615 Depth=2
	s_or_b64 exec, exec, s[20:21]
	v_cmp_ne_u16_e32 vcc, 0, v28
	s_and_saveexec_b64 s[20:21], vcc
	s_cbranch_execz .LBB4_2828
; %bb.2823:                             ;   in Loop: Header=BB4_2615 Depth=2
	v_cmp_ne_u16_e32 vcc, s69, v28
	v_bfrev_b32_e32 v1, 1
	s_and_saveexec_b64 s[56:57], vcc
	s_cbranch_execz .LBB4_2827
; %bb.2824:                             ;   in Loop: Header=BB4_2615 Depth=2
	v_and_b32_e32 v3, 0x7f, v28
	v_cmp_ne_u32_e32 vcc, s71, v3
	v_mov_b32_e32 v1, 0x7f800001
	s_and_saveexec_b64 s[58:59], vcc
	s_cbranch_execz .LBB4_2826
; %bb.2825:                             ;   in Loop: Header=BB4_2615 Depth=2
	v_and_b32_e32 v1, 7, v28
	v_ffbh_u32_e32 v6, v1
	v_min_u32_e32 v8, 32, v6
	v_subrev_u32_e32 v6, 28, v8
	v_lshlrev_b64 v[6:7], v6, v[28:29]
	v_lshrrev_b32_e32 v4, 3, v3
	v_sub_u32_e32 v7, 29, v8
	v_and_b32_e32 v6, 7, v6
	v_cmp_gt_u32_e32 vcc, 8, v3
	v_cndmask_b32_e32 v3, v4, v7, vcc
	v_cndmask_b32_e32 v1, v1, v6, vcc
	v_lshlrev_b32_e32 v4, 16, v2
	v_lshlrev_b32_e32 v1, 20, v1
	v_and_b32_e32 v4, 0x80000000, v4
	v_lshl_add_u32 v3, v3, 23, v51
	v_or3_b32 v1, v4, v3, v1
.LBB4_2826:                             ;   in Loop: Header=BB4_2615 Depth=2
	s_or_b64 exec, exec, s[58:59]
.LBB4_2827:                             ;   in Loop: Header=BB4_2615 Depth=2
	s_or_b64 exec, exec, s[56:57]
.LBB4_2828:                             ;   in Loop: Header=BB4_2615 Depth=2
	s_or_b64 exec, exec, s[20:21]
	v_max_f32_e32 v1, v1, v1
	v_max_f32_e32 v0, v0, v0
	;; [unrolled: 1-line block ×3, first 2 shown]
	s_branch .LBB4_2843
.LBB4_2829:                             ;   in Loop: Header=BB4_2615 Depth=2
                                        ; implicit-def: $vgpr1
	s_cbranch_execz .LBB4_2843
; %bb.2830:                             ;   in Loop: Header=BB4_2615 Depth=2
	v_mov_b32_e32 v1, 0
	v_mov_b32_e32 v0, 0
	s_and_saveexec_b64 s[20:21], s[18:19]
	s_cbranch_execz .LBB4_2836
; %bb.2831:                             ;   in Loop: Header=BB4_2615 Depth=2
	v_cmp_ne_u16_e32 vcc, s69, v30
	v_bfrev_b32_e32 v0, 1
	s_and_saveexec_b64 s[18:19], vcc
	s_cbranch_execz .LBB4_2835
; %bb.2832:                             ;   in Loop: Header=BB4_2615 Depth=2
	v_and_b32_e32 v3, 0x7f, v30
	v_cmp_ne_u32_e32 vcc, s71, v3
	v_mov_b32_e32 v0, 0x7f800001
	s_and_saveexec_b64 s[56:57], vcc
	s_cbranch_execz .LBB4_2834
; %bb.2833:                             ;   in Loop: Header=BB4_2615 Depth=2
	v_and_b32_e32 v0, 7, v30
	v_ffbh_u32_e32 v6, v0
	v_min_u32_e32 v8, 32, v6
	v_subrev_u32_e32 v6, 28, v8
	v_lshlrev_b64 v[6:7], v6, v[30:31]
	v_lshrrev_b32_e32 v4, 3, v3
	v_sub_u32_e32 v7, 29, v8
	v_and_b32_e32 v6, 7, v6
	v_cmp_gt_u32_e32 vcc, 8, v3
	v_cndmask_b32_e32 v3, v4, v7, vcc
	v_cndmask_b32_e32 v0, v0, v6, vcc
	v_lshlrev_b32_e32 v4, 16, v52
	v_lshlrev_b32_e32 v0, 20, v0
	v_and_b32_e32 v4, 0x80000000, v4
	v_lshl_add_u32 v3, v3, 23, v51
	v_or3_b32 v0, v4, v3, v0
.LBB4_2834:                             ;   in Loop: Header=BB4_2615 Depth=2
	s_or_b64 exec, exec, s[56:57]
.LBB4_2835:                             ;   in Loop: Header=BB4_2615 Depth=2
	s_or_b64 exec, exec, s[18:19]
.LBB4_2836:                             ;   in Loop: Header=BB4_2615 Depth=2
	s_or_b64 exec, exec, s[20:21]
	v_cmp_ne_u16_e32 vcc, 0, v28
	s_and_saveexec_b64 s[18:19], vcc
	s_cbranch_execz .LBB4_2842
; %bb.2837:                             ;   in Loop: Header=BB4_2615 Depth=2
	v_cmp_ne_u16_e32 vcc, s69, v28
	v_bfrev_b32_e32 v1, 1
	s_and_saveexec_b64 s[20:21], vcc
	s_cbranch_execz .LBB4_2841
; %bb.2838:                             ;   in Loop: Header=BB4_2615 Depth=2
	v_and_b32_e32 v3, 0x7f, v28
	v_cmp_ne_u32_e32 vcc, s71, v3
	v_mov_b32_e32 v1, 0x7f800001
	s_and_saveexec_b64 s[56:57], vcc
	s_cbranch_execz .LBB4_2840
; %bb.2839:                             ;   in Loop: Header=BB4_2615 Depth=2
	v_and_b32_e32 v1, 7, v28
	v_ffbh_u32_e32 v6, v1
	v_min_u32_e32 v8, 32, v6
	v_subrev_u32_e32 v6, 28, v8
	v_lshlrev_b64 v[6:7], v6, v[28:29]
	v_lshrrev_b32_e32 v4, 3, v3
	v_sub_u32_e32 v7, 29, v8
	v_and_b32_e32 v6, 7, v6
	v_cmp_gt_u32_e32 vcc, 8, v3
	v_cndmask_b32_e32 v3, v4, v7, vcc
	v_cndmask_b32_e32 v1, v1, v6, vcc
	v_lshlrev_b32_e32 v2, 16, v2
	v_lshlrev_b32_e32 v1, 20, v1
	v_and_b32_e32 v2, 0x80000000, v2
	v_lshl_add_u32 v3, v3, 23, v51
	v_or3_b32 v1, v2, v3, v1
.LBB4_2840:                             ;   in Loop: Header=BB4_2615 Depth=2
	s_or_b64 exec, exec, s[56:57]
.LBB4_2841:                             ;   in Loop: Header=BB4_2615 Depth=2
	s_or_b64 exec, exec, s[20:21]
.LBB4_2842:                             ;   in Loop: Header=BB4_2615 Depth=2
	s_or_b64 exec, exec, s[18:19]
	v_max_f32_e32 v1, v1, v1
	v_max_f32_e32 v0, v0, v0
	v_min_f32_e32 v1, v0, v1
.LBB4_2843:                             ;   in Loop: Header=BB4_2615 Depth=2
	v_and_b32_sdwa v0, v1, s69 dst_sel:DWORD dst_unused:UNUSED_PAD src0_sel:BYTE_3 src1_sel:DWORD
	v_and_b32_e32 v2, 0x7f800000, v1
	v_mov_b32_e32 v3, v53
	v_and_b32_e32 v52, 0x7fffff, v1
	v_or_b32_e32 v30, 0x7e, v0
	v_cmp_ne_u64_e32 vcc, s[40:41], v[2:3]
	s_and_saveexec_b64 s[18:19], vcc
	s_xor_b64 s[20:21], exec, s[18:19]
	s_cbranch_execz .LBB4_2853
; %bb.2844:                             ;   in Loop: Header=BB4_2615 Depth=2
	v_and_b32_e32 v2, 0x7fffffff, v1
	v_mov_b32_e32 v3, v53
	v_cmp_gt_u64_e32 vcc, s[42:43], v[2:3]
	s_and_saveexec_b64 s[56:57], vcc
	s_cbranch_execz .LBB4_2852
; %bb.2845:                             ;   in Loop: Header=BB4_2615 Depth=2
	v_cmp_ne_u32_e32 vcc, 0, v1
	v_mov_b32_e32 v30, 0
	s_and_saveexec_b64 s[58:59], vcc
	s_cbranch_execz .LBB4_2851
; %bb.2846:                             ;   in Loop: Header=BB4_2615 Depth=2
	v_bfe_u32 v1, v1, 23, 8
	v_sub_u32_e32 v3, 0x79, v1
	v_cmp_gt_u32_e32 vcc, s73, v1
	v_add_u32_e32 v2, 0xffffff81, v1
	v_cndmask_b32_e32 v3, 0, v3, vcc
	v_cmp_eq_u32_e32 vcc, 0, v1
	v_mov_b32_e32 v1, 0xffffff82
	v_cndmask_b32_e32 v1, v2, v1, vcc
	v_mov_b32_e32 v2, 0x78
	v_or_b32_e32 v4, 0x800000, v52
	v_cndmask_b32_e32 v26, v3, v2, vcc
	v_cndmask_b32_e32 v52, v4, v52, vcc
	v_add_u32_e32 v2, 20, v26
	v_lshlrev_b64 v[2:3], v2, -1
	v_add_u32_e32 v4, 19, v26
	v_lshrrev_b64 v[8:9], v26, v[52:53]
	v_not_b32_e32 v3, v3
	v_not_b32_e32 v2, v2
	v_lshlrev_b64 v[6:7], v4, 1
	v_lshrrev_b32_e32 v4, 23, v8
	v_and_b32_e32 v3, 0, v3
	v_and_b32_e32 v2, v52, v2
	v_add3_u32 v27, v26, v1, v4
	v_bfe_u32 v1, v8, 20, 1
	v_add_u32_e32 v1, -1, v1
	v_cmp_eq_u64_e32 vcc, v[2:3], v[6:7]
	v_cndmask_b32_e32 v1, 0, v1, vcc
	v_add_u32_e32 v1, v1, v8
	v_and_b32_e32 v1, 0xfffff, v1
	v_add_co_u32_e32 v2, vcc, v1, v8
	v_add_u32_e32 v26, 6, v27
	v_addc_co_u32_e32 v3, vcc, 0, v9, vcc
	v_cmp_ne_u32_e32 vcc, 0, v26
                                        ; implicit-def: $vgpr1
	s_and_saveexec_b64 s[18:19], vcc
	s_xor_b64 s[18:19], exec, s[18:19]
; %bb.2847:                             ;   in Loop: Header=BB4_2615 Depth=2
	v_cmp_lt_u64_e32 vcc, s[46:47], v[2:3]
	v_add_u32_e32 v1, 7, v27
	v_cndmask_b32_e64 v4, 0, 1, vcc
	v_cndmask_b32_e32 v1, v26, v1, vcc
	v_lshrrev_b64 v[2:3], v4, v[2:3]
; %bb.2848:                             ;   in Loop: Header=BB4_2615 Depth=2
	s_andn2_saveexec_b64 s[18:19], s[18:19]
; %bb.2849:                             ;   in Loop: Header=BB4_2615 Depth=2
	v_bfe_u32 v1, v2, 23, 1
; %bb.2850:                             ;   in Loop: Header=BB4_2615 Depth=2
	s_or_b64 exec, exec, s[18:19]
	v_lshrrev_b64 v[2:3], 20, v[2:3]
	v_cmp_gt_i32_e32 vcc, 16, v1
	v_cndmask_b32_e32 v3, 0, v3, vcc
	v_cndmask_b32_e32 v2, 7, v2, vcc
	v_cmp_eq_u32_e32 vcc, 0, v1
	v_min_i32_e32 v1, 15, v1
	v_cmp_eq_u64_e64 s[18:19], 0, v[2:3]
	v_lshlrev_b32_e32 v1, 3, v1
	v_and_or_b32 v1, v2, 7, v1
	s_and_b64 s[18:19], vcc, s[18:19]
	v_cndmask_b32_e64 v1, v1, 0, s[18:19]
	v_or_b32_e32 v30, v1, v0
.LBB4_2851:                             ;   in Loop: Header=BB4_2615 Depth=2
	s_or_b64 exec, exec, s[58:59]
.LBB4_2852:                             ;   in Loop: Header=BB4_2615 Depth=2
	s_or_b64 exec, exec, s[56:57]
                                        ; implicit-def: $vgpr1
.LBB4_2853:                             ;   in Loop: Header=BB4_2615 Depth=2
	s_andn2_saveexec_b64 s[18:19], s[20:21]
; %bb.2854:                             ;   in Loop: Header=BB4_2615 Depth=2
	v_or_b32_sdwa v0, v1, s71 dst_sel:DWORD dst_unused:UNUSED_PAD src0_sel:BYTE_3 src1_sel:DWORD
	v_cmp_eq_u64_e32 vcc, 0, v[52:53]
	v_cndmask_b32_e32 v30, v0, v30, vcc
; %bb.2855:                             ;   in Loop: Header=BB4_2615 Depth=2
	s_or_b64 exec, exec, s[18:19]
	v_lshrrev_b32_e32 v28, 16, v23
	v_lshrrev_b32_e32 v2, 16, v19
	v_cmp_ne_u16_sdwa s[18:19], v28, v53 src0_sel:BYTE_0 src1_sel:DWORD
	s_and_b64 vcc, exec, s[54:55]
	s_cbranch_vccz .LBB4_2869
; %bb.2856:                             ;   in Loop: Header=BB4_2615 Depth=2
	v_mov_b32_e32 v1, 0
	v_mov_b32_e32 v0, 0
	s_and_saveexec_b64 s[20:21], s[18:19]
	s_cbranch_execz .LBB4_2862
; %bb.2857:                             ;   in Loop: Header=BB4_2615 Depth=2
	v_cmp_ne_u16_sdwa vcc, v28, s69 src0_sel:BYTE_0 src1_sel:DWORD
	v_bfrev_b32_e32 v0, 1
	s_and_saveexec_b64 s[56:57], vcc
	s_cbranch_execz .LBB4_2861
; %bb.2858:                             ;   in Loop: Header=BB4_2615 Depth=2
	v_bfe_u32 v3, v23, 16, 7
	v_cmp_ne_u32_e32 vcc, s71, v3
	v_mov_b32_e32 v0, 0x7f800001
	s_and_saveexec_b64 s[58:59], vcc
	s_cbranch_execz .LBB4_2860
; %bb.2859:                             ;   in Loop: Header=BB4_2615 Depth=2
	v_and_b32_e32 v0, 7, v28
	v_ffbh_u32_e32 v6, v0
	v_min_u32_e32 v8, 32, v6
	v_subrev_u32_e32 v6, 28, v8
	v_lshlrev_b64 v[6:7], v6, v[28:29]
	v_lshrrev_b32_e32 v4, 3, v3
	v_sub_u32_e32 v7, 29, v8
	v_and_b32_e32 v6, 7, v6
	v_cmp_gt_u32_e32 vcc, 8, v3
	v_cndmask_b32_e32 v3, v4, v7, vcc
	v_cndmask_b32_e32 v0, v0, v6, vcc
	v_lshlrev_b32_e32 v4, 24, v28
	v_lshlrev_b32_e32 v0, 20, v0
	v_and_b32_e32 v4, 0x80000000, v4
	v_lshl_add_u32 v3, v3, 23, v51
	v_or3_b32 v0, v4, v3, v0
.LBB4_2860:                             ;   in Loop: Header=BB4_2615 Depth=2
	s_or_b64 exec, exec, s[58:59]
.LBB4_2861:                             ;   in Loop: Header=BB4_2615 Depth=2
	s_or_b64 exec, exec, s[56:57]
.LBB4_2862:                             ;   in Loop: Header=BB4_2615 Depth=2
	s_or_b64 exec, exec, s[20:21]
	v_cmp_ne_u16_sdwa vcc, v2, v53 src0_sel:BYTE_0 src1_sel:DWORD
	s_and_saveexec_b64 s[20:21], vcc
	s_cbranch_execz .LBB4_2868
; %bb.2863:                             ;   in Loop: Header=BB4_2615 Depth=2
	v_cmp_ne_u16_sdwa vcc, v2, s69 src0_sel:BYTE_0 src1_sel:DWORD
	v_bfrev_b32_e32 v1, 1
	s_and_saveexec_b64 s[56:57], vcc
	s_cbranch_execz .LBB4_2867
; %bb.2864:                             ;   in Loop: Header=BB4_2615 Depth=2
	v_bfe_u32 v3, v19, 16, 7
	v_cmp_ne_u32_e32 vcc, s71, v3
	v_mov_b32_e32 v1, 0x7f800001
	s_and_saveexec_b64 s[58:59], vcc
	s_cbranch_execz .LBB4_2866
; %bb.2865:                             ;   in Loop: Header=BB4_2615 Depth=2
	v_and_b32_e32 v1, 7, v2
	v_ffbh_u32_e32 v6, v1
	v_min_u32_e32 v8, 32, v6
	v_subrev_u32_e32 v6, 28, v8
	v_lshlrev_b64 v[6:7], v6, v[2:3]
	v_lshrrev_b32_e32 v4, 3, v3
	v_sub_u32_e32 v7, 29, v8
	v_and_b32_e32 v6, 7, v6
	v_cmp_gt_u32_e32 vcc, 8, v3
	v_cndmask_b32_e32 v3, v4, v7, vcc
	v_cndmask_b32_e32 v1, v1, v6, vcc
	v_lshlrev_b32_e32 v4, 24, v2
	v_lshlrev_b32_e32 v1, 20, v1
	v_and_b32_e32 v4, 0x80000000, v4
	v_lshl_add_u32 v3, v3, 23, v51
	v_or3_b32 v1, v4, v3, v1
.LBB4_2866:                             ;   in Loop: Header=BB4_2615 Depth=2
	s_or_b64 exec, exec, s[58:59]
.LBB4_2867:                             ;   in Loop: Header=BB4_2615 Depth=2
	s_or_b64 exec, exec, s[56:57]
.LBB4_2868:                             ;   in Loop: Header=BB4_2615 Depth=2
	s_or_b64 exec, exec, s[20:21]
	v_max_f32_e32 v1, v1, v1
	v_max_f32_e32 v0, v0, v0
	;; [unrolled: 1-line block ×3, first 2 shown]
	s_branch .LBB4_2883
.LBB4_2869:                             ;   in Loop: Header=BB4_2615 Depth=2
                                        ; implicit-def: $vgpr1
	s_cbranch_execz .LBB4_2883
; %bb.2870:                             ;   in Loop: Header=BB4_2615 Depth=2
	v_mov_b32_e32 v1, 0
	v_mov_b32_e32 v0, 0
	s_and_saveexec_b64 s[20:21], s[18:19]
	s_cbranch_execz .LBB4_2876
; %bb.2871:                             ;   in Loop: Header=BB4_2615 Depth=2
	v_cmp_ne_u16_sdwa vcc, v28, s69 src0_sel:BYTE_0 src1_sel:DWORD
	v_bfrev_b32_e32 v0, 1
	s_and_saveexec_b64 s[18:19], vcc
	s_cbranch_execz .LBB4_2875
; %bb.2872:                             ;   in Loop: Header=BB4_2615 Depth=2
	v_bfe_u32 v3, v23, 16, 7
	v_cmp_ne_u32_e32 vcc, s71, v3
	v_mov_b32_e32 v0, 0x7f800001
	s_and_saveexec_b64 s[56:57], vcc
	s_cbranch_execz .LBB4_2874
; %bb.2873:                             ;   in Loop: Header=BB4_2615 Depth=2
	v_and_b32_e32 v0, 7, v28
	v_ffbh_u32_e32 v6, v0
	v_min_u32_e32 v8, 32, v6
	v_subrev_u32_e32 v6, 28, v8
	v_lshlrev_b64 v[6:7], v6, v[28:29]
	v_lshrrev_b32_e32 v4, 3, v3
	v_sub_u32_e32 v7, 29, v8
	v_and_b32_e32 v6, 7, v6
	v_cmp_gt_u32_e32 vcc, 8, v3
	v_cndmask_b32_e32 v3, v4, v7, vcc
	v_cndmask_b32_e32 v0, v0, v6, vcc
	v_lshlrev_b32_e32 v4, 24, v28
	v_lshlrev_b32_e32 v0, 20, v0
	v_and_b32_e32 v4, 0x80000000, v4
	v_lshl_add_u32 v3, v3, 23, v51
	v_or3_b32 v0, v4, v3, v0
.LBB4_2874:                             ;   in Loop: Header=BB4_2615 Depth=2
	s_or_b64 exec, exec, s[56:57]
.LBB4_2875:                             ;   in Loop: Header=BB4_2615 Depth=2
	s_or_b64 exec, exec, s[18:19]
.LBB4_2876:                             ;   in Loop: Header=BB4_2615 Depth=2
	s_or_b64 exec, exec, s[20:21]
	v_cmp_ne_u16_sdwa s[20:21], v2, v53 src0_sel:BYTE_0 src1_sel:DWORD
	s_and_saveexec_b64 s[18:19], s[20:21]
	s_cbranch_execz .LBB4_2882
; %bb.2877:                             ;   in Loop: Header=BB4_2615 Depth=2
	v_cmp_ne_u16_sdwa vcc, v2, s69 src0_sel:BYTE_0 src1_sel:DWORD
	v_bfrev_b32_e32 v1, 1
	s_and_saveexec_b64 s[20:21], vcc
	s_cbranch_execz .LBB4_2881
; %bb.2878:                             ;   in Loop: Header=BB4_2615 Depth=2
	v_bfe_u32 v3, v19, 16, 7
	v_cmp_ne_u32_e32 vcc, s71, v3
	v_mov_b32_e32 v1, 0x7f800001
	s_and_saveexec_b64 s[56:57], vcc
	s_cbranch_execz .LBB4_2880
; %bb.2879:                             ;   in Loop: Header=BB4_2615 Depth=2
	v_and_b32_e32 v1, 7, v2
	v_ffbh_u32_e32 v6, v1
	v_min_u32_e32 v8, 32, v6
	v_subrev_u32_e32 v6, 28, v8
	v_lshlrev_b64 v[6:7], v6, v[2:3]
	v_lshrrev_b32_e32 v4, 3, v3
	v_sub_u32_e32 v7, 29, v8
	v_and_b32_e32 v6, 7, v6
	v_cmp_gt_u32_e32 vcc, 8, v3
	v_cndmask_b32_e32 v3, v4, v7, vcc
	v_cndmask_b32_e32 v1, v1, v6, vcc
	v_lshlrev_b32_e32 v2, 24, v2
	v_lshlrev_b32_e32 v1, 20, v1
	v_and_b32_e32 v2, 0x80000000, v2
	v_lshl_add_u32 v3, v3, 23, v51
	v_or3_b32 v1, v2, v3, v1
.LBB4_2880:                             ;   in Loop: Header=BB4_2615 Depth=2
	s_or_b64 exec, exec, s[56:57]
.LBB4_2881:                             ;   in Loop: Header=BB4_2615 Depth=2
	s_or_b64 exec, exec, s[20:21]
.LBB4_2882:                             ;   in Loop: Header=BB4_2615 Depth=2
	s_or_b64 exec, exec, s[18:19]
	v_max_f32_e32 v1, v1, v1
	v_max_f32_e32 v0, v0, v0
	v_min_f32_e32 v1, v0, v1
.LBB4_2883:                             ;   in Loop: Header=BB4_2615 Depth=2
	v_and_b32_sdwa v0, v1, s69 dst_sel:DWORD dst_unused:UNUSED_PAD src0_sel:BYTE_3 src1_sel:DWORD
	v_and_b32_e32 v2, 0x7f800000, v1
	v_mov_b32_e32 v3, v53
	v_and_b32_e32 v52, 0x7fffff, v1
	v_or_b32_e32 v31, 0x7e, v0
	v_cmp_ne_u64_e32 vcc, s[40:41], v[2:3]
	s_and_saveexec_b64 s[18:19], vcc
	s_xor_b64 s[20:21], exec, s[18:19]
	s_cbranch_execz .LBB4_2893
; %bb.2884:                             ;   in Loop: Header=BB4_2615 Depth=2
	v_and_b32_e32 v2, 0x7fffffff, v1
	v_mov_b32_e32 v3, v53
	v_cmp_gt_u64_e32 vcc, s[42:43], v[2:3]
	s_and_saveexec_b64 s[56:57], vcc
	s_cbranch_execz .LBB4_2892
; %bb.2885:                             ;   in Loop: Header=BB4_2615 Depth=2
	v_cmp_ne_u32_e32 vcc, 0, v1
	v_mov_b32_e32 v31, 0
	s_and_saveexec_b64 s[58:59], vcc
	s_cbranch_execz .LBB4_2891
; %bb.2886:                             ;   in Loop: Header=BB4_2615 Depth=2
	v_bfe_u32 v1, v1, 23, 8
	v_sub_u32_e32 v3, 0x79, v1
	v_cmp_gt_u32_e32 vcc, s73, v1
	v_add_u32_e32 v2, 0xffffff81, v1
	v_cndmask_b32_e32 v3, 0, v3, vcc
	v_cmp_eq_u32_e32 vcc, 0, v1
	v_mov_b32_e32 v1, 0xffffff82
	v_cndmask_b32_e32 v1, v2, v1, vcc
	v_mov_b32_e32 v2, 0x78
	v_or_b32_e32 v4, 0x800000, v52
	v_cndmask_b32_e32 v26, v3, v2, vcc
	v_cndmask_b32_e32 v52, v4, v52, vcc
	v_add_u32_e32 v2, 20, v26
	v_lshlrev_b64 v[2:3], v2, -1
	v_add_u32_e32 v4, 19, v26
	v_lshrrev_b64 v[8:9], v26, v[52:53]
	v_not_b32_e32 v3, v3
	v_not_b32_e32 v2, v2
	v_lshlrev_b64 v[6:7], v4, 1
	v_lshrrev_b32_e32 v4, 23, v8
	v_and_b32_e32 v3, 0, v3
	v_and_b32_e32 v2, v52, v2
	v_add3_u32 v27, v26, v1, v4
	v_bfe_u32 v1, v8, 20, 1
	v_add_u32_e32 v1, -1, v1
	v_cmp_eq_u64_e32 vcc, v[2:3], v[6:7]
	v_cndmask_b32_e32 v1, 0, v1, vcc
	v_add_u32_e32 v1, v1, v8
	v_and_b32_e32 v1, 0xfffff, v1
	v_add_co_u32_e32 v2, vcc, v1, v8
	v_add_u32_e32 v26, 6, v27
	v_addc_co_u32_e32 v3, vcc, 0, v9, vcc
	v_cmp_ne_u32_e32 vcc, 0, v26
                                        ; implicit-def: $vgpr1
	s_and_saveexec_b64 s[18:19], vcc
	s_xor_b64 s[18:19], exec, s[18:19]
; %bb.2887:                             ;   in Loop: Header=BB4_2615 Depth=2
	v_cmp_lt_u64_e32 vcc, s[46:47], v[2:3]
	v_add_u32_e32 v1, 7, v27
	v_cndmask_b32_e64 v4, 0, 1, vcc
	v_cndmask_b32_e32 v1, v26, v1, vcc
	v_lshrrev_b64 v[2:3], v4, v[2:3]
; %bb.2888:                             ;   in Loop: Header=BB4_2615 Depth=2
	s_andn2_saveexec_b64 s[18:19], s[18:19]
; %bb.2889:                             ;   in Loop: Header=BB4_2615 Depth=2
	v_bfe_u32 v1, v2, 23, 1
; %bb.2890:                             ;   in Loop: Header=BB4_2615 Depth=2
	s_or_b64 exec, exec, s[18:19]
	v_lshrrev_b64 v[2:3], 20, v[2:3]
	v_cmp_gt_i32_e32 vcc, 16, v1
	v_cndmask_b32_e32 v3, 0, v3, vcc
	v_cndmask_b32_e32 v2, 7, v2, vcc
	v_cmp_eq_u32_e32 vcc, 0, v1
	v_min_i32_e32 v1, 15, v1
	v_lshlrev_b32_e32 v1, 3, v1
	v_cmp_eq_u64_e64 s[18:19], 0, v[2:3]
	v_and_b32_e32 v1, 0xf8, v1
	v_and_or_b32 v1, v2, 7, v1
	s_and_b64 s[18:19], vcc, s[18:19]
	v_cndmask_b32_e64 v1, v1, 0, s[18:19]
	v_or_b32_e32 v31, v1, v0
.LBB4_2891:                             ;   in Loop: Header=BB4_2615 Depth=2
	s_or_b64 exec, exec, s[58:59]
.LBB4_2892:                             ;   in Loop: Header=BB4_2615 Depth=2
	s_or_b64 exec, exec, s[56:57]
                                        ; implicit-def: $vgpr1
.LBB4_2893:                             ;   in Loop: Header=BB4_2615 Depth=2
	s_andn2_saveexec_b64 s[18:19], s[20:21]
; %bb.2894:                             ;   in Loop: Header=BB4_2615 Depth=2
	v_or_b32_sdwa v0, v1, s71 dst_sel:DWORD dst_unused:UNUSED_PAD src0_sel:BYTE_3 src1_sel:DWORD
	v_cmp_eq_u64_e32 vcc, 0, v[52:53]
	v_cndmask_b32_e32 v31, v0, v31, vcc
; %bb.2895:                             ;   in Loop: Header=BB4_2615 Depth=2
	s_or_b64 exec, exec, s[18:19]
	v_lshrrev_b32_e32 v28, 24, v23
	v_lshrrev_b32_e32 v2, 24, v19
	v_cmp_lt_u64_e64 s[18:19], s[44:45], v[22:23]
	s_and_b64 vcc, exec, s[54:55]
	s_cbranch_vccz .LBB4_2909
; %bb.2896:                             ;   in Loop: Header=BB4_2615 Depth=2
	v_mov_b32_e32 v1, 0
	v_mov_b32_e32 v0, 0
	s_and_saveexec_b64 s[20:21], s[18:19]
	s_cbranch_execz .LBB4_2902
; %bb.2897:                             ;   in Loop: Header=BB4_2615 Depth=2
	v_cmp_ne_u32_e32 vcc, s69, v28
	v_bfrev_b32_e32 v0, 1
	s_and_saveexec_b64 s[56:57], vcc
	s_cbranch_execz .LBB4_2901
; %bb.2898:                             ;   in Loop: Header=BB4_2615 Depth=2
	v_bfe_u32 v3, v23, 24, 7
	v_cmp_ne_u32_e32 vcc, s71, v3
	v_mov_b32_e32 v0, 0x7f800001
	s_and_saveexec_b64 s[58:59], vcc
	s_cbranch_execz .LBB4_2900
; %bb.2899:                             ;   in Loop: Header=BB4_2615 Depth=2
	v_and_b32_e32 v0, 7, v28
	v_ffbh_u32_e32 v6, v0
	v_min_u32_e32 v8, 32, v6
	v_subrev_u32_e32 v6, 28, v8
	v_lshlrev_b64 v[6:7], v6, v[28:29]
	v_lshrrev_b32_e32 v4, 3, v3
	v_sub_u32_e32 v7, 29, v8
	v_and_b32_e32 v6, 7, v6
	v_cmp_gt_u32_e32 vcc, 8, v3
	v_cndmask_b32_e32 v3, v4, v7, vcc
	v_cndmask_b32_e32 v0, v0, v6, vcc
	v_lshlrev_b32_e32 v4, 24, v28
	v_lshlrev_b32_e32 v0, 20, v0
	v_and_b32_e32 v4, 0x80000000, v4
	v_lshl_add_u32 v3, v3, 23, v51
	v_or3_b32 v0, v4, v3, v0
.LBB4_2900:                             ;   in Loop: Header=BB4_2615 Depth=2
	s_or_b64 exec, exec, s[58:59]
.LBB4_2901:                             ;   in Loop: Header=BB4_2615 Depth=2
	s_or_b64 exec, exec, s[56:57]
.LBB4_2902:                             ;   in Loop: Header=BB4_2615 Depth=2
	s_or_b64 exec, exec, s[20:21]
	v_cmp_lt_u64_e32 vcc, s[44:45], v[18:19]
	s_and_saveexec_b64 s[20:21], vcc
	s_cbranch_execz .LBB4_2908
; %bb.2903:                             ;   in Loop: Header=BB4_2615 Depth=2
	v_cmp_ne_u32_e32 vcc, s69, v2
	v_bfrev_b32_e32 v1, 1
	s_and_saveexec_b64 s[56:57], vcc
	s_cbranch_execz .LBB4_2907
; %bb.2904:                             ;   in Loop: Header=BB4_2615 Depth=2
	v_bfe_u32 v3, v19, 24, 7
	v_cmp_ne_u32_e32 vcc, s71, v3
	v_mov_b32_e32 v1, 0x7f800001
	s_and_saveexec_b64 s[58:59], vcc
	s_cbranch_execz .LBB4_2906
; %bb.2905:                             ;   in Loop: Header=BB4_2615 Depth=2
	v_and_b32_e32 v1, 7, v2
	v_ffbh_u32_e32 v6, v1
	v_min_u32_e32 v8, 32, v6
	v_subrev_u32_e32 v6, 28, v8
	v_lshlrev_b64 v[6:7], v6, v[2:3]
	v_lshrrev_b32_e32 v4, 3, v3
	v_sub_u32_e32 v7, 29, v8
	v_and_b32_e32 v6, 7, v6
	v_cmp_gt_u32_e32 vcc, 8, v3
	v_cndmask_b32_e32 v3, v4, v7, vcc
	v_cndmask_b32_e32 v1, v1, v6, vcc
	v_lshlrev_b32_e32 v4, 24, v2
	v_lshlrev_b32_e32 v1, 20, v1
	v_and_b32_e32 v4, 0x80000000, v4
	v_lshl_add_u32 v3, v3, 23, v51
	v_or3_b32 v1, v4, v3, v1
.LBB4_2906:                             ;   in Loop: Header=BB4_2615 Depth=2
	s_or_b64 exec, exec, s[58:59]
.LBB4_2907:                             ;   in Loop: Header=BB4_2615 Depth=2
	s_or_b64 exec, exec, s[56:57]
.LBB4_2908:                             ;   in Loop: Header=BB4_2615 Depth=2
	s_or_b64 exec, exec, s[20:21]
	v_max_f32_e32 v1, v1, v1
	v_max_f32_e32 v0, v0, v0
	;; [unrolled: 1-line block ×3, first 2 shown]
	s_branch .LBB4_2923
.LBB4_2909:                             ;   in Loop: Header=BB4_2615 Depth=2
                                        ; implicit-def: $vgpr1
	s_cbranch_execz .LBB4_2923
; %bb.2910:                             ;   in Loop: Header=BB4_2615 Depth=2
	v_mov_b32_e32 v1, 0
	v_mov_b32_e32 v0, 0
	s_and_saveexec_b64 s[20:21], s[18:19]
	s_cbranch_execz .LBB4_2916
; %bb.2911:                             ;   in Loop: Header=BB4_2615 Depth=2
	v_cmp_ne_u32_e32 vcc, s69, v28
	v_bfrev_b32_e32 v0, 1
	s_and_saveexec_b64 s[18:19], vcc
	s_cbranch_execz .LBB4_2915
; %bb.2912:                             ;   in Loop: Header=BB4_2615 Depth=2
	v_bfe_u32 v3, v23, 24, 7
	v_cmp_ne_u32_e32 vcc, s71, v3
	v_mov_b32_e32 v0, 0x7f800001
	s_and_saveexec_b64 s[56:57], vcc
	s_cbranch_execz .LBB4_2914
; %bb.2913:                             ;   in Loop: Header=BB4_2615 Depth=2
	v_and_b32_e32 v0, 7, v28
	v_ffbh_u32_e32 v6, v0
	v_min_u32_e32 v8, 32, v6
	v_subrev_u32_e32 v6, 28, v8
	v_lshlrev_b64 v[6:7], v6, v[28:29]
	v_lshrrev_b32_e32 v4, 3, v3
	v_sub_u32_e32 v7, 29, v8
	v_and_b32_e32 v6, 7, v6
	v_cmp_gt_u32_e32 vcc, 8, v3
	v_cndmask_b32_e32 v3, v4, v7, vcc
	v_cndmask_b32_e32 v0, v0, v6, vcc
	v_lshlrev_b32_e32 v4, 24, v28
	v_lshlrev_b32_e32 v0, 20, v0
	v_and_b32_e32 v4, 0x80000000, v4
	v_lshl_add_u32 v3, v3, 23, v51
	v_or3_b32 v0, v4, v3, v0
.LBB4_2914:                             ;   in Loop: Header=BB4_2615 Depth=2
	s_or_b64 exec, exec, s[56:57]
.LBB4_2915:                             ;   in Loop: Header=BB4_2615 Depth=2
	s_or_b64 exec, exec, s[18:19]
.LBB4_2916:                             ;   in Loop: Header=BB4_2615 Depth=2
	s_or_b64 exec, exec, s[20:21]
	v_cmp_lt_u64_e32 vcc, s[44:45], v[18:19]
	s_and_saveexec_b64 s[18:19], vcc
	s_cbranch_execz .LBB4_2922
; %bb.2917:                             ;   in Loop: Header=BB4_2615 Depth=2
	v_cmp_ne_u32_e32 vcc, s69, v2
	v_bfrev_b32_e32 v1, 1
	s_and_saveexec_b64 s[20:21], vcc
	s_cbranch_execz .LBB4_2921
; %bb.2918:                             ;   in Loop: Header=BB4_2615 Depth=2
	v_bfe_u32 v3, v19, 24, 7
	v_cmp_ne_u32_e32 vcc, s71, v3
	v_mov_b32_e32 v1, 0x7f800001
	s_and_saveexec_b64 s[56:57], vcc
	s_cbranch_execz .LBB4_2920
; %bb.2919:                             ;   in Loop: Header=BB4_2615 Depth=2
	v_and_b32_e32 v1, 7, v2
	v_ffbh_u32_e32 v6, v1
	v_min_u32_e32 v8, 32, v6
	v_subrev_u32_e32 v6, 28, v8
	v_lshlrev_b64 v[6:7], v6, v[2:3]
	v_lshrrev_b32_e32 v4, 3, v3
	v_sub_u32_e32 v7, 29, v8
	v_and_b32_e32 v6, 7, v6
	v_cmp_gt_u32_e32 vcc, 8, v3
	v_cndmask_b32_e32 v3, v4, v7, vcc
	v_cndmask_b32_e32 v1, v1, v6, vcc
	v_lshlrev_b32_e32 v2, 24, v2
	v_lshlrev_b32_e32 v1, 20, v1
	v_and_b32_e32 v2, 0x80000000, v2
	v_lshl_add_u32 v3, v3, 23, v51
	v_or3_b32 v1, v2, v3, v1
.LBB4_2920:                             ;   in Loop: Header=BB4_2615 Depth=2
	s_or_b64 exec, exec, s[56:57]
.LBB4_2921:                             ;   in Loop: Header=BB4_2615 Depth=2
	s_or_b64 exec, exec, s[20:21]
.LBB4_2922:                             ;   in Loop: Header=BB4_2615 Depth=2
	s_or_b64 exec, exec, s[18:19]
	v_max_f32_e32 v1, v1, v1
	v_max_f32_e32 v0, v0, v0
	v_min_f32_e32 v1, v0, v1
.LBB4_2923:                             ;   in Loop: Header=BB4_2615 Depth=2
	v_and_b32_sdwa v0, v1, s69 dst_sel:DWORD dst_unused:UNUSED_PAD src0_sel:BYTE_3 src1_sel:DWORD
	v_and_b32_e32 v2, 0x7f800000, v1
	v_mov_b32_e32 v3, v53
	v_and_b32_e32 v52, 0x7fffff, v1
	v_or_b32_e32 v23, 0x7e, v0
	v_cmp_ne_u64_e32 vcc, s[40:41], v[2:3]
	s_and_saveexec_b64 s[18:19], vcc
	s_xor_b64 s[20:21], exec, s[18:19]
	s_cbranch_execnz .LBB4_2939
; %bb.2924:                             ;   in Loop: Header=BB4_2615 Depth=2
	s_andn2_saveexec_b64 s[18:19], s[20:21]
	s_cbranch_execnz .LBB4_2948
.LBB4_2925:                             ;   in Loop: Header=BB4_2615 Depth=2
	s_or_b64 exec, exec, s[18:19]
	v_cmp_ne_u16_sdwa s[18:19], v24, v53 src0_sel:BYTE_0 src1_sel:DWORD
	s_and_b64 vcc, exec, s[54:55]
	s_cbranch_vccz .LBB4_2949
.LBB4_2926:                             ;   in Loop: Header=BB4_2615 Depth=2
	v_mov_b32_e32 v1, 0
	v_mov_b32_e32 v0, 0
	s_and_saveexec_b64 s[20:21], s[18:19]
	s_cbranch_execz .LBB4_2932
; %bb.2927:                             ;   in Loop: Header=BB4_2615 Depth=2
	v_cmp_ne_u16_sdwa vcc, v24, s69 src0_sel:BYTE_0 src1_sel:DWORD
	v_bfrev_b32_e32 v0, 1
	s_and_saveexec_b64 s[56:57], vcc
	s_cbranch_execz .LBB4_2931
; %bb.2928:                             ;   in Loop: Header=BB4_2615 Depth=2
	v_and_b32_e32 v2, 0x7f, v24
	v_cmp_ne_u32_e32 vcc, s71, v2
	v_mov_b32_e32 v0, 0x7f800001
	s_and_saveexec_b64 s[58:59], vcc
	s_cbranch_execz .LBB4_2930
; %bb.2929:                             ;   in Loop: Header=BB4_2615 Depth=2
	v_and_b32_e32 v0, 7, v24
	v_ffbh_u32_e32 v0, v0
	v_min_u32_e32 v0, 32, v0
	v_subrev_u32_e32 v4, 28, v0
	v_cmp_gt_u32_e32 vcc, 8, v2
	v_lshrrev_b32_e32 v3, 3, v2
	v_sub_u32_e32 v0, 29, v0
	v_cndmask_b32_e32 v2, 0, v4, vcc
	v_cndmask_b32_e32 v0, v3, v0, vcc
	v_lshlrev_b64 v[2:3], v2, v[24:25]
	v_lshlrev_b32_e32 v2, 20, v2
	v_lshlrev_b32_e32 v3, 24, v24
	v_and_b32_e32 v2, 0x700000, v2
	v_and_b32_e32 v3, 0x80000000, v3
	v_lshl_add_u32 v0, v0, 23, v51
	v_or3_b32 v0, v3, v0, v2
.LBB4_2930:                             ;   in Loop: Header=BB4_2615 Depth=2
	s_or_b64 exec, exec, s[58:59]
.LBB4_2931:                             ;   in Loop: Header=BB4_2615 Depth=2
	s_or_b64 exec, exec, s[56:57]
.LBB4_2932:                             ;   in Loop: Header=BB4_2615 Depth=2
	s_or_b64 exec, exec, s[20:21]
	v_cmp_ne_u16_sdwa vcc, v20, v53 src0_sel:BYTE_0 src1_sel:DWORD
	s_and_saveexec_b64 s[20:21], vcc
	s_cbranch_execz .LBB4_2938
; %bb.2933:                             ;   in Loop: Header=BB4_2615 Depth=2
	v_cmp_ne_u16_sdwa vcc, v20, s69 src0_sel:BYTE_0 src1_sel:DWORD
	v_bfrev_b32_e32 v1, 1
	s_and_saveexec_b64 s[56:57], vcc
	s_cbranch_execz .LBB4_2937
; %bb.2934:                             ;   in Loop: Header=BB4_2615 Depth=2
	v_and_b32_e32 v2, 0x7f, v20
	v_cmp_ne_u32_e32 vcc, s71, v2
	v_mov_b32_e32 v1, 0x7f800001
	s_and_saveexec_b64 s[58:59], vcc
	s_cbranch_execz .LBB4_2936
; %bb.2935:                             ;   in Loop: Header=BB4_2615 Depth=2
	v_and_b32_e32 v1, 7, v20
	v_ffbh_u32_e32 v1, v1
	v_min_u32_e32 v1, 32, v1
	v_subrev_u32_e32 v4, 28, v1
	v_cmp_gt_u32_e32 vcc, 8, v2
	v_lshrrev_b32_e32 v3, 3, v2
	v_sub_u32_e32 v1, 29, v1
	v_cndmask_b32_e32 v2, 0, v4, vcc
	v_cndmask_b32_e32 v1, v3, v1, vcc
	v_lshlrev_b64 v[2:3], v2, v[20:21]
	v_lshlrev_b32_e32 v2, 20, v2
	v_lshlrev_b32_e32 v3, 24, v20
	v_and_b32_e32 v2, 0x700000, v2
	v_and_b32_e32 v3, 0x80000000, v3
	v_lshl_add_u32 v1, v1, 23, v51
	v_or3_b32 v1, v3, v1, v2
.LBB4_2936:                             ;   in Loop: Header=BB4_2615 Depth=2
	s_or_b64 exec, exec, s[58:59]
.LBB4_2937:                             ;   in Loop: Header=BB4_2615 Depth=2
	s_or_b64 exec, exec, s[56:57]
.LBB4_2938:                             ;   in Loop: Header=BB4_2615 Depth=2
	s_or_b64 exec, exec, s[20:21]
	v_max_f32_e32 v1, v1, v1
	v_max_f32_e32 v0, v0, v0
	;; [unrolled: 1-line block ×3, first 2 shown]
	s_branch .LBB4_2963
.LBB4_2939:                             ;   in Loop: Header=BB4_2615 Depth=2
	v_and_b32_e32 v2, 0x7fffffff, v1
	v_mov_b32_e32 v3, v53
	v_cmp_gt_u64_e32 vcc, s[42:43], v[2:3]
	s_and_saveexec_b64 s[56:57], vcc
	s_cbranch_execz .LBB4_2947
; %bb.2940:                             ;   in Loop: Header=BB4_2615 Depth=2
	v_cmp_ne_u32_e32 vcc, 0, v1
	v_mov_b32_e32 v23, 0
	s_and_saveexec_b64 s[58:59], vcc
	s_cbranch_execz .LBB4_2946
; %bb.2941:                             ;   in Loop: Header=BB4_2615 Depth=2
	v_bfe_u32 v1, v1, 23, 8
	v_sub_u32_e32 v3, 0x79, v1
	v_cmp_gt_u32_e32 vcc, s73, v1
	v_add_u32_e32 v2, 0xffffff81, v1
	v_cndmask_b32_e32 v3, 0, v3, vcc
	v_cmp_eq_u32_e32 vcc, 0, v1
	v_mov_b32_e32 v1, 0xffffff82
	v_cndmask_b32_e32 v1, v2, v1, vcc
	v_mov_b32_e32 v2, 0x78
	v_or_b32_e32 v4, 0x800000, v52
	v_cndmask_b32_e32 v18, v3, v2, vcc
	v_cndmask_b32_e32 v52, v4, v52, vcc
	v_add_u32_e32 v2, 20, v18
	v_lshlrev_b64 v[2:3], v2, -1
	v_add_u32_e32 v4, 19, v18
	v_lshrrev_b64 v[8:9], v18, v[52:53]
	v_not_b32_e32 v3, v3
	v_not_b32_e32 v2, v2
	v_lshlrev_b64 v[6:7], v4, 1
	v_lshrrev_b32_e32 v4, 23, v8
	v_and_b32_e32 v3, 0, v3
	v_and_b32_e32 v2, v52, v2
	v_add3_u32 v19, v18, v1, v4
	v_bfe_u32 v1, v8, 20, 1
	v_add_u32_e32 v1, -1, v1
	v_cmp_eq_u64_e32 vcc, v[2:3], v[6:7]
	v_cndmask_b32_e32 v1, 0, v1, vcc
	v_add_u32_e32 v1, v1, v8
	v_and_b32_e32 v1, 0xfffff, v1
	v_add_co_u32_e32 v2, vcc, v1, v8
	v_add_u32_e32 v18, 6, v19
	v_addc_co_u32_e32 v3, vcc, 0, v9, vcc
	v_cmp_ne_u32_e32 vcc, 0, v18
                                        ; implicit-def: $vgpr1
	s_and_saveexec_b64 s[18:19], vcc
	s_xor_b64 s[18:19], exec, s[18:19]
; %bb.2942:                             ;   in Loop: Header=BB4_2615 Depth=2
	v_cmp_lt_u64_e32 vcc, s[46:47], v[2:3]
	v_add_u32_e32 v1, 7, v19
	v_cndmask_b32_e64 v4, 0, 1, vcc
	v_cndmask_b32_e32 v1, v18, v1, vcc
	v_lshrrev_b64 v[2:3], v4, v[2:3]
; %bb.2943:                             ;   in Loop: Header=BB4_2615 Depth=2
	s_andn2_saveexec_b64 s[18:19], s[18:19]
; %bb.2944:                             ;   in Loop: Header=BB4_2615 Depth=2
	v_bfe_u32 v1, v2, 23, 1
; %bb.2945:                             ;   in Loop: Header=BB4_2615 Depth=2
	s_or_b64 exec, exec, s[18:19]
	v_lshrrev_b64 v[2:3], 20, v[2:3]
	v_cmp_gt_i32_e32 vcc, 16, v1
	v_cndmask_b32_e32 v3, 0, v3, vcc
	v_cndmask_b32_e32 v2, 7, v2, vcc
	v_cmp_eq_u32_e32 vcc, 0, v1
	v_min_i32_e32 v1, 15, v1
	v_lshlrev_b32_e32 v1, 3, v1
	v_cmp_eq_u64_e64 s[18:19], 0, v[2:3]
	v_and_b32_e32 v1, 0xf8, v1
	v_and_or_b32 v1, v2, 7, v1
	s_and_b64 s[18:19], vcc, s[18:19]
	v_cndmask_b32_e64 v1, v1, 0, s[18:19]
	v_or_b32_e32 v23, v1, v0
.LBB4_2946:                             ;   in Loop: Header=BB4_2615 Depth=2
	s_or_b64 exec, exec, s[58:59]
.LBB4_2947:                             ;   in Loop: Header=BB4_2615 Depth=2
	s_or_b64 exec, exec, s[56:57]
                                        ; implicit-def: $vgpr1
	s_andn2_saveexec_b64 s[18:19], s[20:21]
	s_cbranch_execz .LBB4_2925
.LBB4_2948:                             ;   in Loop: Header=BB4_2615 Depth=2
	v_or_b32_sdwa v0, v1, s71 dst_sel:DWORD dst_unused:UNUSED_PAD src0_sel:BYTE_3 src1_sel:DWORD
	v_cmp_eq_u64_e32 vcc, 0, v[52:53]
	v_cndmask_b32_e32 v23, v0, v23, vcc
	s_or_b64 exec, exec, s[18:19]
	v_cmp_ne_u16_sdwa s[18:19], v24, v53 src0_sel:BYTE_0 src1_sel:DWORD
	s_and_b64 vcc, exec, s[54:55]
	s_cbranch_vccnz .LBB4_2926
.LBB4_2949:                             ;   in Loop: Header=BB4_2615 Depth=2
                                        ; implicit-def: $vgpr1
	s_cbranch_execz .LBB4_2963
; %bb.2950:                             ;   in Loop: Header=BB4_2615 Depth=2
	v_mov_b32_e32 v1, 0
	v_mov_b32_e32 v0, 0
	s_and_saveexec_b64 s[20:21], s[18:19]
	s_cbranch_execz .LBB4_2956
; %bb.2951:                             ;   in Loop: Header=BB4_2615 Depth=2
	v_cmp_ne_u16_sdwa vcc, v24, s69 src0_sel:BYTE_0 src1_sel:DWORD
	v_bfrev_b32_e32 v0, 1
	s_and_saveexec_b64 s[18:19], vcc
	s_cbranch_execz .LBB4_2955
; %bb.2952:                             ;   in Loop: Header=BB4_2615 Depth=2
	v_and_b32_e32 v2, 0x7f, v24
	v_cmp_ne_u32_e32 vcc, s71, v2
	v_mov_b32_e32 v0, 0x7f800001
	s_and_saveexec_b64 s[56:57], vcc
	s_cbranch_execz .LBB4_2954
; %bb.2953:                             ;   in Loop: Header=BB4_2615 Depth=2
	v_and_b32_e32 v0, 7, v24
	v_ffbh_u32_e32 v0, v0
	v_min_u32_e32 v0, 32, v0
	v_subrev_u32_e32 v4, 28, v0
	v_cmp_gt_u32_e32 vcc, 8, v2
	v_lshrrev_b32_e32 v3, 3, v2
	v_sub_u32_e32 v0, 29, v0
	v_cndmask_b32_e32 v2, 0, v4, vcc
	v_cndmask_b32_e32 v0, v3, v0, vcc
	v_lshlrev_b64 v[2:3], v2, v[24:25]
	v_lshlrev_b32_e32 v2, 20, v2
	v_lshlrev_b32_e32 v3, 24, v24
	v_and_b32_e32 v2, 0x700000, v2
	v_and_b32_e32 v3, 0x80000000, v3
	v_lshl_add_u32 v0, v0, 23, v51
	v_or3_b32 v0, v3, v0, v2
.LBB4_2954:                             ;   in Loop: Header=BB4_2615 Depth=2
	s_or_b64 exec, exec, s[56:57]
.LBB4_2955:                             ;   in Loop: Header=BB4_2615 Depth=2
	s_or_b64 exec, exec, s[18:19]
.LBB4_2956:                             ;   in Loop: Header=BB4_2615 Depth=2
	s_or_b64 exec, exec, s[20:21]
	v_cmp_ne_u16_sdwa s[20:21], v20, v53 src0_sel:BYTE_0 src1_sel:DWORD
	s_and_saveexec_b64 s[18:19], s[20:21]
	s_cbranch_execz .LBB4_2962
; %bb.2957:                             ;   in Loop: Header=BB4_2615 Depth=2
	v_cmp_ne_u16_sdwa vcc, v20, s69 src0_sel:BYTE_0 src1_sel:DWORD
	v_bfrev_b32_e32 v1, 1
	s_and_saveexec_b64 s[20:21], vcc
	s_cbranch_execz .LBB4_2961
; %bb.2958:                             ;   in Loop: Header=BB4_2615 Depth=2
	v_and_b32_e32 v2, 0x7f, v20
	v_cmp_ne_u32_e32 vcc, s71, v2
	v_mov_b32_e32 v1, 0x7f800001
	s_and_saveexec_b64 s[56:57], vcc
	s_cbranch_execz .LBB4_2960
; %bb.2959:                             ;   in Loop: Header=BB4_2615 Depth=2
	v_and_b32_e32 v1, 7, v20
	v_ffbh_u32_e32 v1, v1
	v_min_u32_e32 v1, 32, v1
	v_subrev_u32_e32 v4, 28, v1
	v_cmp_gt_u32_e32 vcc, 8, v2
	v_lshrrev_b32_e32 v3, 3, v2
	v_sub_u32_e32 v1, 29, v1
	v_cndmask_b32_e32 v2, 0, v4, vcc
	v_cndmask_b32_e32 v1, v3, v1, vcc
	v_lshlrev_b64 v[2:3], v2, v[20:21]
	v_lshlrev_b32_e32 v2, 20, v2
	v_lshlrev_b32_e32 v3, 24, v20
	v_and_b32_e32 v2, 0x700000, v2
	v_and_b32_e32 v3, 0x80000000, v3
	v_lshl_add_u32 v1, v1, 23, v51
	v_or3_b32 v1, v3, v1, v2
.LBB4_2960:                             ;   in Loop: Header=BB4_2615 Depth=2
	s_or_b64 exec, exec, s[56:57]
.LBB4_2961:                             ;   in Loop: Header=BB4_2615 Depth=2
	s_or_b64 exec, exec, s[20:21]
.LBB4_2962:                             ;   in Loop: Header=BB4_2615 Depth=2
	s_or_b64 exec, exec, s[18:19]
	v_max_f32_e32 v1, v1, v1
	v_max_f32_e32 v0, v0, v0
	v_min_f32_e32 v1, v0, v1
.LBB4_2963:                             ;   in Loop: Header=BB4_2615 Depth=2
	v_and_b32_sdwa v0, v1, s69 dst_sel:DWORD dst_unused:UNUSED_PAD src0_sel:BYTE_3 src1_sel:DWORD
	v_and_b32_e32 v2, 0x7f800000, v1
	v_mov_b32_e32 v3, v53
	v_and_b32_e32 v52, 0x7fffff, v1
	v_or_b32_e32 v28, 0x7e, v0
	v_cmp_ne_u64_e32 vcc, s[40:41], v[2:3]
	s_and_saveexec_b64 s[18:19], vcc
	s_xor_b64 s[20:21], exec, s[18:19]
	s_cbranch_execz .LBB4_2973
; %bb.2964:                             ;   in Loop: Header=BB4_2615 Depth=2
	v_and_b32_e32 v2, 0x7fffffff, v1
	v_mov_b32_e32 v3, v53
	v_cmp_gt_u64_e32 vcc, s[42:43], v[2:3]
	s_and_saveexec_b64 s[56:57], vcc
	s_cbranch_execz .LBB4_2972
; %bb.2965:                             ;   in Loop: Header=BB4_2615 Depth=2
	v_cmp_ne_u32_e32 vcc, 0, v1
	v_mov_b32_e32 v28, 0
	s_and_saveexec_b64 s[58:59], vcc
	s_cbranch_execz .LBB4_2971
; %bb.2966:                             ;   in Loop: Header=BB4_2615 Depth=2
	v_bfe_u32 v1, v1, 23, 8
	v_sub_u32_e32 v3, 0x79, v1
	v_cmp_gt_u32_e32 vcc, s73, v1
	v_add_u32_e32 v2, 0xffffff81, v1
	v_cndmask_b32_e32 v3, 0, v3, vcc
	v_cmp_eq_u32_e32 vcc, 0, v1
	v_mov_b32_e32 v1, 0xffffff82
	v_cndmask_b32_e32 v1, v2, v1, vcc
	v_mov_b32_e32 v2, 0x78
	v_or_b32_e32 v4, 0x800000, v52
	v_cndmask_b32_e32 v18, v3, v2, vcc
	v_cndmask_b32_e32 v52, v4, v52, vcc
	v_add_u32_e32 v2, 20, v18
	v_lshlrev_b64 v[2:3], v2, -1
	v_add_u32_e32 v4, 19, v18
	v_lshrrev_b64 v[8:9], v18, v[52:53]
	v_not_b32_e32 v3, v3
	v_not_b32_e32 v2, v2
	v_lshlrev_b64 v[6:7], v4, 1
	v_lshrrev_b32_e32 v4, 23, v8
	v_and_b32_e32 v3, 0, v3
	v_and_b32_e32 v2, v52, v2
	v_add3_u32 v19, v18, v1, v4
	v_bfe_u32 v1, v8, 20, 1
	v_add_u32_e32 v1, -1, v1
	v_cmp_eq_u64_e32 vcc, v[2:3], v[6:7]
	v_cndmask_b32_e32 v1, 0, v1, vcc
	v_add_u32_e32 v1, v1, v8
	v_and_b32_e32 v1, 0xfffff, v1
	v_add_co_u32_e32 v2, vcc, v1, v8
	v_add_u32_e32 v18, 6, v19
	v_addc_co_u32_e32 v3, vcc, 0, v9, vcc
	v_cmp_ne_u32_e32 vcc, 0, v18
                                        ; implicit-def: $vgpr1
	s_and_saveexec_b64 s[18:19], vcc
	s_xor_b64 s[18:19], exec, s[18:19]
; %bb.2967:                             ;   in Loop: Header=BB4_2615 Depth=2
	v_cmp_lt_u64_e32 vcc, s[46:47], v[2:3]
	v_add_u32_e32 v1, 7, v19
	v_cndmask_b32_e64 v4, 0, 1, vcc
	v_cndmask_b32_e32 v1, v18, v1, vcc
	v_lshrrev_b64 v[2:3], v4, v[2:3]
; %bb.2968:                             ;   in Loop: Header=BB4_2615 Depth=2
	s_andn2_saveexec_b64 s[18:19], s[18:19]
; %bb.2969:                             ;   in Loop: Header=BB4_2615 Depth=2
	v_bfe_u32 v1, v2, 23, 1
; %bb.2970:                             ;   in Loop: Header=BB4_2615 Depth=2
	s_or_b64 exec, exec, s[18:19]
	v_lshrrev_b64 v[2:3], 20, v[2:3]
	v_cmp_gt_i32_e32 vcc, 16, v1
	v_cndmask_b32_e32 v3, 0, v3, vcc
	v_cndmask_b32_e32 v2, 7, v2, vcc
	v_cmp_eq_u32_e32 vcc, 0, v1
	v_min_i32_e32 v1, 15, v1
	v_cmp_eq_u64_e64 s[18:19], 0, v[2:3]
	v_lshlrev_b32_e32 v1, 3, v1
	v_and_or_b32 v1, v2, 7, v1
	s_and_b64 s[18:19], vcc, s[18:19]
	v_cndmask_b32_e64 v1, v1, 0, s[18:19]
	v_or_b32_e32 v28, v1, v0
.LBB4_2971:                             ;   in Loop: Header=BB4_2615 Depth=2
	s_or_b64 exec, exec, s[58:59]
.LBB4_2972:                             ;   in Loop: Header=BB4_2615 Depth=2
	s_or_b64 exec, exec, s[56:57]
                                        ; implicit-def: $vgpr1
.LBB4_2973:                             ;   in Loop: Header=BB4_2615 Depth=2
	s_andn2_saveexec_b64 s[18:19], s[20:21]
; %bb.2974:                             ;   in Loop: Header=BB4_2615 Depth=2
	v_or_b32_sdwa v0, v1, s71 dst_sel:DWORD dst_unused:UNUSED_PAD src0_sel:BYTE_3 src1_sel:DWORD
	v_cmp_eq_u64_e32 vcc, 0, v[52:53]
	v_cndmask_b32_e32 v28, v0, v28, vcc
; %bb.2975:                             ;   in Loop: Header=BB4_2615 Depth=2
	s_or_b64 exec, exec, s[18:19]
	v_lshrrev_b16_e32 v18, 8, v24
	v_lshrrev_b16_e32 v2, 8, v20
	v_cmp_ne_u16_e64 s[18:19], 0, v18
	s_and_b64 vcc, exec, s[54:55]
	s_cbranch_vccz .LBB4_2989
; %bb.2976:                             ;   in Loop: Header=BB4_2615 Depth=2
	v_mov_b32_e32 v1, 0
	v_mov_b32_e32 v0, 0
	s_and_saveexec_b64 s[20:21], s[18:19]
	s_cbranch_execz .LBB4_2982
; %bb.2977:                             ;   in Loop: Header=BB4_2615 Depth=2
	v_cmp_ne_u16_e32 vcc, s69, v18
	v_bfrev_b32_e32 v0, 1
	s_and_saveexec_b64 s[56:57], vcc
	s_cbranch_execz .LBB4_2981
; %bb.2978:                             ;   in Loop: Header=BB4_2615 Depth=2
	v_and_b32_e32 v3, 0x7f, v18
	v_cmp_ne_u32_e32 vcc, s71, v3
	v_mov_b32_e32 v0, 0x7f800001
	s_and_saveexec_b64 s[58:59], vcc
	s_cbranch_execz .LBB4_2980
; %bb.2979:                             ;   in Loop: Header=BB4_2615 Depth=2
	v_and_b32_e32 v0, 7, v18
	v_ffbh_u32_e32 v6, v0
	v_min_u32_e32 v8, 32, v6
	v_subrev_u32_e32 v6, 28, v8
	v_lshlrev_b64 v[6:7], v6, v[18:19]
	v_lshrrev_b32_e32 v4, 3, v3
	v_sub_u32_e32 v7, 29, v8
	v_and_b32_e32 v6, 7, v6
	v_cmp_gt_u32_e32 vcc, 8, v3
	v_cndmask_b32_e32 v3, v4, v7, vcc
	v_cndmask_b32_e32 v0, v0, v6, vcc
	v_lshlrev_b32_e32 v4, 16, v24
	v_lshlrev_b32_e32 v0, 20, v0
	v_and_b32_e32 v4, 0x80000000, v4
	v_lshl_add_u32 v3, v3, 23, v51
	v_or3_b32 v0, v4, v3, v0
.LBB4_2980:                             ;   in Loop: Header=BB4_2615 Depth=2
	s_or_b64 exec, exec, s[58:59]
.LBB4_2981:                             ;   in Loop: Header=BB4_2615 Depth=2
	s_or_b64 exec, exec, s[56:57]
.LBB4_2982:                             ;   in Loop: Header=BB4_2615 Depth=2
	s_or_b64 exec, exec, s[20:21]
	v_cmp_ne_u16_e32 vcc, 0, v2
	s_and_saveexec_b64 s[20:21], vcc
	s_cbranch_execz .LBB4_2988
; %bb.2983:                             ;   in Loop: Header=BB4_2615 Depth=2
	v_cmp_ne_u16_e32 vcc, s69, v2
	v_bfrev_b32_e32 v1, 1
	s_and_saveexec_b64 s[56:57], vcc
	s_cbranch_execz .LBB4_2987
; %bb.2984:                             ;   in Loop: Header=BB4_2615 Depth=2
	v_and_b32_e32 v3, 0x7f, v2
	v_cmp_ne_u32_e32 vcc, s71, v3
	v_mov_b32_e32 v1, 0x7f800001
	s_and_saveexec_b64 s[58:59], vcc
	s_cbranch_execz .LBB4_2986
; %bb.2985:                             ;   in Loop: Header=BB4_2615 Depth=2
	v_and_b32_e32 v1, 7, v2
	v_ffbh_u32_e32 v6, v1
	v_min_u32_e32 v8, 32, v6
	v_subrev_u32_e32 v6, 28, v8
	v_lshlrev_b64 v[6:7], v6, v[2:3]
	v_lshrrev_b32_e32 v4, 3, v3
	v_sub_u32_e32 v7, 29, v8
	v_and_b32_e32 v6, 7, v6
	v_cmp_gt_u32_e32 vcc, 8, v3
	v_cndmask_b32_e32 v3, v4, v7, vcc
	v_cndmask_b32_e32 v1, v1, v6, vcc
	v_lshlrev_b32_e32 v4, 16, v20
	v_lshlrev_b32_e32 v1, 20, v1
	v_and_b32_e32 v4, 0x80000000, v4
	v_lshl_add_u32 v3, v3, 23, v51
	v_or3_b32 v1, v4, v3, v1
.LBB4_2986:                             ;   in Loop: Header=BB4_2615 Depth=2
	s_or_b64 exec, exec, s[58:59]
.LBB4_2987:                             ;   in Loop: Header=BB4_2615 Depth=2
	s_or_b64 exec, exec, s[56:57]
.LBB4_2988:                             ;   in Loop: Header=BB4_2615 Depth=2
	s_or_b64 exec, exec, s[20:21]
	v_max_f32_e32 v1, v1, v1
	v_max_f32_e32 v0, v0, v0
	;; [unrolled: 1-line block ×3, first 2 shown]
	s_branch .LBB4_3003
.LBB4_2989:                             ;   in Loop: Header=BB4_2615 Depth=2
                                        ; implicit-def: $vgpr1
	s_cbranch_execz .LBB4_3003
; %bb.2990:                             ;   in Loop: Header=BB4_2615 Depth=2
	v_mov_b32_e32 v1, 0
	v_mov_b32_e32 v0, 0
	s_and_saveexec_b64 s[20:21], s[18:19]
	s_cbranch_execz .LBB4_2996
; %bb.2991:                             ;   in Loop: Header=BB4_2615 Depth=2
	v_cmp_ne_u16_e32 vcc, s69, v18
	v_bfrev_b32_e32 v0, 1
	s_and_saveexec_b64 s[18:19], vcc
	s_cbranch_execz .LBB4_2995
; %bb.2992:                             ;   in Loop: Header=BB4_2615 Depth=2
	v_and_b32_e32 v3, 0x7f, v18
	v_cmp_ne_u32_e32 vcc, s71, v3
	v_mov_b32_e32 v0, 0x7f800001
	s_and_saveexec_b64 s[56:57], vcc
	s_cbranch_execz .LBB4_2994
; %bb.2993:                             ;   in Loop: Header=BB4_2615 Depth=2
	v_and_b32_e32 v0, 7, v18
	v_ffbh_u32_e32 v6, v0
	v_min_u32_e32 v8, 32, v6
	v_subrev_u32_e32 v6, 28, v8
	v_lshlrev_b64 v[6:7], v6, v[18:19]
	v_lshrrev_b32_e32 v4, 3, v3
	v_sub_u32_e32 v7, 29, v8
	v_and_b32_e32 v6, 7, v6
	v_cmp_gt_u32_e32 vcc, 8, v3
	v_cndmask_b32_e32 v3, v4, v7, vcc
	v_cndmask_b32_e32 v0, v0, v6, vcc
	v_lshlrev_b32_e32 v4, 16, v24
	v_lshlrev_b32_e32 v0, 20, v0
	v_and_b32_e32 v4, 0x80000000, v4
	v_lshl_add_u32 v3, v3, 23, v51
	v_or3_b32 v0, v4, v3, v0
.LBB4_2994:                             ;   in Loop: Header=BB4_2615 Depth=2
	s_or_b64 exec, exec, s[56:57]
.LBB4_2995:                             ;   in Loop: Header=BB4_2615 Depth=2
	s_or_b64 exec, exec, s[18:19]
.LBB4_2996:                             ;   in Loop: Header=BB4_2615 Depth=2
	s_or_b64 exec, exec, s[20:21]
	v_cmp_ne_u16_e32 vcc, 0, v2
	s_and_saveexec_b64 s[18:19], vcc
	s_cbranch_execz .LBB4_3002
; %bb.2997:                             ;   in Loop: Header=BB4_2615 Depth=2
	v_cmp_ne_u16_e32 vcc, s69, v2
	v_bfrev_b32_e32 v1, 1
	s_and_saveexec_b64 s[20:21], vcc
	s_cbranch_execz .LBB4_3001
; %bb.2998:                             ;   in Loop: Header=BB4_2615 Depth=2
	v_and_b32_e32 v3, 0x7f, v2
	v_cmp_ne_u32_e32 vcc, s71, v3
	v_mov_b32_e32 v1, 0x7f800001
	s_and_saveexec_b64 s[56:57], vcc
	s_cbranch_execz .LBB4_3000
; %bb.2999:                             ;   in Loop: Header=BB4_2615 Depth=2
	v_and_b32_e32 v1, 7, v2
	v_ffbh_u32_e32 v6, v1
	v_min_u32_e32 v8, 32, v6
	v_subrev_u32_e32 v6, 28, v8
	v_lshlrev_b64 v[6:7], v6, v[2:3]
	v_lshrrev_b32_e32 v4, 3, v3
	v_sub_u32_e32 v2, 29, v8
	v_and_b32_e32 v6, 7, v6
	v_cmp_gt_u32_e32 vcc, 8, v3
	v_cndmask_b32_e32 v2, v4, v2, vcc
	v_cndmask_b32_e32 v1, v1, v6, vcc
	v_lshlrev_b32_e32 v3, 16, v20
	v_lshlrev_b32_e32 v1, 20, v1
	v_and_b32_e32 v3, 0x80000000, v3
	v_lshl_add_u32 v2, v2, 23, v51
	v_or3_b32 v1, v3, v2, v1
.LBB4_3000:                             ;   in Loop: Header=BB4_2615 Depth=2
	s_or_b64 exec, exec, s[56:57]
.LBB4_3001:                             ;   in Loop: Header=BB4_2615 Depth=2
	s_or_b64 exec, exec, s[20:21]
.LBB4_3002:                             ;   in Loop: Header=BB4_2615 Depth=2
	s_or_b64 exec, exec, s[18:19]
	v_max_f32_e32 v1, v1, v1
	v_max_f32_e32 v0, v0, v0
	v_min_f32_e32 v1, v0, v1
.LBB4_3003:                             ;   in Loop: Header=BB4_2615 Depth=2
	v_and_b32_sdwa v0, v1, s69 dst_sel:DWORD dst_unused:UNUSED_PAD src0_sel:BYTE_3 src1_sel:DWORD
	v_and_b32_e32 v2, 0x7f800000, v1
	v_mov_b32_e32 v3, v53
	v_accvgpr_write_b32 a24, v60
	v_and_b32_e32 v52, 0x7fffff, v1
	v_or_b32_e32 v60, 0x7e, v0
	v_cmp_ne_u64_e32 vcc, s[40:41], v[2:3]
	s_and_saveexec_b64 s[18:19], vcc
	s_xor_b64 s[20:21], exec, s[18:19]
	s_cbranch_execz .LBB4_3013
; %bb.3004:                             ;   in Loop: Header=BB4_2615 Depth=2
	v_and_b32_e32 v2, 0x7fffffff, v1
	v_mov_b32_e32 v3, v53
	v_cmp_gt_u64_e32 vcc, s[42:43], v[2:3]
	s_and_saveexec_b64 s[56:57], vcc
	s_cbranch_execz .LBB4_3012
; %bb.3005:                             ;   in Loop: Header=BB4_2615 Depth=2
	v_cmp_ne_u32_e32 vcc, 0, v1
	v_mov_b32_e32 v60, 0
	s_and_saveexec_b64 s[58:59], vcc
	s_cbranch_execz .LBB4_3011
; %bb.3006:                             ;   in Loop: Header=BB4_2615 Depth=2
	v_bfe_u32 v1, v1, 23, 8
	v_sub_u32_e32 v3, 0x79, v1
	v_cmp_gt_u32_e32 vcc, s73, v1
	v_add_u32_e32 v2, 0xffffff81, v1
	v_cndmask_b32_e32 v3, 0, v3, vcc
	v_cmp_eq_u32_e32 vcc, 0, v1
	v_mov_b32_e32 v1, 0xffffff82
	v_cndmask_b32_e32 v1, v2, v1, vcc
	v_mov_b32_e32 v2, 0x78
	v_or_b32_e32 v4, 0x800000, v52
	v_cndmask_b32_e32 v18, v3, v2, vcc
	v_cndmask_b32_e32 v52, v4, v52, vcc
	v_add_u32_e32 v2, 20, v18
	v_lshlrev_b64 v[2:3], v2, -1
	v_add_u32_e32 v4, 19, v18
	v_lshrrev_b64 v[8:9], v18, v[52:53]
	v_not_b32_e32 v3, v3
	v_not_b32_e32 v2, v2
	v_lshlrev_b64 v[6:7], v4, 1
	v_lshrrev_b32_e32 v4, 23, v8
	v_and_b32_e32 v3, 0, v3
	v_and_b32_e32 v2, v52, v2
	v_add3_u32 v19, v18, v1, v4
	v_bfe_u32 v1, v8, 20, 1
	v_add_u32_e32 v1, -1, v1
	v_cmp_eq_u64_e32 vcc, v[2:3], v[6:7]
	v_cndmask_b32_e32 v1, 0, v1, vcc
	v_add_u32_e32 v1, v1, v8
	v_and_b32_e32 v1, 0xfffff, v1
	v_add_co_u32_e32 v2, vcc, v1, v8
	v_add_u32_e32 v18, 6, v19
	v_addc_co_u32_e32 v3, vcc, 0, v9, vcc
	v_cmp_ne_u32_e32 vcc, 0, v18
                                        ; implicit-def: $vgpr1
	s_and_saveexec_b64 s[18:19], vcc
	s_xor_b64 s[18:19], exec, s[18:19]
; %bb.3007:                             ;   in Loop: Header=BB4_2615 Depth=2
	v_cmp_lt_u64_e32 vcc, s[46:47], v[2:3]
	v_add_u32_e32 v1, 7, v19
	v_cndmask_b32_e64 v4, 0, 1, vcc
	v_cndmask_b32_e32 v1, v18, v1, vcc
	v_lshrrev_b64 v[2:3], v4, v[2:3]
; %bb.3008:                             ;   in Loop: Header=BB4_2615 Depth=2
	s_andn2_saveexec_b64 s[18:19], s[18:19]
; %bb.3009:                             ;   in Loop: Header=BB4_2615 Depth=2
	v_bfe_u32 v1, v2, 23, 1
; %bb.3010:                             ;   in Loop: Header=BB4_2615 Depth=2
	s_or_b64 exec, exec, s[18:19]
	v_lshrrev_b64 v[2:3], 20, v[2:3]
	v_cmp_gt_i32_e32 vcc, 16, v1
	v_cndmask_b32_e32 v3, 0, v3, vcc
	v_cndmask_b32_e32 v2, 7, v2, vcc
	v_cmp_eq_u32_e32 vcc, 0, v1
	v_min_i32_e32 v1, 15, v1
	v_cmp_eq_u64_e64 s[18:19], 0, v[2:3]
	v_lshlrev_b32_e32 v1, 3, v1
	v_and_or_b32 v1, v2, 7, v1
	s_and_b64 s[18:19], vcc, s[18:19]
	v_cndmask_b32_e64 v1, v1, 0, s[18:19]
	v_or_b32_e32 v60, v1, v0
.LBB4_3011:                             ;   in Loop: Header=BB4_2615 Depth=2
	s_or_b64 exec, exec, s[58:59]
.LBB4_3012:                             ;   in Loop: Header=BB4_2615 Depth=2
	s_or_b64 exec, exec, s[56:57]
                                        ; implicit-def: $vgpr1
.LBB4_3013:                             ;   in Loop: Header=BB4_2615 Depth=2
	s_andn2_saveexec_b64 s[18:19], s[20:21]
; %bb.3014:                             ;   in Loop: Header=BB4_2615 Depth=2
	v_or_b32_sdwa v0, v1, s71 dst_sel:DWORD dst_unused:UNUSED_PAD src0_sel:BYTE_3 src1_sel:DWORD
	v_cmp_eq_u64_e32 vcc, 0, v[52:53]
	v_cndmask_b32_e32 v60, v0, v60, vcc
; %bb.3015:                             ;   in Loop: Header=BB4_2615 Depth=2
	s_or_b64 exec, exec, s[18:19]
	v_lshrrev_b32_e32 v18, 16, v24
	v_lshrrev_b32_e32 v2, 16, v20
	v_cmp_ne_u16_sdwa s[18:19], v18, v53 src0_sel:BYTE_0 src1_sel:DWORD
	s_and_b64 vcc, exec, s[54:55]
	s_cbranch_vccz .LBB4_3029
; %bb.3016:                             ;   in Loop: Header=BB4_2615 Depth=2
	v_mov_b32_e32 v1, 0
	v_mov_b32_e32 v0, 0
	s_and_saveexec_b64 s[20:21], s[18:19]
	s_cbranch_execz .LBB4_3022
; %bb.3017:                             ;   in Loop: Header=BB4_2615 Depth=2
	v_cmp_ne_u16_sdwa vcc, v18, s69 src0_sel:BYTE_0 src1_sel:DWORD
	v_bfrev_b32_e32 v0, 1
	s_and_saveexec_b64 s[56:57], vcc
	s_cbranch_execz .LBB4_3021
; %bb.3018:                             ;   in Loop: Header=BB4_2615 Depth=2
	v_bfe_u32 v3, v24, 16, 7
	v_cmp_ne_u32_e32 vcc, s71, v3
	v_mov_b32_e32 v0, 0x7f800001
	s_and_saveexec_b64 s[58:59], vcc
	s_cbranch_execz .LBB4_3020
; %bb.3019:                             ;   in Loop: Header=BB4_2615 Depth=2
	v_and_b32_e32 v0, 7, v18
	v_ffbh_u32_e32 v6, v0
	v_min_u32_e32 v8, 32, v6
	v_subrev_u32_e32 v6, 28, v8
	v_lshlrev_b64 v[6:7], v6, v[18:19]
	v_lshrrev_b32_e32 v4, 3, v3
	v_sub_u32_e32 v7, 29, v8
	v_and_b32_e32 v6, 7, v6
	v_cmp_gt_u32_e32 vcc, 8, v3
	v_cndmask_b32_e32 v3, v4, v7, vcc
	v_cndmask_b32_e32 v0, v0, v6, vcc
	v_lshlrev_b32_e32 v4, 24, v18
	v_lshlrev_b32_e32 v0, 20, v0
	v_and_b32_e32 v4, 0x80000000, v4
	v_lshl_add_u32 v3, v3, 23, v51
	v_or3_b32 v0, v4, v3, v0
.LBB4_3020:                             ;   in Loop: Header=BB4_2615 Depth=2
	s_or_b64 exec, exec, s[58:59]
.LBB4_3021:                             ;   in Loop: Header=BB4_2615 Depth=2
	s_or_b64 exec, exec, s[56:57]
.LBB4_3022:                             ;   in Loop: Header=BB4_2615 Depth=2
	s_or_b64 exec, exec, s[20:21]
	v_cmp_ne_u16_sdwa vcc, v2, v53 src0_sel:BYTE_0 src1_sel:DWORD
	s_and_saveexec_b64 s[20:21], vcc
	s_cbranch_execz .LBB4_3028
; %bb.3023:                             ;   in Loop: Header=BB4_2615 Depth=2
	v_cmp_ne_u16_sdwa vcc, v2, s69 src0_sel:BYTE_0 src1_sel:DWORD
	v_bfrev_b32_e32 v1, 1
	s_and_saveexec_b64 s[56:57], vcc
	s_cbranch_execz .LBB4_3027
; %bb.3024:                             ;   in Loop: Header=BB4_2615 Depth=2
	v_bfe_u32 v3, v20, 16, 7
	v_cmp_ne_u32_e32 vcc, s71, v3
	v_mov_b32_e32 v1, 0x7f800001
	s_and_saveexec_b64 s[58:59], vcc
	s_cbranch_execz .LBB4_3026
; %bb.3025:                             ;   in Loop: Header=BB4_2615 Depth=2
	v_and_b32_e32 v1, 7, v2
	v_ffbh_u32_e32 v6, v1
	v_min_u32_e32 v8, 32, v6
	v_subrev_u32_e32 v6, 28, v8
	v_lshlrev_b64 v[6:7], v6, v[2:3]
	v_lshrrev_b32_e32 v4, 3, v3
	v_sub_u32_e32 v7, 29, v8
	v_and_b32_e32 v6, 7, v6
	v_cmp_gt_u32_e32 vcc, 8, v3
	v_cndmask_b32_e32 v3, v4, v7, vcc
	v_cndmask_b32_e32 v1, v1, v6, vcc
	v_lshlrev_b32_e32 v4, 24, v2
	v_lshlrev_b32_e32 v1, 20, v1
	v_and_b32_e32 v4, 0x80000000, v4
	v_lshl_add_u32 v3, v3, 23, v51
	v_or3_b32 v1, v4, v3, v1
.LBB4_3026:                             ;   in Loop: Header=BB4_2615 Depth=2
	s_or_b64 exec, exec, s[58:59]
.LBB4_3027:                             ;   in Loop: Header=BB4_2615 Depth=2
	s_or_b64 exec, exec, s[56:57]
.LBB4_3028:                             ;   in Loop: Header=BB4_2615 Depth=2
	s_or_b64 exec, exec, s[20:21]
	v_max_f32_e32 v1, v1, v1
	v_max_f32_e32 v0, v0, v0
	v_max_f32_e32 v1, v0, v1
	s_branch .LBB4_3043
.LBB4_3029:                             ;   in Loop: Header=BB4_2615 Depth=2
                                        ; implicit-def: $vgpr1
	s_cbranch_execz .LBB4_3043
; %bb.3030:                             ;   in Loop: Header=BB4_2615 Depth=2
	v_mov_b32_e32 v1, 0
	v_mov_b32_e32 v0, 0
	s_and_saveexec_b64 s[20:21], s[18:19]
	s_cbranch_execz .LBB4_3036
; %bb.3031:                             ;   in Loop: Header=BB4_2615 Depth=2
	v_cmp_ne_u16_sdwa vcc, v18, s69 src0_sel:BYTE_0 src1_sel:DWORD
	v_bfrev_b32_e32 v0, 1
	s_and_saveexec_b64 s[18:19], vcc
	s_cbranch_execz .LBB4_3035
; %bb.3032:                             ;   in Loop: Header=BB4_2615 Depth=2
	v_bfe_u32 v3, v24, 16, 7
	v_cmp_ne_u32_e32 vcc, s71, v3
	v_mov_b32_e32 v0, 0x7f800001
	s_and_saveexec_b64 s[56:57], vcc
	s_cbranch_execz .LBB4_3034
; %bb.3033:                             ;   in Loop: Header=BB4_2615 Depth=2
	v_and_b32_e32 v0, 7, v18
	v_ffbh_u32_e32 v6, v0
	v_min_u32_e32 v8, 32, v6
	v_subrev_u32_e32 v6, 28, v8
	v_lshlrev_b64 v[6:7], v6, v[18:19]
	v_lshrrev_b32_e32 v4, 3, v3
	v_sub_u32_e32 v7, 29, v8
	v_and_b32_e32 v6, 7, v6
	v_cmp_gt_u32_e32 vcc, 8, v3
	v_cndmask_b32_e32 v3, v4, v7, vcc
	v_cndmask_b32_e32 v0, v0, v6, vcc
	v_lshlrev_b32_e32 v4, 24, v18
	v_lshlrev_b32_e32 v0, 20, v0
	v_and_b32_e32 v4, 0x80000000, v4
	v_lshl_add_u32 v3, v3, 23, v51
	v_or3_b32 v0, v4, v3, v0
.LBB4_3034:                             ;   in Loop: Header=BB4_2615 Depth=2
	s_or_b64 exec, exec, s[56:57]
.LBB4_3035:                             ;   in Loop: Header=BB4_2615 Depth=2
	s_or_b64 exec, exec, s[18:19]
.LBB4_3036:                             ;   in Loop: Header=BB4_2615 Depth=2
	s_or_b64 exec, exec, s[20:21]
	v_cmp_ne_u16_sdwa s[20:21], v2, v53 src0_sel:BYTE_0 src1_sel:DWORD
	s_and_saveexec_b64 s[18:19], s[20:21]
	s_cbranch_execz .LBB4_3042
; %bb.3037:                             ;   in Loop: Header=BB4_2615 Depth=2
	v_cmp_ne_u16_sdwa vcc, v2, s69 src0_sel:BYTE_0 src1_sel:DWORD
	v_bfrev_b32_e32 v1, 1
	s_and_saveexec_b64 s[20:21], vcc
	s_cbranch_execz .LBB4_3041
; %bb.3038:                             ;   in Loop: Header=BB4_2615 Depth=2
	v_bfe_u32 v3, v20, 16, 7
	v_cmp_ne_u32_e32 vcc, s71, v3
	v_mov_b32_e32 v1, 0x7f800001
	s_and_saveexec_b64 s[56:57], vcc
	s_cbranch_execz .LBB4_3040
; %bb.3039:                             ;   in Loop: Header=BB4_2615 Depth=2
	v_and_b32_e32 v1, 7, v2
	v_ffbh_u32_e32 v6, v1
	v_min_u32_e32 v8, 32, v6
	v_subrev_u32_e32 v6, 28, v8
	v_lshlrev_b64 v[6:7], v6, v[2:3]
	v_lshrrev_b32_e32 v4, 3, v3
	v_sub_u32_e32 v7, 29, v8
	v_and_b32_e32 v6, 7, v6
	v_cmp_gt_u32_e32 vcc, 8, v3
	v_cndmask_b32_e32 v3, v4, v7, vcc
	v_cndmask_b32_e32 v1, v1, v6, vcc
	v_lshlrev_b32_e32 v2, 24, v2
	v_lshlrev_b32_e32 v1, 20, v1
	v_and_b32_e32 v2, 0x80000000, v2
	v_lshl_add_u32 v3, v3, 23, v51
	v_or3_b32 v1, v2, v3, v1
.LBB4_3040:                             ;   in Loop: Header=BB4_2615 Depth=2
	s_or_b64 exec, exec, s[56:57]
.LBB4_3041:                             ;   in Loop: Header=BB4_2615 Depth=2
	s_or_b64 exec, exec, s[20:21]
.LBB4_3042:                             ;   in Loop: Header=BB4_2615 Depth=2
	s_or_b64 exec, exec, s[18:19]
	v_max_f32_e32 v1, v1, v1
	v_max_f32_e32 v0, v0, v0
	v_min_f32_e32 v1, v0, v1
.LBB4_3043:                             ;   in Loop: Header=BB4_2615 Depth=2
	v_and_b32_sdwa v0, v1, s69 dst_sel:DWORD dst_unused:UNUSED_PAD src0_sel:BYTE_3 src1_sel:DWORD
	v_and_b32_e32 v2, 0x7f800000, v1
	v_mov_b32_e32 v3, v53
	v_and_b32_e32 v52, 0x7fffff, v1
	v_or_b32_e32 v50, 0x7e, v0
	v_cmp_ne_u64_e32 vcc, s[40:41], v[2:3]
	s_and_saveexec_b64 s[18:19], vcc
	s_xor_b64 s[20:21], exec, s[18:19]
	s_cbranch_execz .LBB4_3053
; %bb.3044:                             ;   in Loop: Header=BB4_2615 Depth=2
	v_and_b32_e32 v2, 0x7fffffff, v1
	v_mov_b32_e32 v3, v53
	v_cmp_gt_u64_e32 vcc, s[42:43], v[2:3]
	s_and_saveexec_b64 s[56:57], vcc
	s_cbranch_execz .LBB4_3052
; %bb.3045:                             ;   in Loop: Header=BB4_2615 Depth=2
	v_cmp_ne_u32_e32 vcc, 0, v1
	v_mov_b32_e32 v50, 0
	s_and_saveexec_b64 s[58:59], vcc
	s_cbranch_execz .LBB4_3051
; %bb.3046:                             ;   in Loop: Header=BB4_2615 Depth=2
	v_bfe_u32 v1, v1, 23, 8
	v_sub_u32_e32 v3, 0x79, v1
	v_cmp_gt_u32_e32 vcc, s73, v1
	v_add_u32_e32 v2, 0xffffff81, v1
	v_cndmask_b32_e32 v3, 0, v3, vcc
	v_cmp_eq_u32_e32 vcc, 0, v1
	v_mov_b32_e32 v1, 0xffffff82
	v_cndmask_b32_e32 v1, v2, v1, vcc
	v_mov_b32_e32 v2, 0x78
	v_or_b32_e32 v4, 0x800000, v52
	v_cndmask_b32_e32 v18, v3, v2, vcc
	v_cndmask_b32_e32 v52, v4, v52, vcc
	v_add_u32_e32 v2, 20, v18
	v_lshlrev_b64 v[2:3], v2, -1
	v_add_u32_e32 v4, 19, v18
	v_lshrrev_b64 v[8:9], v18, v[52:53]
	v_not_b32_e32 v3, v3
	v_not_b32_e32 v2, v2
	v_lshlrev_b64 v[6:7], v4, 1
	v_lshrrev_b32_e32 v4, 23, v8
	v_and_b32_e32 v3, 0, v3
	v_and_b32_e32 v2, v52, v2
	v_add3_u32 v19, v18, v1, v4
	v_bfe_u32 v1, v8, 20, 1
	v_add_u32_e32 v1, -1, v1
	v_cmp_eq_u64_e32 vcc, v[2:3], v[6:7]
	v_cndmask_b32_e32 v1, 0, v1, vcc
	v_add_u32_e32 v1, v1, v8
	v_and_b32_e32 v1, 0xfffff, v1
	v_add_co_u32_e32 v2, vcc, v1, v8
	v_add_u32_e32 v18, 6, v19
	v_addc_co_u32_e32 v3, vcc, 0, v9, vcc
	v_cmp_ne_u32_e32 vcc, 0, v18
                                        ; implicit-def: $vgpr1
	s_and_saveexec_b64 s[18:19], vcc
	s_xor_b64 s[18:19], exec, s[18:19]
; %bb.3047:                             ;   in Loop: Header=BB4_2615 Depth=2
	v_cmp_lt_u64_e32 vcc, s[46:47], v[2:3]
	v_add_u32_e32 v1, 7, v19
	v_cndmask_b32_e64 v4, 0, 1, vcc
	v_cndmask_b32_e32 v1, v18, v1, vcc
	v_lshrrev_b64 v[2:3], v4, v[2:3]
; %bb.3048:                             ;   in Loop: Header=BB4_2615 Depth=2
	s_andn2_saveexec_b64 s[18:19], s[18:19]
; %bb.3049:                             ;   in Loop: Header=BB4_2615 Depth=2
	v_bfe_u32 v1, v2, 23, 1
; %bb.3050:                             ;   in Loop: Header=BB4_2615 Depth=2
	s_or_b64 exec, exec, s[18:19]
	v_lshrrev_b64 v[2:3], 20, v[2:3]
	v_cmp_gt_i32_e32 vcc, 16, v1
	v_cndmask_b32_e32 v3, 0, v3, vcc
	v_cndmask_b32_e32 v2, 7, v2, vcc
	v_cmp_eq_u32_e32 vcc, 0, v1
	v_min_i32_e32 v1, 15, v1
	v_cmp_eq_u64_e64 s[18:19], 0, v[2:3]
	v_lshlrev_b32_e32 v1, 3, v1
	v_and_or_b32 v1, v2, 7, v1
	s_and_b64 s[18:19], vcc, s[18:19]
	v_cndmask_b32_e64 v1, v1, 0, s[18:19]
	v_or_b32_e32 v50, v1, v0
.LBB4_3051:                             ;   in Loop: Header=BB4_2615 Depth=2
	s_or_b64 exec, exec, s[58:59]
.LBB4_3052:                             ;   in Loop: Header=BB4_2615 Depth=2
	s_or_b64 exec, exec, s[56:57]
                                        ; implicit-def: $vgpr1
.LBB4_3053:                             ;   in Loop: Header=BB4_2615 Depth=2
	s_andn2_saveexec_b64 s[18:19], s[20:21]
; %bb.3054:                             ;   in Loop: Header=BB4_2615 Depth=2
	v_or_b32_sdwa v0, v1, s71 dst_sel:DWORD dst_unused:UNUSED_PAD src0_sel:BYTE_3 src1_sel:DWORD
	v_cmp_eq_u64_e32 vcc, 0, v[52:53]
	v_cndmask_b32_e32 v50, v0, v50, vcc
; %bb.3055:                             ;   in Loop: Header=BB4_2615 Depth=2
	s_or_b64 exec, exec, s[18:19]
	v_lshrrev_b32_e32 v18, 24, v24
	v_lshrrev_b32_e32 v2, 24, v20
	v_cmp_lt_u32_e64 s[18:19], s45, v24
	s_and_b64 vcc, exec, s[54:55]
	s_cbranch_vccz .LBB4_3069
; %bb.3056:                             ;   in Loop: Header=BB4_2615 Depth=2
	v_mov_b32_e32 v1, 0
	v_mov_b32_e32 v0, 0
	s_and_saveexec_b64 s[20:21], s[18:19]
	s_cbranch_execz .LBB4_3062
; %bb.3057:                             ;   in Loop: Header=BB4_2615 Depth=2
	v_cmp_ne_u32_e32 vcc, s69, v18
	v_bfrev_b32_e32 v0, 1
	s_and_saveexec_b64 s[56:57], vcc
	s_cbranch_execz .LBB4_3061
; %bb.3058:                             ;   in Loop: Header=BB4_2615 Depth=2
	v_bfe_u32 v3, v24, 24, 7
	v_cmp_ne_u32_e32 vcc, s71, v3
	v_mov_b32_e32 v0, 0x7f800001
	s_and_saveexec_b64 s[58:59], vcc
	s_cbranch_execz .LBB4_3060
; %bb.3059:                             ;   in Loop: Header=BB4_2615 Depth=2
	v_and_b32_e32 v0, 7, v18
	v_ffbh_u32_e32 v6, v0
	v_min_u32_e32 v8, 32, v6
	v_subrev_u32_e32 v6, 28, v8
	v_lshlrev_b64 v[6:7], v6, v[18:19]
	v_lshrrev_b32_e32 v4, 3, v3
	v_sub_u32_e32 v7, 29, v8
	v_and_b32_e32 v6, 7, v6
	v_cmp_gt_u32_e32 vcc, 8, v3
	v_cndmask_b32_e32 v3, v4, v7, vcc
	v_cndmask_b32_e32 v0, v0, v6, vcc
	v_lshlrev_b32_e32 v4, 24, v18
	v_lshlrev_b32_e32 v0, 20, v0
	v_and_b32_e32 v4, 0x80000000, v4
	v_lshl_add_u32 v3, v3, 23, v51
	v_or3_b32 v0, v4, v3, v0
.LBB4_3060:                             ;   in Loop: Header=BB4_2615 Depth=2
	s_or_b64 exec, exec, s[58:59]
.LBB4_3061:                             ;   in Loop: Header=BB4_2615 Depth=2
	s_or_b64 exec, exec, s[56:57]
.LBB4_3062:                             ;   in Loop: Header=BB4_2615 Depth=2
	s_or_b64 exec, exec, s[20:21]
	v_cmp_lt_u32_e32 vcc, s45, v20
	s_and_saveexec_b64 s[20:21], vcc
	s_cbranch_execz .LBB4_3068
; %bb.3063:                             ;   in Loop: Header=BB4_2615 Depth=2
	v_cmp_ne_u32_e32 vcc, s69, v2
	v_bfrev_b32_e32 v1, 1
	s_and_saveexec_b64 s[56:57], vcc
	s_cbranch_execz .LBB4_3067
; %bb.3064:                             ;   in Loop: Header=BB4_2615 Depth=2
	v_bfe_u32 v3, v20, 24, 7
	v_cmp_ne_u32_e32 vcc, s71, v3
	v_mov_b32_e32 v1, 0x7f800001
	s_and_saveexec_b64 s[58:59], vcc
	s_cbranch_execz .LBB4_3066
; %bb.3065:                             ;   in Loop: Header=BB4_2615 Depth=2
	v_and_b32_e32 v1, 7, v2
	v_ffbh_u32_e32 v6, v1
	v_min_u32_e32 v8, 32, v6
	v_subrev_u32_e32 v6, 28, v8
	v_lshlrev_b64 v[6:7], v6, v[2:3]
	v_lshrrev_b32_e32 v4, 3, v3
	v_sub_u32_e32 v7, 29, v8
	v_and_b32_e32 v6, 7, v6
	v_cmp_gt_u32_e32 vcc, 8, v3
	v_cndmask_b32_e32 v3, v4, v7, vcc
	v_cndmask_b32_e32 v1, v1, v6, vcc
	v_lshlrev_b32_e32 v4, 24, v2
	v_lshlrev_b32_e32 v1, 20, v1
	v_and_b32_e32 v4, 0x80000000, v4
	v_lshl_add_u32 v3, v3, 23, v51
	v_or3_b32 v1, v4, v3, v1
.LBB4_3066:                             ;   in Loop: Header=BB4_2615 Depth=2
	s_or_b64 exec, exec, s[58:59]
.LBB4_3067:                             ;   in Loop: Header=BB4_2615 Depth=2
	s_or_b64 exec, exec, s[56:57]
.LBB4_3068:                             ;   in Loop: Header=BB4_2615 Depth=2
	s_or_b64 exec, exec, s[20:21]
	v_max_f32_e32 v1, v1, v1
	v_max_f32_e32 v0, v0, v0
	;; [unrolled: 1-line block ×3, first 2 shown]
	s_branch .LBB4_3083
.LBB4_3069:                             ;   in Loop: Header=BB4_2615 Depth=2
                                        ; implicit-def: $vgpr1
	s_cbranch_execz .LBB4_3083
; %bb.3070:                             ;   in Loop: Header=BB4_2615 Depth=2
	v_mov_b32_e32 v1, 0
	v_mov_b32_e32 v0, 0
	s_and_saveexec_b64 s[20:21], s[18:19]
	s_cbranch_execz .LBB4_3076
; %bb.3071:                             ;   in Loop: Header=BB4_2615 Depth=2
	v_cmp_ne_u32_e32 vcc, s69, v18
	v_bfrev_b32_e32 v0, 1
	s_and_saveexec_b64 s[18:19], vcc
	s_cbranch_execz .LBB4_3075
; %bb.3072:                             ;   in Loop: Header=BB4_2615 Depth=2
	v_bfe_u32 v3, v24, 24, 7
	v_cmp_ne_u32_e32 vcc, s71, v3
	v_mov_b32_e32 v0, 0x7f800001
	s_and_saveexec_b64 s[56:57], vcc
	s_cbranch_execz .LBB4_3074
; %bb.3073:                             ;   in Loop: Header=BB4_2615 Depth=2
	v_and_b32_e32 v0, 7, v18
	v_ffbh_u32_e32 v6, v0
	v_min_u32_e32 v8, 32, v6
	v_subrev_u32_e32 v6, 28, v8
	v_lshlrev_b64 v[6:7], v6, v[18:19]
	v_lshrrev_b32_e32 v4, 3, v3
	v_sub_u32_e32 v7, 29, v8
	v_and_b32_e32 v6, 7, v6
	v_cmp_gt_u32_e32 vcc, 8, v3
	v_cndmask_b32_e32 v3, v4, v7, vcc
	v_cndmask_b32_e32 v0, v0, v6, vcc
	v_lshlrev_b32_e32 v4, 24, v18
	v_lshlrev_b32_e32 v0, 20, v0
	v_and_b32_e32 v4, 0x80000000, v4
	v_lshl_add_u32 v3, v3, 23, v51
	v_or3_b32 v0, v4, v3, v0
.LBB4_3074:                             ;   in Loop: Header=BB4_2615 Depth=2
	s_or_b64 exec, exec, s[56:57]
.LBB4_3075:                             ;   in Loop: Header=BB4_2615 Depth=2
	s_or_b64 exec, exec, s[18:19]
.LBB4_3076:                             ;   in Loop: Header=BB4_2615 Depth=2
	s_or_b64 exec, exec, s[20:21]
	v_cmp_lt_u32_e32 vcc, s45, v20
	s_and_saveexec_b64 s[18:19], vcc
	s_cbranch_execz .LBB4_3082
; %bb.3077:                             ;   in Loop: Header=BB4_2615 Depth=2
	v_cmp_ne_u32_e32 vcc, s69, v2
	v_bfrev_b32_e32 v1, 1
	s_and_saveexec_b64 s[20:21], vcc
	s_cbranch_execz .LBB4_3081
; %bb.3078:                             ;   in Loop: Header=BB4_2615 Depth=2
	v_bfe_u32 v3, v20, 24, 7
	v_cmp_ne_u32_e32 vcc, s71, v3
	v_mov_b32_e32 v1, 0x7f800001
	s_and_saveexec_b64 s[56:57], vcc
	s_cbranch_execz .LBB4_3080
; %bb.3079:                             ;   in Loop: Header=BB4_2615 Depth=2
	v_and_b32_e32 v1, 7, v2
	v_ffbh_u32_e32 v6, v1
	v_min_u32_e32 v8, 32, v6
	v_subrev_u32_e32 v6, 28, v8
	v_lshlrev_b64 v[6:7], v6, v[2:3]
	v_lshrrev_b32_e32 v4, 3, v3
	v_sub_u32_e32 v7, 29, v8
	v_and_b32_e32 v6, 7, v6
	v_cmp_gt_u32_e32 vcc, 8, v3
	v_cndmask_b32_e32 v3, v4, v7, vcc
	v_cndmask_b32_e32 v1, v1, v6, vcc
	v_lshlrev_b32_e32 v2, 24, v2
	v_lshlrev_b32_e32 v1, 20, v1
	v_and_b32_e32 v2, 0x80000000, v2
	v_lshl_add_u32 v3, v3, 23, v51
	v_or3_b32 v1, v2, v3, v1
.LBB4_3080:                             ;   in Loop: Header=BB4_2615 Depth=2
	s_or_b64 exec, exec, s[56:57]
.LBB4_3081:                             ;   in Loop: Header=BB4_2615 Depth=2
	s_or_b64 exec, exec, s[20:21]
.LBB4_3082:                             ;   in Loop: Header=BB4_2615 Depth=2
	s_or_b64 exec, exec, s[18:19]
	v_max_f32_e32 v1, v1, v1
	v_max_f32_e32 v0, v0, v0
	v_min_f32_e32 v1, v0, v1
.LBB4_3083:                             ;   in Loop: Header=BB4_2615 Depth=2
	v_and_b32_sdwa v0, v1, s69 dst_sel:DWORD dst_unused:UNUSED_PAD src0_sel:BYTE_3 src1_sel:DWORD
	v_and_b32_e32 v2, 0x7f800000, v1
	v_mov_b32_e32 v3, v53
	v_and_b32_e32 v52, 0x7fffff, v1
	v_or_b32_e32 v44, 0x7e, v0
	v_cmp_ne_u64_e32 vcc, s[40:41], v[2:3]
	s_and_saveexec_b64 s[18:19], vcc
	s_xor_b64 s[20:21], exec, s[18:19]
	s_cbranch_execz .LBB4_3093
; %bb.3084:                             ;   in Loop: Header=BB4_2615 Depth=2
	v_and_b32_e32 v2, 0x7fffffff, v1
	v_mov_b32_e32 v3, v53
	v_cmp_gt_u64_e32 vcc, s[42:43], v[2:3]
	s_and_saveexec_b64 s[56:57], vcc
	s_cbranch_execz .LBB4_3092
; %bb.3085:                             ;   in Loop: Header=BB4_2615 Depth=2
	v_cmp_ne_u32_e32 vcc, 0, v1
	v_mov_b32_e32 v44, 0
	s_and_saveexec_b64 s[58:59], vcc
	s_cbranch_execz .LBB4_3091
; %bb.3086:                             ;   in Loop: Header=BB4_2615 Depth=2
	v_bfe_u32 v1, v1, 23, 8
	v_sub_u32_e32 v3, 0x79, v1
	v_cmp_gt_u32_e32 vcc, s73, v1
	v_add_u32_e32 v2, 0xffffff81, v1
	v_cndmask_b32_e32 v3, 0, v3, vcc
	v_cmp_eq_u32_e32 vcc, 0, v1
	v_mov_b32_e32 v1, 0xffffff82
	v_cndmask_b32_e32 v1, v2, v1, vcc
	v_mov_b32_e32 v2, 0x78
	v_or_b32_e32 v4, 0x800000, v52
	v_cndmask_b32_e32 v18, v3, v2, vcc
	v_cndmask_b32_e32 v52, v4, v52, vcc
	v_add_u32_e32 v2, 20, v18
	v_lshlrev_b64 v[2:3], v2, -1
	v_add_u32_e32 v4, 19, v18
	v_lshrrev_b64 v[8:9], v18, v[52:53]
	v_not_b32_e32 v3, v3
	v_not_b32_e32 v2, v2
	v_lshlrev_b64 v[6:7], v4, 1
	v_lshrrev_b32_e32 v4, 23, v8
	v_and_b32_e32 v3, 0, v3
	v_and_b32_e32 v2, v52, v2
	v_add3_u32 v19, v18, v1, v4
	v_bfe_u32 v1, v8, 20, 1
	v_add_u32_e32 v1, -1, v1
	v_cmp_eq_u64_e32 vcc, v[2:3], v[6:7]
	v_cndmask_b32_e32 v1, 0, v1, vcc
	v_add_u32_e32 v1, v1, v8
	v_and_b32_e32 v1, 0xfffff, v1
	v_add_co_u32_e32 v2, vcc, v1, v8
	v_add_u32_e32 v18, 6, v19
	v_addc_co_u32_e32 v3, vcc, 0, v9, vcc
	v_cmp_ne_u32_e32 vcc, 0, v18
                                        ; implicit-def: $vgpr1
	s_and_saveexec_b64 s[18:19], vcc
	s_xor_b64 s[18:19], exec, s[18:19]
; %bb.3087:                             ;   in Loop: Header=BB4_2615 Depth=2
	v_cmp_lt_u64_e32 vcc, s[46:47], v[2:3]
	v_add_u32_e32 v1, 7, v19
	v_cndmask_b32_e64 v4, 0, 1, vcc
	v_cndmask_b32_e32 v1, v18, v1, vcc
	v_lshrrev_b64 v[2:3], v4, v[2:3]
; %bb.3088:                             ;   in Loop: Header=BB4_2615 Depth=2
	s_andn2_saveexec_b64 s[18:19], s[18:19]
; %bb.3089:                             ;   in Loop: Header=BB4_2615 Depth=2
	v_bfe_u32 v1, v2, 23, 1
; %bb.3090:                             ;   in Loop: Header=BB4_2615 Depth=2
	s_or_b64 exec, exec, s[18:19]
	v_lshrrev_b64 v[2:3], 20, v[2:3]
	v_cmp_gt_i32_e32 vcc, 16, v1
	v_cndmask_b32_e32 v3, 0, v3, vcc
	v_cndmask_b32_e32 v2, 7, v2, vcc
	v_cmp_eq_u32_e32 vcc, 0, v1
	v_min_i32_e32 v1, 15, v1
	v_cmp_eq_u64_e64 s[18:19], 0, v[2:3]
	v_lshlrev_b32_e32 v1, 3, v1
	v_and_or_b32 v1, v2, 7, v1
	s_and_b64 s[18:19], vcc, s[18:19]
	v_cndmask_b32_e64 v1, v1, 0, s[18:19]
	v_or_b32_e32 v44, v1, v0
.LBB4_3091:                             ;   in Loop: Header=BB4_2615 Depth=2
	s_or_b64 exec, exec, s[58:59]
.LBB4_3092:                             ;   in Loop: Header=BB4_2615 Depth=2
	s_or_b64 exec, exec, s[56:57]
                                        ; implicit-def: $vgpr1
.LBB4_3093:                             ;   in Loop: Header=BB4_2615 Depth=2
	s_andn2_saveexec_b64 s[18:19], s[20:21]
; %bb.3094:                             ;   in Loop: Header=BB4_2615 Depth=2
	v_or_b32_sdwa v0, v1, s71 dst_sel:DWORD dst_unused:UNUSED_PAD src0_sel:BYTE_3 src1_sel:DWORD
	v_cmp_eq_u64_e32 vcc, 0, v[52:53]
	v_cndmask_b32_e32 v44, v0, v44, vcc
; %bb.3095:                             ;   in Loop: Header=BB4_2615 Depth=2
	s_or_b64 exec, exec, s[18:19]
	v_mov_b32_e32 v52, v25
	v_mov_b32_e32 v2, v21
	;; [unrolled: 1-line block ×3, first 2 shown]
	v_cmp_ne_u16_sdwa s[18:19], v25, v53 src0_sel:BYTE_0 src1_sel:DWORD
	s_and_b64 vcc, exec, s[54:55]
	s_cbranch_vccz .LBB4_3109
; %bb.3096:                             ;   in Loop: Header=BB4_2615 Depth=2
	v_mov_b32_e32 v1, 0
	v_mov_b32_e32 v0, 0
	s_and_saveexec_b64 s[20:21], s[18:19]
	s_cbranch_execz .LBB4_3102
; %bb.3097:                             ;   in Loop: Header=BB4_2615 Depth=2
	v_cmp_ne_u16_sdwa vcc, v25, s69 src0_sel:BYTE_0 src1_sel:DWORD
	v_bfrev_b32_e32 v0, 1
	s_and_saveexec_b64 s[56:57], vcc
	s_cbranch_execz .LBB4_3101
; %bb.3098:                             ;   in Loop: Header=BB4_2615 Depth=2
	v_and_b32_e32 v4, 0x7f, v25
	v_cmp_ne_u32_e32 vcc, s71, v4
	v_mov_b32_e32 v0, 0x7f800001
	s_and_saveexec_b64 s[58:59], vcc
	s_cbranch_execz .LBB4_3100
; %bb.3099:                             ;   in Loop: Header=BB4_2615 Depth=2
	v_and_b32_e32 v0, 7, v25
	v_ffbh_u32_e32 v0, v0
	v_min_u32_e32 v0, 32, v0
	v_subrev_u32_e32 v7, 28, v0
	v_cmp_gt_u32_e32 vcc, 8, v4
	v_lshrrev_b32_e32 v6, 3, v4
	v_sub_u32_e32 v0, 29, v0
	v_cndmask_b32_e32 v4, 0, v7, vcc
	v_cndmask_b32_e32 v0, v6, v0, vcc
	v_lshlrev_b64 v[6:7], v4, v[52:53]
	v_lshlrev_b32_e32 v4, 20, v6
	v_lshlrev_b32_e32 v6, 24, v52
	v_and_b32_e32 v4, 0x700000, v4
	v_and_b32_e32 v6, 0x80000000, v6
	v_lshl_add_u32 v0, v0, 23, v51
	v_or3_b32 v0, v6, v0, v4
.LBB4_3100:                             ;   in Loop: Header=BB4_2615 Depth=2
	s_or_b64 exec, exec, s[58:59]
.LBB4_3101:                             ;   in Loop: Header=BB4_2615 Depth=2
	s_or_b64 exec, exec, s[56:57]
.LBB4_3102:                             ;   in Loop: Header=BB4_2615 Depth=2
	s_or_b64 exec, exec, s[20:21]
	v_cmp_ne_u16_sdwa vcc, v21, v53 src0_sel:BYTE_0 src1_sel:DWORD
	s_and_saveexec_b64 s[20:21], vcc
	s_cbranch_execz .LBB4_3108
; %bb.3103:                             ;   in Loop: Header=BB4_2615 Depth=2
	v_cmp_ne_u16_sdwa vcc, v21, s69 src0_sel:BYTE_0 src1_sel:DWORD
	v_bfrev_b32_e32 v1, 1
	s_and_saveexec_b64 s[56:57], vcc
	s_cbranch_execz .LBB4_3107
; %bb.3104:                             ;   in Loop: Header=BB4_2615 Depth=2
	v_and_b32_e32 v4, 0x7f, v21
	v_cmp_ne_u32_e32 vcc, s71, v4
	v_mov_b32_e32 v1, 0x7f800001
	s_and_saveexec_b64 s[58:59], vcc
	s_cbranch_execz .LBB4_3106
; %bb.3105:                             ;   in Loop: Header=BB4_2615 Depth=2
	v_and_b32_e32 v1, 7, v21
	v_ffbh_u32_e32 v1, v1
	v_min_u32_e32 v1, 32, v1
	v_subrev_u32_e32 v7, 28, v1
	v_cmp_gt_u32_e32 vcc, 8, v4
	v_lshrrev_b32_e32 v6, 3, v4
	v_sub_u32_e32 v1, 29, v1
	v_cndmask_b32_e32 v4, 0, v7, vcc
	v_cndmask_b32_e32 v1, v6, v1, vcc
	v_lshlrev_b64 v[6:7], v4, v[2:3]
	v_lshlrev_b32_e32 v4, 20, v6
	v_lshlrev_b32_e32 v6, 24, v2
	v_and_b32_e32 v4, 0x700000, v4
	v_and_b32_e32 v6, 0x80000000, v6
	v_lshl_add_u32 v1, v1, 23, v51
	v_or3_b32 v1, v6, v1, v4
.LBB4_3106:                             ;   in Loop: Header=BB4_2615 Depth=2
	s_or_b64 exec, exec, s[58:59]
.LBB4_3107:                             ;   in Loop: Header=BB4_2615 Depth=2
	s_or_b64 exec, exec, s[56:57]
.LBB4_3108:                             ;   in Loop: Header=BB4_2615 Depth=2
	s_or_b64 exec, exec, s[20:21]
	v_max_f32_e32 v1, v1, v1
	v_max_f32_e32 v0, v0, v0
	;; [unrolled: 1-line block ×3, first 2 shown]
	s_branch .LBB4_3123
.LBB4_3109:                             ;   in Loop: Header=BB4_2615 Depth=2
                                        ; implicit-def: $vgpr1
	s_cbranch_execz .LBB4_3123
; %bb.3110:                             ;   in Loop: Header=BB4_2615 Depth=2
	v_mov_b32_e32 v1, 0
	v_mov_b32_e32 v0, 0
	s_and_saveexec_b64 s[20:21], s[18:19]
	s_cbranch_execz .LBB4_3116
; %bb.3111:                             ;   in Loop: Header=BB4_2615 Depth=2
	v_cmp_ne_u16_sdwa vcc, v25, s69 src0_sel:BYTE_0 src1_sel:DWORD
	v_bfrev_b32_e32 v0, 1
	s_and_saveexec_b64 s[18:19], vcc
	s_cbranch_execz .LBB4_3115
; %bb.3112:                             ;   in Loop: Header=BB4_2615 Depth=2
	v_and_b32_e32 v4, 0x7f, v25
	v_cmp_ne_u32_e32 vcc, s71, v4
	v_mov_b32_e32 v0, 0x7f800001
	s_and_saveexec_b64 s[56:57], vcc
	s_cbranch_execz .LBB4_3114
; %bb.3113:                             ;   in Loop: Header=BB4_2615 Depth=2
	v_and_b32_e32 v0, 7, v25
	v_ffbh_u32_e32 v0, v0
	v_min_u32_e32 v0, 32, v0
	v_subrev_u32_e32 v7, 28, v0
	v_cmp_gt_u32_e32 vcc, 8, v4
	v_lshrrev_b32_e32 v6, 3, v4
	v_sub_u32_e32 v0, 29, v0
	v_cndmask_b32_e32 v4, 0, v7, vcc
	v_cndmask_b32_e32 v0, v6, v0, vcc
	v_lshlrev_b64 v[6:7], v4, v[52:53]
	v_lshlrev_b32_e32 v4, 20, v6
	v_lshlrev_b32_e32 v6, 24, v52
	v_and_b32_e32 v4, 0x700000, v4
	v_and_b32_e32 v6, 0x80000000, v6
	v_lshl_add_u32 v0, v0, 23, v51
	v_or3_b32 v0, v6, v0, v4
.LBB4_3114:                             ;   in Loop: Header=BB4_2615 Depth=2
	s_or_b64 exec, exec, s[56:57]
.LBB4_3115:                             ;   in Loop: Header=BB4_2615 Depth=2
	s_or_b64 exec, exec, s[18:19]
.LBB4_3116:                             ;   in Loop: Header=BB4_2615 Depth=2
	s_or_b64 exec, exec, s[20:21]
	v_cmp_ne_u16_sdwa s[20:21], v21, v53 src0_sel:BYTE_0 src1_sel:DWORD
	s_and_saveexec_b64 s[18:19], s[20:21]
	s_cbranch_execz .LBB4_3122
; %bb.3117:                             ;   in Loop: Header=BB4_2615 Depth=2
	v_cmp_ne_u16_sdwa vcc, v21, s69 src0_sel:BYTE_0 src1_sel:DWORD
	v_bfrev_b32_e32 v1, 1
	s_and_saveexec_b64 s[20:21], vcc
	s_cbranch_execz .LBB4_3121
; %bb.3118:                             ;   in Loop: Header=BB4_2615 Depth=2
	v_and_b32_e32 v4, 0x7f, v21
	v_cmp_ne_u32_e32 vcc, s71, v4
	v_mov_b32_e32 v1, 0x7f800001
	s_and_saveexec_b64 s[56:57], vcc
	s_cbranch_execz .LBB4_3120
; %bb.3119:                             ;   in Loop: Header=BB4_2615 Depth=2
	v_and_b32_e32 v1, 7, v21
	v_ffbh_u32_e32 v1, v1
	v_min_u32_e32 v1, 32, v1
	v_subrev_u32_e32 v7, 28, v1
	v_cmp_gt_u32_e32 vcc, 8, v4
	v_lshrrev_b32_e32 v6, 3, v4
	v_sub_u32_e32 v1, 29, v1
	v_cndmask_b32_e32 v4, 0, v7, vcc
	v_cndmask_b32_e32 v1, v6, v1, vcc
	v_lshlrev_b64 v[6:7], v4, v[2:3]
	v_lshlrev_b32_e32 v3, 20, v6
	v_lshlrev_b32_e32 v4, 24, v2
	v_and_b32_e32 v3, 0x700000, v3
	v_and_b32_e32 v4, 0x80000000, v4
	v_lshl_add_u32 v1, v1, 23, v51
	v_or3_b32 v1, v4, v1, v3
.LBB4_3120:                             ;   in Loop: Header=BB4_2615 Depth=2
	s_or_b64 exec, exec, s[56:57]
.LBB4_3121:                             ;   in Loop: Header=BB4_2615 Depth=2
	s_or_b64 exec, exec, s[20:21]
.LBB4_3122:                             ;   in Loop: Header=BB4_2615 Depth=2
	s_or_b64 exec, exec, s[18:19]
	v_max_f32_e32 v1, v1, v1
	v_max_f32_e32 v0, v0, v0
	v_min_f32_e32 v1, v0, v1
.LBB4_3123:                             ;   in Loop: Header=BB4_2615 Depth=2
	v_and_b32_sdwa v0, v1, s69 dst_sel:DWORD dst_unused:UNUSED_PAD src0_sel:BYTE_3 src1_sel:DWORD
	v_and_b32_e32 v6, 0x7f800000, v1
	v_mov_b32_e32 v7, v53
	v_and_b32_e32 v18, 0x7fffff, v1
	v_mov_b32_e32 v19, v53
	v_or_b32_e32 v29, 0x7e, v0
	v_cmp_ne_u64_e32 vcc, s[40:41], v[6:7]
	s_and_saveexec_b64 s[18:19], vcc
	s_xor_b64 s[20:21], exec, s[18:19]
	s_cbranch_execz .LBB4_3133
; %bb.3124:                             ;   in Loop: Header=BB4_2615 Depth=2
	v_and_b32_e32 v6, 0x7fffffff, v1
	v_mov_b32_e32 v7, v53
	v_cmp_gt_u64_e32 vcc, s[42:43], v[6:7]
	s_and_saveexec_b64 s[56:57], vcc
	s_cbranch_execz .LBB4_3132
; %bb.3125:                             ;   in Loop: Header=BB4_2615 Depth=2
	v_cmp_ne_u32_e32 vcc, 0, v1
	v_mov_b32_e32 v29, 0
	s_and_saveexec_b64 s[58:59], vcc
	s_cbranch_execz .LBB4_3131
; %bb.3126:                             ;   in Loop: Header=BB4_2615 Depth=2
	v_bfe_u32 v1, v1, 23, 8
	v_sub_u32_e32 v4, 0x79, v1
	v_cmp_gt_u32_e32 vcc, s73, v1
	v_add_u32_e32 v3, 0xffffff81, v1
	v_cndmask_b32_e32 v4, 0, v4, vcc
	v_cmp_eq_u32_e32 vcc, 0, v1
	v_mov_b32_e32 v1, 0xffffff82
	v_cndmask_b32_e32 v1, v3, v1, vcc
	v_mov_b32_e32 v3, 0x78
	v_cndmask_b32_e32 v3, v4, v3, vcc
	v_or_b32_e32 v6, 0x800000, v18
	v_add_u32_e32 v4, 20, v3
	v_cndmask_b32_e32 v18, v6, v18, vcc
	v_lshlrev_b64 v[6:7], v4, -1
	v_not_b32_e32 v4, v7
	v_not_b32_e32 v6, v6
	v_and_b32_e32 v7, 0, v4
	v_and_b32_e32 v6, v18, v6
	v_add_u32_e32 v4, 19, v3
	v_lshrrev_b64 v[18:19], v3, v[18:19]
	v_lshlrev_b64 v[8:9], v4, 1
	v_lshrrev_b32_e32 v4, 23, v18
	v_add3_u32 v22, v3, v1, v4
	v_bfe_u32 v1, v18, 20, 1
	v_add_u32_e32 v1, -1, v1
	v_cmp_eq_u64_e32 vcc, v[6:7], v[8:9]
	v_cndmask_b32_e32 v1, 0, v1, vcc
	v_add_u32_e32 v1, v1, v18
	v_and_b32_e32 v1, 0xfffff, v1
	v_add_co_u32_e32 v18, vcc, v1, v18
	v_add_u32_e32 v3, 6, v22
	v_addc_co_u32_e32 v19, vcc, 0, v19, vcc
	v_cmp_ne_u32_e32 vcc, 0, v3
                                        ; implicit-def: $vgpr1
	s_and_saveexec_b64 s[18:19], vcc
	s_xor_b64 s[18:19], exec, s[18:19]
; %bb.3127:                             ;   in Loop: Header=BB4_2615 Depth=2
	v_add_u32_e32 v1, 7, v22
	v_cmp_lt_u64_e32 vcc, s[46:47], v[18:19]
	v_cndmask_b32_e32 v1, v3, v1, vcc
	v_cndmask_b32_e64 v3, 0, 1, vcc
	v_lshrrev_b64 v[18:19], v3, v[18:19]
; %bb.3128:                             ;   in Loop: Header=BB4_2615 Depth=2
	s_andn2_saveexec_b64 s[18:19], s[18:19]
; %bb.3129:                             ;   in Loop: Header=BB4_2615 Depth=2
	v_bfe_u32 v1, v18, 23, 1
; %bb.3130:                             ;   in Loop: Header=BB4_2615 Depth=2
	s_or_b64 exec, exec, s[18:19]
	v_lshrrev_b64 v[6:7], 20, v[18:19]
	v_cmp_gt_i32_e32 vcc, 16, v1
	v_cndmask_b32_e32 v7, 0, v7, vcc
	v_cndmask_b32_e32 v6, 7, v6, vcc
	v_cmp_eq_u32_e32 vcc, 0, v1
	v_min_i32_e32 v1, 15, v1
	v_cmp_eq_u64_e64 s[18:19], 0, v[6:7]
	v_lshlrev_b32_e32 v1, 3, v1
	v_and_or_b32 v1, v6, 7, v1
	s_and_b64 s[18:19], vcc, s[18:19]
	v_cndmask_b32_e64 v1, v1, 0, s[18:19]
	v_or_b32_e32 v29, v1, v0
.LBB4_3131:                             ;   in Loop: Header=BB4_2615 Depth=2
	s_or_b64 exec, exec, s[58:59]
.LBB4_3132:                             ;   in Loop: Header=BB4_2615 Depth=2
	s_or_b64 exec, exec, s[56:57]
                                        ; implicit-def: $vgpr1
                                        ; implicit-def: $vgpr18_vgpr19
.LBB4_3133:                             ;   in Loop: Header=BB4_2615 Depth=2
	s_andn2_saveexec_b64 s[18:19], s[20:21]
; %bb.3134:                             ;   in Loop: Header=BB4_2615 Depth=2
	v_or_b32_sdwa v0, v1, s71 dst_sel:DWORD dst_unused:UNUSED_PAD src0_sel:BYTE_3 src1_sel:DWORD
	v_cmp_eq_u64_e32 vcc, 0, v[18:19]
	v_cndmask_b32_e32 v29, v0, v29, vcc
; %bb.3135:                             ;   in Loop: Header=BB4_2615 Depth=2
	s_or_b64 exec, exec, s[18:19]
	v_lshrrev_b16_e32 v22, 8, v52
	v_lshrrev_b16_e32 v18, 8, v2
	v_cmp_ne_u16_e64 s[18:19], 0, v22
	s_and_b64 vcc, exec, s[54:55]
	s_cbranch_vccz .LBB4_3149
; %bb.3136:                             ;   in Loop: Header=BB4_2615 Depth=2
	v_mov_b32_e32 v1, 0
	v_mov_b32_e32 v0, 0
	s_and_saveexec_b64 s[20:21], s[18:19]
	s_cbranch_execz .LBB4_3142
; %bb.3137:                             ;   in Loop: Header=BB4_2615 Depth=2
	v_cmp_ne_u16_e32 vcc, s69, v22
	v_bfrev_b32_e32 v0, 1
	s_and_saveexec_b64 s[56:57], vcc
	s_cbranch_execz .LBB4_3141
; %bb.3138:                             ;   in Loop: Header=BB4_2615 Depth=2
	v_and_b32_e32 v3, 0x7f, v22
	v_cmp_ne_u32_e32 vcc, s71, v3
	v_mov_b32_e32 v0, 0x7f800001
	s_and_saveexec_b64 s[58:59], vcc
	s_cbranch_execz .LBB4_3140
; %bb.3139:                             ;   in Loop: Header=BB4_2615 Depth=2
	v_and_b32_e32 v0, 7, v22
	v_ffbh_u32_e32 v6, v0
	v_min_u32_e32 v8, 32, v6
	v_subrev_u32_e32 v6, 28, v8
	v_lshlrev_b64 v[6:7], v6, v[22:23]
	v_lshrrev_b32_e32 v4, 3, v3
	v_sub_u32_e32 v7, 29, v8
	v_and_b32_e32 v6, 7, v6
	v_cmp_gt_u32_e32 vcc, 8, v3
	v_cndmask_b32_e32 v3, v4, v7, vcc
	v_cndmask_b32_e32 v0, v0, v6, vcc
	v_lshlrev_b32_e32 v4, 16, v52
	v_lshlrev_b32_e32 v0, 20, v0
	v_and_b32_e32 v4, 0x80000000, v4
	v_lshl_add_u32 v3, v3, 23, v51
	v_or3_b32 v0, v4, v3, v0
.LBB4_3140:                             ;   in Loop: Header=BB4_2615 Depth=2
	s_or_b64 exec, exec, s[58:59]
.LBB4_3141:                             ;   in Loop: Header=BB4_2615 Depth=2
	s_or_b64 exec, exec, s[56:57]
.LBB4_3142:                             ;   in Loop: Header=BB4_2615 Depth=2
	s_or_b64 exec, exec, s[20:21]
	v_cmp_ne_u16_e32 vcc, 0, v18
	s_and_saveexec_b64 s[20:21], vcc
	s_cbranch_execz .LBB4_3148
; %bb.3143:                             ;   in Loop: Header=BB4_2615 Depth=2
	v_cmp_ne_u16_e32 vcc, s69, v18
	v_bfrev_b32_e32 v1, 1
	s_and_saveexec_b64 s[56:57], vcc
	s_cbranch_execz .LBB4_3147
; %bb.3144:                             ;   in Loop: Header=BB4_2615 Depth=2
	v_and_b32_e32 v3, 0x7f, v18
	v_cmp_ne_u32_e32 vcc, s71, v3
	v_mov_b32_e32 v1, 0x7f800001
	s_and_saveexec_b64 s[58:59], vcc
	s_cbranch_execz .LBB4_3146
; %bb.3145:                             ;   in Loop: Header=BB4_2615 Depth=2
	v_and_b32_e32 v1, 7, v18
	v_ffbh_u32_e32 v6, v1
	v_min_u32_e32 v8, 32, v6
	v_subrev_u32_e32 v6, 28, v8
	v_lshlrev_b64 v[6:7], v6, v[18:19]
	v_lshrrev_b32_e32 v4, 3, v3
	v_sub_u32_e32 v7, 29, v8
	v_and_b32_e32 v6, 7, v6
	v_cmp_gt_u32_e32 vcc, 8, v3
	v_cndmask_b32_e32 v3, v4, v7, vcc
	v_cndmask_b32_e32 v1, v1, v6, vcc
	v_lshlrev_b32_e32 v4, 16, v2
	v_lshlrev_b32_e32 v1, 20, v1
	v_and_b32_e32 v4, 0x80000000, v4
	v_lshl_add_u32 v3, v3, 23, v51
	v_or3_b32 v1, v4, v3, v1
.LBB4_3146:                             ;   in Loop: Header=BB4_2615 Depth=2
	s_or_b64 exec, exec, s[58:59]
.LBB4_3147:                             ;   in Loop: Header=BB4_2615 Depth=2
	s_or_b64 exec, exec, s[56:57]
.LBB4_3148:                             ;   in Loop: Header=BB4_2615 Depth=2
	s_or_b64 exec, exec, s[20:21]
	v_max_f32_e32 v1, v1, v1
	v_max_f32_e32 v0, v0, v0
	;; [unrolled: 1-line block ×3, first 2 shown]
	s_branch .LBB4_3163
.LBB4_3149:                             ;   in Loop: Header=BB4_2615 Depth=2
                                        ; implicit-def: $vgpr1
	s_cbranch_execz .LBB4_3163
; %bb.3150:                             ;   in Loop: Header=BB4_2615 Depth=2
	v_mov_b32_e32 v1, 0
	v_mov_b32_e32 v0, 0
	s_and_saveexec_b64 s[20:21], s[18:19]
	s_cbranch_execz .LBB4_3156
; %bb.3151:                             ;   in Loop: Header=BB4_2615 Depth=2
	v_cmp_ne_u16_e32 vcc, s69, v22
	v_bfrev_b32_e32 v0, 1
	s_and_saveexec_b64 s[18:19], vcc
	s_cbranch_execz .LBB4_3155
; %bb.3152:                             ;   in Loop: Header=BB4_2615 Depth=2
	v_and_b32_e32 v3, 0x7f, v22
	v_cmp_ne_u32_e32 vcc, s71, v3
	v_mov_b32_e32 v0, 0x7f800001
	s_and_saveexec_b64 s[56:57], vcc
	s_cbranch_execz .LBB4_3154
; %bb.3153:                             ;   in Loop: Header=BB4_2615 Depth=2
	v_and_b32_e32 v0, 7, v22
	v_ffbh_u32_e32 v6, v0
	v_min_u32_e32 v8, 32, v6
	v_subrev_u32_e32 v6, 28, v8
	v_lshlrev_b64 v[6:7], v6, v[22:23]
	v_lshrrev_b32_e32 v4, 3, v3
	v_sub_u32_e32 v7, 29, v8
	v_and_b32_e32 v6, 7, v6
	v_cmp_gt_u32_e32 vcc, 8, v3
	v_cndmask_b32_e32 v3, v4, v7, vcc
	v_cndmask_b32_e32 v0, v0, v6, vcc
	v_lshlrev_b32_e32 v4, 16, v52
	v_lshlrev_b32_e32 v0, 20, v0
	v_and_b32_e32 v4, 0x80000000, v4
	v_lshl_add_u32 v3, v3, 23, v51
	v_or3_b32 v0, v4, v3, v0
.LBB4_3154:                             ;   in Loop: Header=BB4_2615 Depth=2
	s_or_b64 exec, exec, s[56:57]
.LBB4_3155:                             ;   in Loop: Header=BB4_2615 Depth=2
	s_or_b64 exec, exec, s[18:19]
.LBB4_3156:                             ;   in Loop: Header=BB4_2615 Depth=2
	s_or_b64 exec, exec, s[20:21]
	v_cmp_ne_u16_e32 vcc, 0, v18
	s_and_saveexec_b64 s[18:19], vcc
	s_cbranch_execz .LBB4_3162
; %bb.3157:                             ;   in Loop: Header=BB4_2615 Depth=2
	v_cmp_ne_u16_e32 vcc, s69, v18
	v_bfrev_b32_e32 v1, 1
	s_and_saveexec_b64 s[20:21], vcc
	s_cbranch_execz .LBB4_3161
; %bb.3158:                             ;   in Loop: Header=BB4_2615 Depth=2
	v_and_b32_e32 v3, 0x7f, v18
	v_cmp_ne_u32_e32 vcc, s71, v3
	v_mov_b32_e32 v1, 0x7f800001
	s_and_saveexec_b64 s[56:57], vcc
	s_cbranch_execz .LBB4_3160
; %bb.3159:                             ;   in Loop: Header=BB4_2615 Depth=2
	v_and_b32_e32 v1, 7, v18
	v_ffbh_u32_e32 v6, v1
	v_min_u32_e32 v8, 32, v6
	v_subrev_u32_e32 v6, 28, v8
	v_lshlrev_b64 v[6:7], v6, v[18:19]
	v_lshrrev_b32_e32 v4, 3, v3
	v_sub_u32_e32 v7, 29, v8
	v_and_b32_e32 v6, 7, v6
	v_cmp_gt_u32_e32 vcc, 8, v3
	v_cndmask_b32_e32 v3, v4, v7, vcc
	v_cndmask_b32_e32 v1, v1, v6, vcc
	v_lshlrev_b32_e32 v2, 16, v2
	v_lshlrev_b32_e32 v1, 20, v1
	v_and_b32_e32 v2, 0x80000000, v2
	v_lshl_add_u32 v3, v3, 23, v51
	v_or3_b32 v1, v2, v3, v1
.LBB4_3160:                             ;   in Loop: Header=BB4_2615 Depth=2
	s_or_b64 exec, exec, s[56:57]
.LBB4_3161:                             ;   in Loop: Header=BB4_2615 Depth=2
	s_or_b64 exec, exec, s[20:21]
.LBB4_3162:                             ;   in Loop: Header=BB4_2615 Depth=2
	s_or_b64 exec, exec, s[18:19]
	v_max_f32_e32 v1, v1, v1
	v_max_f32_e32 v0, v0, v0
	v_min_f32_e32 v1, v0, v1
.LBB4_3163:                             ;   in Loop: Header=BB4_2615 Depth=2
	v_and_b32_sdwa v0, v1, s69 dst_sel:DWORD dst_unused:UNUSED_PAD src0_sel:BYTE_3 src1_sel:DWORD
	v_and_b32_e32 v2, 0x7f800000, v1
	v_mov_b32_e32 v3, v53
	v_and_b32_e32 v52, 0x7fffff, v1
	v_or_b32_e32 v22, 0x7e, v0
	v_cmp_ne_u64_e32 vcc, s[40:41], v[2:3]
	s_and_saveexec_b64 s[18:19], vcc
	s_xor_b64 s[20:21], exec, s[18:19]
	s_cbranch_execz .LBB4_3173
; %bb.3164:                             ;   in Loop: Header=BB4_2615 Depth=2
	v_and_b32_e32 v2, 0x7fffffff, v1
	v_mov_b32_e32 v3, v53
	v_cmp_gt_u64_e32 vcc, s[42:43], v[2:3]
	s_and_saveexec_b64 s[56:57], vcc
	s_cbranch_execz .LBB4_3172
; %bb.3165:                             ;   in Loop: Header=BB4_2615 Depth=2
	v_cmp_ne_u32_e32 vcc, 0, v1
	v_mov_b32_e32 v22, 0
	s_and_saveexec_b64 s[58:59], vcc
	s_cbranch_execz .LBB4_3171
; %bb.3166:                             ;   in Loop: Header=BB4_2615 Depth=2
	v_bfe_u32 v1, v1, 23, 8
	v_sub_u32_e32 v3, 0x79, v1
	v_cmp_gt_u32_e32 vcc, s73, v1
	v_add_u32_e32 v2, 0xffffff81, v1
	v_cndmask_b32_e32 v3, 0, v3, vcc
	v_cmp_eq_u32_e32 vcc, 0, v1
	v_mov_b32_e32 v1, 0xffffff82
	v_cndmask_b32_e32 v1, v2, v1, vcc
	v_mov_b32_e32 v2, 0x78
	v_or_b32_e32 v4, 0x800000, v52
	v_cndmask_b32_e32 v18, v3, v2, vcc
	v_cndmask_b32_e32 v52, v4, v52, vcc
	v_add_u32_e32 v2, 20, v18
	v_lshlrev_b64 v[2:3], v2, -1
	v_add_u32_e32 v4, 19, v18
	v_lshrrev_b64 v[8:9], v18, v[52:53]
	v_not_b32_e32 v3, v3
	v_not_b32_e32 v2, v2
	v_lshlrev_b64 v[6:7], v4, 1
	v_lshrrev_b32_e32 v4, 23, v8
	v_and_b32_e32 v3, 0, v3
	v_and_b32_e32 v2, v52, v2
	v_add3_u32 v19, v18, v1, v4
	v_bfe_u32 v1, v8, 20, 1
	v_add_u32_e32 v1, -1, v1
	v_cmp_eq_u64_e32 vcc, v[2:3], v[6:7]
	v_cndmask_b32_e32 v1, 0, v1, vcc
	v_add_u32_e32 v1, v1, v8
	v_and_b32_e32 v1, 0xfffff, v1
	v_add_co_u32_e32 v2, vcc, v1, v8
	v_add_u32_e32 v18, 6, v19
	v_addc_co_u32_e32 v3, vcc, 0, v9, vcc
	v_cmp_ne_u32_e32 vcc, 0, v18
                                        ; implicit-def: $vgpr1
	s_and_saveexec_b64 s[18:19], vcc
	s_xor_b64 s[18:19], exec, s[18:19]
; %bb.3167:                             ;   in Loop: Header=BB4_2615 Depth=2
	v_cmp_lt_u64_e32 vcc, s[46:47], v[2:3]
	v_add_u32_e32 v1, 7, v19
	v_cndmask_b32_e64 v4, 0, 1, vcc
	v_cndmask_b32_e32 v1, v18, v1, vcc
	v_lshrrev_b64 v[2:3], v4, v[2:3]
; %bb.3168:                             ;   in Loop: Header=BB4_2615 Depth=2
	s_andn2_saveexec_b64 s[18:19], s[18:19]
; %bb.3169:                             ;   in Loop: Header=BB4_2615 Depth=2
	v_bfe_u32 v1, v2, 23, 1
; %bb.3170:                             ;   in Loop: Header=BB4_2615 Depth=2
	s_or_b64 exec, exec, s[18:19]
	v_lshrrev_b64 v[2:3], 20, v[2:3]
	v_cmp_gt_i32_e32 vcc, 16, v1
	v_cndmask_b32_e32 v3, 0, v3, vcc
	v_cndmask_b32_e32 v2, 7, v2, vcc
	v_cmp_eq_u32_e32 vcc, 0, v1
	v_min_i32_e32 v1, 15, v1
	v_cmp_eq_u64_e64 s[18:19], 0, v[2:3]
	v_lshlrev_b32_e32 v1, 3, v1
	v_and_or_b32 v1, v2, 7, v1
	s_and_b64 s[18:19], vcc, s[18:19]
	v_cndmask_b32_e64 v1, v1, 0, s[18:19]
	v_or_b32_e32 v22, v1, v0
.LBB4_3171:                             ;   in Loop: Header=BB4_2615 Depth=2
	s_or_b64 exec, exec, s[58:59]
.LBB4_3172:                             ;   in Loop: Header=BB4_2615 Depth=2
	s_or_b64 exec, exec, s[56:57]
                                        ; implicit-def: $vgpr1
.LBB4_3173:                             ;   in Loop: Header=BB4_2615 Depth=2
	s_andn2_saveexec_b64 s[18:19], s[20:21]
; %bb.3174:                             ;   in Loop: Header=BB4_2615 Depth=2
	v_or_b32_sdwa v0, v1, s71 dst_sel:DWORD dst_unused:UNUSED_PAD src0_sel:BYTE_3 src1_sel:DWORD
	v_cmp_eq_u64_e32 vcc, 0, v[52:53]
	v_cndmask_b32_e32 v22, v0, v22, vcc
; %bb.3175:                             ;   in Loop: Header=BB4_2615 Depth=2
	s_or_b64 exec, exec, s[18:19]
	v_lshrrev_b32_e32 v18, 16, v25
	v_lshrrev_b32_e32 v2, 16, v21
	v_cmp_ne_u16_sdwa s[18:19], v18, v53 src0_sel:BYTE_0 src1_sel:DWORD
	s_and_b64 vcc, exec, s[54:55]
	s_cbranch_vccz .LBB4_3189
; %bb.3176:                             ;   in Loop: Header=BB4_2615 Depth=2
	v_mov_b32_e32 v1, 0
	v_mov_b32_e32 v0, 0
	s_and_saveexec_b64 s[20:21], s[18:19]
	s_cbranch_execz .LBB4_3182
; %bb.3177:                             ;   in Loop: Header=BB4_2615 Depth=2
	v_cmp_ne_u16_sdwa vcc, v18, s69 src0_sel:BYTE_0 src1_sel:DWORD
	v_bfrev_b32_e32 v0, 1
	s_and_saveexec_b64 s[56:57], vcc
	s_cbranch_execz .LBB4_3181
; %bb.3178:                             ;   in Loop: Header=BB4_2615 Depth=2
	v_bfe_u32 v3, v25, 16, 7
	v_cmp_ne_u32_e32 vcc, s71, v3
	v_mov_b32_e32 v0, 0x7f800001
	s_and_saveexec_b64 s[58:59], vcc
	s_cbranch_execz .LBB4_3180
; %bb.3179:                             ;   in Loop: Header=BB4_2615 Depth=2
	v_and_b32_e32 v0, 7, v18
	v_ffbh_u32_e32 v6, v0
	v_min_u32_e32 v8, 32, v6
	v_subrev_u32_e32 v6, 28, v8
	v_lshlrev_b64 v[6:7], v6, v[18:19]
	v_lshrrev_b32_e32 v4, 3, v3
	v_sub_u32_e32 v7, 29, v8
	v_and_b32_e32 v6, 7, v6
	v_cmp_gt_u32_e32 vcc, 8, v3
	v_cndmask_b32_e32 v3, v4, v7, vcc
	v_cndmask_b32_e32 v0, v0, v6, vcc
	v_lshlrev_b32_e32 v4, 24, v18
	v_lshlrev_b32_e32 v0, 20, v0
	v_and_b32_e32 v4, 0x80000000, v4
	v_lshl_add_u32 v3, v3, 23, v51
	v_or3_b32 v0, v4, v3, v0
.LBB4_3180:                             ;   in Loop: Header=BB4_2615 Depth=2
	s_or_b64 exec, exec, s[58:59]
.LBB4_3181:                             ;   in Loop: Header=BB4_2615 Depth=2
	s_or_b64 exec, exec, s[56:57]
.LBB4_3182:                             ;   in Loop: Header=BB4_2615 Depth=2
	s_or_b64 exec, exec, s[20:21]
	v_cmp_ne_u16_sdwa vcc, v2, v53 src0_sel:BYTE_0 src1_sel:DWORD
	s_and_saveexec_b64 s[20:21], vcc
	s_cbranch_execz .LBB4_3188
; %bb.3183:                             ;   in Loop: Header=BB4_2615 Depth=2
	v_cmp_ne_u16_sdwa vcc, v2, s69 src0_sel:BYTE_0 src1_sel:DWORD
	v_bfrev_b32_e32 v1, 1
	s_and_saveexec_b64 s[56:57], vcc
	s_cbranch_execz .LBB4_3187
; %bb.3184:                             ;   in Loop: Header=BB4_2615 Depth=2
	v_bfe_u32 v3, v21, 16, 7
	v_cmp_ne_u32_e32 vcc, s71, v3
	v_mov_b32_e32 v1, 0x7f800001
	s_and_saveexec_b64 s[58:59], vcc
	s_cbranch_execz .LBB4_3186
; %bb.3185:                             ;   in Loop: Header=BB4_2615 Depth=2
	v_and_b32_e32 v1, 7, v2
	v_ffbh_u32_e32 v6, v1
	v_min_u32_e32 v8, 32, v6
	v_subrev_u32_e32 v6, 28, v8
	v_lshlrev_b64 v[6:7], v6, v[2:3]
	v_lshrrev_b32_e32 v4, 3, v3
	v_sub_u32_e32 v7, 29, v8
	v_and_b32_e32 v6, 7, v6
	v_cmp_gt_u32_e32 vcc, 8, v3
	v_cndmask_b32_e32 v3, v4, v7, vcc
	v_cndmask_b32_e32 v1, v1, v6, vcc
	v_lshlrev_b32_e32 v4, 24, v2
	v_lshlrev_b32_e32 v1, 20, v1
	v_and_b32_e32 v4, 0x80000000, v4
	v_lshl_add_u32 v3, v3, 23, v51
	v_or3_b32 v1, v4, v3, v1
.LBB4_3186:                             ;   in Loop: Header=BB4_2615 Depth=2
	s_or_b64 exec, exec, s[58:59]
.LBB4_3187:                             ;   in Loop: Header=BB4_2615 Depth=2
	s_or_b64 exec, exec, s[56:57]
.LBB4_3188:                             ;   in Loop: Header=BB4_2615 Depth=2
	s_or_b64 exec, exec, s[20:21]
	v_max_f32_e32 v1, v1, v1
	v_max_f32_e32 v0, v0, v0
	;; [unrolled: 1-line block ×3, first 2 shown]
	s_branch .LBB4_3203
.LBB4_3189:                             ;   in Loop: Header=BB4_2615 Depth=2
                                        ; implicit-def: $vgpr1
	s_cbranch_execz .LBB4_3203
; %bb.3190:                             ;   in Loop: Header=BB4_2615 Depth=2
	v_mov_b32_e32 v1, 0
	v_mov_b32_e32 v0, 0
	s_and_saveexec_b64 s[20:21], s[18:19]
	s_cbranch_execz .LBB4_3196
; %bb.3191:                             ;   in Loop: Header=BB4_2615 Depth=2
	v_cmp_ne_u16_sdwa vcc, v18, s69 src0_sel:BYTE_0 src1_sel:DWORD
	v_bfrev_b32_e32 v0, 1
	s_and_saveexec_b64 s[18:19], vcc
	s_cbranch_execz .LBB4_3195
; %bb.3192:                             ;   in Loop: Header=BB4_2615 Depth=2
	v_bfe_u32 v3, v25, 16, 7
	v_cmp_ne_u32_e32 vcc, s71, v3
	v_mov_b32_e32 v0, 0x7f800001
	s_and_saveexec_b64 s[56:57], vcc
	s_cbranch_execz .LBB4_3194
; %bb.3193:                             ;   in Loop: Header=BB4_2615 Depth=2
	v_and_b32_e32 v0, 7, v18
	v_ffbh_u32_e32 v6, v0
	v_min_u32_e32 v8, 32, v6
	v_subrev_u32_e32 v6, 28, v8
	v_lshlrev_b64 v[6:7], v6, v[18:19]
	v_lshrrev_b32_e32 v4, 3, v3
	v_sub_u32_e32 v7, 29, v8
	v_and_b32_e32 v6, 7, v6
	v_cmp_gt_u32_e32 vcc, 8, v3
	v_cndmask_b32_e32 v3, v4, v7, vcc
	v_cndmask_b32_e32 v0, v0, v6, vcc
	v_lshlrev_b32_e32 v4, 24, v18
	v_lshlrev_b32_e32 v0, 20, v0
	v_and_b32_e32 v4, 0x80000000, v4
	v_lshl_add_u32 v3, v3, 23, v51
	v_or3_b32 v0, v4, v3, v0
.LBB4_3194:                             ;   in Loop: Header=BB4_2615 Depth=2
	s_or_b64 exec, exec, s[56:57]
.LBB4_3195:                             ;   in Loop: Header=BB4_2615 Depth=2
	s_or_b64 exec, exec, s[18:19]
.LBB4_3196:                             ;   in Loop: Header=BB4_2615 Depth=2
	s_or_b64 exec, exec, s[20:21]
	v_cmp_ne_u16_sdwa s[20:21], v2, v53 src0_sel:BYTE_0 src1_sel:DWORD
	s_and_saveexec_b64 s[18:19], s[20:21]
	s_cbranch_execz .LBB4_3202
; %bb.3197:                             ;   in Loop: Header=BB4_2615 Depth=2
	v_cmp_ne_u16_sdwa vcc, v2, s69 src0_sel:BYTE_0 src1_sel:DWORD
	v_bfrev_b32_e32 v1, 1
	s_and_saveexec_b64 s[20:21], vcc
	s_cbranch_execz .LBB4_3201
; %bb.3198:                             ;   in Loop: Header=BB4_2615 Depth=2
	v_bfe_u32 v3, v21, 16, 7
	v_cmp_ne_u32_e32 vcc, s71, v3
	v_mov_b32_e32 v1, 0x7f800001
	s_and_saveexec_b64 s[56:57], vcc
	s_cbranch_execz .LBB4_3200
; %bb.3199:                             ;   in Loop: Header=BB4_2615 Depth=2
	v_and_b32_e32 v1, 7, v2
	v_ffbh_u32_e32 v6, v1
	v_min_u32_e32 v8, 32, v6
	v_subrev_u32_e32 v6, 28, v8
	v_lshlrev_b64 v[6:7], v6, v[2:3]
	v_lshrrev_b32_e32 v4, 3, v3
	v_sub_u32_e32 v7, 29, v8
	v_and_b32_e32 v6, 7, v6
	v_cmp_gt_u32_e32 vcc, 8, v3
	v_cndmask_b32_e32 v3, v4, v7, vcc
	v_cndmask_b32_e32 v1, v1, v6, vcc
	v_lshlrev_b32_e32 v2, 24, v2
	v_lshlrev_b32_e32 v1, 20, v1
	v_and_b32_e32 v2, 0x80000000, v2
	v_lshl_add_u32 v3, v3, 23, v51
	v_or3_b32 v1, v2, v3, v1
.LBB4_3200:                             ;   in Loop: Header=BB4_2615 Depth=2
	s_or_b64 exec, exec, s[56:57]
.LBB4_3201:                             ;   in Loop: Header=BB4_2615 Depth=2
	s_or_b64 exec, exec, s[20:21]
.LBB4_3202:                             ;   in Loop: Header=BB4_2615 Depth=2
	s_or_b64 exec, exec, s[18:19]
	v_max_f32_e32 v1, v1, v1
	v_max_f32_e32 v0, v0, v0
	v_min_f32_e32 v1, v0, v1
.LBB4_3203:                             ;   in Loop: Header=BB4_2615 Depth=2
	v_and_b32_sdwa v0, v1, s69 dst_sel:DWORD dst_unused:UNUSED_PAD src0_sel:BYTE_3 src1_sel:DWORD
	v_and_b32_e32 v2, 0x7f800000, v1
	v_mov_b32_e32 v3, v53
	v_and_b32_e32 v52, 0x7fffff, v1
	v_or_b32_e32 v26, 0x7e, v0
	v_cmp_ne_u64_e32 vcc, s[40:41], v[2:3]
	s_and_saveexec_b64 s[18:19], vcc
	s_xor_b64 s[20:21], exec, s[18:19]
	s_cbranch_execz .LBB4_3213
; %bb.3204:                             ;   in Loop: Header=BB4_2615 Depth=2
	v_and_b32_e32 v2, 0x7fffffff, v1
	v_mov_b32_e32 v3, v53
	v_cmp_gt_u64_e32 vcc, s[42:43], v[2:3]
	s_and_saveexec_b64 s[56:57], vcc
	s_cbranch_execz .LBB4_3212
; %bb.3205:                             ;   in Loop: Header=BB4_2615 Depth=2
	v_cmp_ne_u32_e32 vcc, 0, v1
	v_mov_b32_e32 v26, 0
	s_and_saveexec_b64 s[58:59], vcc
	s_cbranch_execz .LBB4_3211
; %bb.3206:                             ;   in Loop: Header=BB4_2615 Depth=2
	v_bfe_u32 v1, v1, 23, 8
	v_sub_u32_e32 v3, 0x79, v1
	v_cmp_gt_u32_e32 vcc, s73, v1
	v_add_u32_e32 v2, 0xffffff81, v1
	v_cndmask_b32_e32 v3, 0, v3, vcc
	v_cmp_eq_u32_e32 vcc, 0, v1
	v_mov_b32_e32 v1, 0xffffff82
	v_cndmask_b32_e32 v1, v2, v1, vcc
	v_mov_b32_e32 v2, 0x78
	v_or_b32_e32 v4, 0x800000, v52
	v_cndmask_b32_e32 v18, v3, v2, vcc
	v_cndmask_b32_e32 v52, v4, v52, vcc
	v_add_u32_e32 v2, 20, v18
	v_lshlrev_b64 v[2:3], v2, -1
	v_add_u32_e32 v4, 19, v18
	v_lshrrev_b64 v[8:9], v18, v[52:53]
	v_not_b32_e32 v3, v3
	v_not_b32_e32 v2, v2
	v_lshlrev_b64 v[6:7], v4, 1
	v_lshrrev_b32_e32 v4, 23, v8
	v_and_b32_e32 v3, 0, v3
	v_and_b32_e32 v2, v52, v2
	v_add3_u32 v19, v18, v1, v4
	v_bfe_u32 v1, v8, 20, 1
	v_add_u32_e32 v1, -1, v1
	v_cmp_eq_u64_e32 vcc, v[2:3], v[6:7]
	v_cndmask_b32_e32 v1, 0, v1, vcc
	v_add_u32_e32 v1, v1, v8
	v_and_b32_e32 v1, 0xfffff, v1
	v_add_co_u32_e32 v2, vcc, v1, v8
	v_add_u32_e32 v18, 6, v19
	v_addc_co_u32_e32 v3, vcc, 0, v9, vcc
	v_cmp_ne_u32_e32 vcc, 0, v18
                                        ; implicit-def: $vgpr1
	s_and_saveexec_b64 s[18:19], vcc
	s_xor_b64 s[18:19], exec, s[18:19]
; %bb.3207:                             ;   in Loop: Header=BB4_2615 Depth=2
	v_cmp_lt_u64_e32 vcc, s[46:47], v[2:3]
	v_add_u32_e32 v1, 7, v19
	v_cndmask_b32_e64 v4, 0, 1, vcc
	v_cndmask_b32_e32 v1, v18, v1, vcc
	v_lshrrev_b64 v[2:3], v4, v[2:3]
; %bb.3208:                             ;   in Loop: Header=BB4_2615 Depth=2
	s_andn2_saveexec_b64 s[18:19], s[18:19]
; %bb.3209:                             ;   in Loop: Header=BB4_2615 Depth=2
	v_bfe_u32 v1, v2, 23, 1
; %bb.3210:                             ;   in Loop: Header=BB4_2615 Depth=2
	s_or_b64 exec, exec, s[18:19]
	v_lshrrev_b64 v[2:3], 20, v[2:3]
	v_cmp_gt_i32_e32 vcc, 16, v1
	v_cndmask_b32_e32 v3, 0, v3, vcc
	v_cndmask_b32_e32 v2, 7, v2, vcc
	v_cmp_eq_u32_e32 vcc, 0, v1
	v_min_i32_e32 v1, 15, v1
	v_lshlrev_b32_e32 v1, 3, v1
	v_cmp_eq_u64_e64 s[18:19], 0, v[2:3]
	v_and_b32_e32 v1, 0xf8, v1
	v_and_or_b32 v1, v2, 7, v1
	s_and_b64 s[18:19], vcc, s[18:19]
	v_cndmask_b32_e64 v1, v1, 0, s[18:19]
	v_or_b32_e32 v26, v1, v0
.LBB4_3211:                             ;   in Loop: Header=BB4_2615 Depth=2
	s_or_b64 exec, exec, s[58:59]
.LBB4_3212:                             ;   in Loop: Header=BB4_2615 Depth=2
	s_or_b64 exec, exec, s[56:57]
                                        ; implicit-def: $vgpr1
.LBB4_3213:                             ;   in Loop: Header=BB4_2615 Depth=2
	s_andn2_saveexec_b64 s[18:19], s[20:21]
; %bb.3214:                             ;   in Loop: Header=BB4_2615 Depth=2
	v_or_b32_sdwa v0, v1, s71 dst_sel:DWORD dst_unused:UNUSED_PAD src0_sel:BYTE_3 src1_sel:DWORD
	v_cmp_eq_u64_e32 vcc, 0, v[52:53]
	v_cndmask_b32_e32 v26, v0, v26, vcc
; %bb.3215:                             ;   in Loop: Header=BB4_2615 Depth=2
	s_or_b64 exec, exec, s[18:19]
	v_lshrrev_b32_e32 v18, 24, v25
	v_lshrrev_b32_e32 v2, 24, v21
	v_cmp_lt_u64_e64 s[18:19], s[44:45], v[24:25]
	s_and_b64 vcc, exec, s[54:55]
	s_cbranch_vccz .LBB4_3229
; %bb.3216:                             ;   in Loop: Header=BB4_2615 Depth=2
	v_mov_b32_e32 v1, 0
	v_mov_b32_e32 v0, 0
	s_and_saveexec_b64 s[20:21], s[18:19]
	s_cbranch_execz .LBB4_3222
; %bb.3217:                             ;   in Loop: Header=BB4_2615 Depth=2
	v_cmp_ne_u32_e32 vcc, s69, v18
	v_bfrev_b32_e32 v0, 1
	s_and_saveexec_b64 s[56:57], vcc
	s_cbranch_execz .LBB4_3221
; %bb.3218:                             ;   in Loop: Header=BB4_2615 Depth=2
	v_bfe_u32 v3, v25, 24, 7
	v_cmp_ne_u32_e32 vcc, s71, v3
	v_mov_b32_e32 v0, 0x7f800001
	s_and_saveexec_b64 s[58:59], vcc
	s_cbranch_execz .LBB4_3220
; %bb.3219:                             ;   in Loop: Header=BB4_2615 Depth=2
	v_and_b32_e32 v0, 7, v18
	v_ffbh_u32_e32 v6, v0
	v_min_u32_e32 v8, 32, v6
	v_subrev_u32_e32 v6, 28, v8
	v_lshlrev_b64 v[6:7], v6, v[18:19]
	v_lshrrev_b32_e32 v4, 3, v3
	v_sub_u32_e32 v7, 29, v8
	v_and_b32_e32 v6, 7, v6
	v_cmp_gt_u32_e32 vcc, 8, v3
	v_cndmask_b32_e32 v3, v4, v7, vcc
	v_cndmask_b32_e32 v0, v0, v6, vcc
	v_lshlrev_b32_e32 v4, 24, v18
	v_lshlrev_b32_e32 v0, 20, v0
	v_and_b32_e32 v4, 0x80000000, v4
	v_lshl_add_u32 v3, v3, 23, v51
	v_or3_b32 v0, v4, v3, v0
.LBB4_3220:                             ;   in Loop: Header=BB4_2615 Depth=2
	s_or_b64 exec, exec, s[58:59]
.LBB4_3221:                             ;   in Loop: Header=BB4_2615 Depth=2
	s_or_b64 exec, exec, s[56:57]
.LBB4_3222:                             ;   in Loop: Header=BB4_2615 Depth=2
	s_or_b64 exec, exec, s[20:21]
	v_cmp_lt_u64_e32 vcc, s[44:45], v[20:21]
	s_and_saveexec_b64 s[20:21], vcc
	s_cbranch_execz .LBB4_3228
; %bb.3223:                             ;   in Loop: Header=BB4_2615 Depth=2
	v_cmp_ne_u32_e32 vcc, s69, v2
	v_bfrev_b32_e32 v1, 1
	s_and_saveexec_b64 s[56:57], vcc
	s_cbranch_execz .LBB4_3227
; %bb.3224:                             ;   in Loop: Header=BB4_2615 Depth=2
	v_bfe_u32 v3, v21, 24, 7
	v_cmp_ne_u32_e32 vcc, s71, v3
	v_mov_b32_e32 v1, 0x7f800001
	s_and_saveexec_b64 s[58:59], vcc
	s_cbranch_execz .LBB4_3226
; %bb.3225:                             ;   in Loop: Header=BB4_2615 Depth=2
	v_and_b32_e32 v1, 7, v2
	v_ffbh_u32_e32 v6, v1
	v_min_u32_e32 v8, 32, v6
	v_subrev_u32_e32 v6, 28, v8
	v_lshlrev_b64 v[6:7], v6, v[2:3]
	v_lshrrev_b32_e32 v4, 3, v3
	v_sub_u32_e32 v7, 29, v8
	v_and_b32_e32 v6, 7, v6
	v_cmp_gt_u32_e32 vcc, 8, v3
	v_cndmask_b32_e32 v3, v4, v7, vcc
	v_cndmask_b32_e32 v1, v1, v6, vcc
	v_lshlrev_b32_e32 v4, 24, v2
	v_lshlrev_b32_e32 v1, 20, v1
	v_and_b32_e32 v4, 0x80000000, v4
	v_lshl_add_u32 v3, v3, 23, v51
	v_or3_b32 v1, v4, v3, v1
.LBB4_3226:                             ;   in Loop: Header=BB4_2615 Depth=2
	s_or_b64 exec, exec, s[58:59]
.LBB4_3227:                             ;   in Loop: Header=BB4_2615 Depth=2
	s_or_b64 exec, exec, s[56:57]
.LBB4_3228:                             ;   in Loop: Header=BB4_2615 Depth=2
	s_or_b64 exec, exec, s[20:21]
	v_max_f32_e32 v1, v1, v1
	v_max_f32_e32 v0, v0, v0
	;; [unrolled: 1-line block ×3, first 2 shown]
	s_branch .LBB4_3243
.LBB4_3229:                             ;   in Loop: Header=BB4_2615 Depth=2
                                        ; implicit-def: $vgpr1
	s_cbranch_execz .LBB4_3243
; %bb.3230:                             ;   in Loop: Header=BB4_2615 Depth=2
	v_mov_b32_e32 v1, 0
	v_mov_b32_e32 v0, 0
	s_and_saveexec_b64 s[20:21], s[18:19]
	s_cbranch_execz .LBB4_3236
; %bb.3231:                             ;   in Loop: Header=BB4_2615 Depth=2
	v_cmp_ne_u32_e32 vcc, s69, v18
	v_bfrev_b32_e32 v0, 1
	s_and_saveexec_b64 s[18:19], vcc
	s_cbranch_execz .LBB4_3235
; %bb.3232:                             ;   in Loop: Header=BB4_2615 Depth=2
	v_bfe_u32 v3, v25, 24, 7
	v_cmp_ne_u32_e32 vcc, s71, v3
	v_mov_b32_e32 v0, 0x7f800001
	s_and_saveexec_b64 s[56:57], vcc
	s_cbranch_execz .LBB4_3234
; %bb.3233:                             ;   in Loop: Header=BB4_2615 Depth=2
	v_and_b32_e32 v0, 7, v18
	v_ffbh_u32_e32 v6, v0
	v_min_u32_e32 v8, 32, v6
	v_subrev_u32_e32 v6, 28, v8
	v_lshlrev_b64 v[6:7], v6, v[18:19]
	v_lshrrev_b32_e32 v4, 3, v3
	v_sub_u32_e32 v7, 29, v8
	v_and_b32_e32 v6, 7, v6
	v_cmp_gt_u32_e32 vcc, 8, v3
	v_cndmask_b32_e32 v3, v4, v7, vcc
	v_cndmask_b32_e32 v0, v0, v6, vcc
	v_lshlrev_b32_e32 v4, 24, v18
	v_lshlrev_b32_e32 v0, 20, v0
	v_and_b32_e32 v4, 0x80000000, v4
	v_lshl_add_u32 v3, v3, 23, v51
	v_or3_b32 v0, v4, v3, v0
.LBB4_3234:                             ;   in Loop: Header=BB4_2615 Depth=2
	s_or_b64 exec, exec, s[56:57]
.LBB4_3235:                             ;   in Loop: Header=BB4_2615 Depth=2
	s_or_b64 exec, exec, s[18:19]
.LBB4_3236:                             ;   in Loop: Header=BB4_2615 Depth=2
	s_or_b64 exec, exec, s[20:21]
	v_cmp_lt_u64_e32 vcc, s[44:45], v[20:21]
	s_and_saveexec_b64 s[18:19], vcc
	s_cbranch_execz .LBB4_3242
; %bb.3237:                             ;   in Loop: Header=BB4_2615 Depth=2
	v_cmp_ne_u32_e32 vcc, s69, v2
	v_bfrev_b32_e32 v1, 1
	s_and_saveexec_b64 s[20:21], vcc
	s_cbranch_execz .LBB4_3241
; %bb.3238:                             ;   in Loop: Header=BB4_2615 Depth=2
	v_bfe_u32 v3, v21, 24, 7
	v_cmp_ne_u32_e32 vcc, s71, v3
	v_mov_b32_e32 v1, 0x7f800001
	s_and_saveexec_b64 s[56:57], vcc
	s_cbranch_execz .LBB4_3240
; %bb.3239:                             ;   in Loop: Header=BB4_2615 Depth=2
	v_and_b32_e32 v1, 7, v2
	v_ffbh_u32_e32 v6, v1
	v_min_u32_e32 v8, 32, v6
	v_subrev_u32_e32 v6, 28, v8
	v_lshlrev_b64 v[6:7], v6, v[2:3]
	v_lshrrev_b32_e32 v4, 3, v3
	v_sub_u32_e32 v7, 29, v8
	v_and_b32_e32 v6, 7, v6
	v_cmp_gt_u32_e32 vcc, 8, v3
	v_cndmask_b32_e32 v3, v4, v7, vcc
	v_cndmask_b32_e32 v1, v1, v6, vcc
	v_lshlrev_b32_e32 v2, 24, v2
	v_lshlrev_b32_e32 v1, 20, v1
	v_and_b32_e32 v2, 0x80000000, v2
	v_lshl_add_u32 v3, v3, 23, v51
	v_or3_b32 v1, v2, v3, v1
.LBB4_3240:                             ;   in Loop: Header=BB4_2615 Depth=2
	s_or_b64 exec, exec, s[56:57]
.LBB4_3241:                             ;   in Loop: Header=BB4_2615 Depth=2
	s_or_b64 exec, exec, s[20:21]
.LBB4_3242:                             ;   in Loop: Header=BB4_2615 Depth=2
	s_or_b64 exec, exec, s[18:19]
	v_max_f32_e32 v1, v1, v1
	v_max_f32_e32 v0, v0, v0
	v_min_f32_e32 v1, v0, v1
.LBB4_3243:                             ;   in Loop: Header=BB4_2615 Depth=2
	v_and_b32_sdwa v0, v1, s69 dst_sel:DWORD dst_unused:UNUSED_PAD src0_sel:BYTE_3 src1_sel:DWORD
	v_and_b32_e32 v2, 0x7f800000, v1
	v_mov_b32_e32 v3, v53
	v_and_b32_e32 v52, 0x7fffff, v1
	v_or_b32_e32 v21, 0x7e, v0
	v_cmp_ne_u64_e32 vcc, s[40:41], v[2:3]
	s_and_saveexec_b64 s[18:19], vcc
	s_xor_b64 s[20:21], exec, s[18:19]
	s_cbranch_execz .LBB4_3253
; %bb.3244:                             ;   in Loop: Header=BB4_2615 Depth=2
	v_and_b32_e32 v2, 0x7fffffff, v1
	v_mov_b32_e32 v3, v53
	v_cmp_gt_u64_e32 vcc, s[42:43], v[2:3]
	s_and_saveexec_b64 s[56:57], vcc
	s_cbranch_execz .LBB4_3252
; %bb.3245:                             ;   in Loop: Header=BB4_2615 Depth=2
	v_cmp_ne_u32_e32 vcc, 0, v1
	v_mov_b32_e32 v21, 0
	s_and_saveexec_b64 s[58:59], vcc
	s_cbranch_execz .LBB4_3251
; %bb.3246:                             ;   in Loop: Header=BB4_2615 Depth=2
	v_bfe_u32 v1, v1, 23, 8
	v_sub_u32_e32 v3, 0x79, v1
	v_cmp_gt_u32_e32 vcc, s73, v1
	v_add_u32_e32 v2, 0xffffff81, v1
	v_cndmask_b32_e32 v3, 0, v3, vcc
	v_cmp_eq_u32_e32 vcc, 0, v1
	v_mov_b32_e32 v1, 0xffffff82
	v_cndmask_b32_e32 v1, v2, v1, vcc
	v_mov_b32_e32 v2, 0x78
	v_or_b32_e32 v4, 0x800000, v52
	v_cndmask_b32_e32 v18, v3, v2, vcc
	v_cndmask_b32_e32 v52, v4, v52, vcc
	v_add_u32_e32 v2, 20, v18
	v_lshlrev_b64 v[2:3], v2, -1
	v_add_u32_e32 v4, 19, v18
	v_lshrrev_b64 v[8:9], v18, v[52:53]
	v_not_b32_e32 v3, v3
	v_not_b32_e32 v2, v2
	v_lshlrev_b64 v[6:7], v4, 1
	v_lshrrev_b32_e32 v4, 23, v8
	v_and_b32_e32 v3, 0, v3
	v_and_b32_e32 v2, v52, v2
	v_add3_u32 v19, v18, v1, v4
	v_bfe_u32 v1, v8, 20, 1
	v_add_u32_e32 v1, -1, v1
	v_cmp_eq_u64_e32 vcc, v[2:3], v[6:7]
	v_cndmask_b32_e32 v1, 0, v1, vcc
	v_add_u32_e32 v1, v1, v8
	v_and_b32_e32 v1, 0xfffff, v1
	v_add_co_u32_e32 v2, vcc, v1, v8
	v_add_u32_e32 v18, 6, v19
	v_addc_co_u32_e32 v3, vcc, 0, v9, vcc
	v_cmp_ne_u32_e32 vcc, 0, v18
                                        ; implicit-def: $vgpr1
	s_and_saveexec_b64 s[18:19], vcc
	s_xor_b64 s[18:19], exec, s[18:19]
; %bb.3247:                             ;   in Loop: Header=BB4_2615 Depth=2
	v_cmp_lt_u64_e32 vcc, s[46:47], v[2:3]
	v_add_u32_e32 v1, 7, v19
	v_cndmask_b32_e64 v4, 0, 1, vcc
	v_cndmask_b32_e32 v1, v18, v1, vcc
	v_lshrrev_b64 v[2:3], v4, v[2:3]
; %bb.3248:                             ;   in Loop: Header=BB4_2615 Depth=2
	s_andn2_saveexec_b64 s[18:19], s[18:19]
; %bb.3249:                             ;   in Loop: Header=BB4_2615 Depth=2
	v_bfe_u32 v1, v2, 23, 1
; %bb.3250:                             ;   in Loop: Header=BB4_2615 Depth=2
	s_or_b64 exec, exec, s[18:19]
	v_lshrrev_b64 v[2:3], 20, v[2:3]
	v_cmp_gt_i32_e32 vcc, 16, v1
	v_cndmask_b32_e32 v3, 0, v3, vcc
	v_cndmask_b32_e32 v2, 7, v2, vcc
	v_cmp_eq_u32_e32 vcc, 0, v1
	v_min_i32_e32 v1, 15, v1
	v_lshlrev_b32_e32 v1, 3, v1
	v_cmp_eq_u64_e64 s[18:19], 0, v[2:3]
	v_and_b32_e32 v1, 0xf8, v1
	v_and_or_b32 v1, v2, 7, v1
	s_and_b64 s[18:19], vcc, s[18:19]
	v_cndmask_b32_e64 v1, v1, 0, s[18:19]
	v_or_b32_e32 v21, v1, v0
.LBB4_3251:                             ;   in Loop: Header=BB4_2615 Depth=2
	s_or_b64 exec, exec, s[58:59]
.LBB4_3252:                             ;   in Loop: Header=BB4_2615 Depth=2
	s_or_b64 exec, exec, s[56:57]
                                        ; implicit-def: $vgpr1
.LBB4_3253:                             ;   in Loop: Header=BB4_2615 Depth=2
	s_andn2_saveexec_b64 s[18:19], s[20:21]
; %bb.3254:                             ;   in Loop: Header=BB4_2615 Depth=2
	v_or_b32_sdwa v0, v1, s71 dst_sel:DWORD dst_unused:UNUSED_PAD src0_sel:BYTE_3 src1_sel:DWORD
	v_cmp_eq_u64_e32 vcc, 0, v[52:53]
	v_cndmask_b32_e32 v21, v0, v21, vcc
; %bb.3255:                             ;   in Loop: Header=BB4_2615 Depth=2
	s_or_b64 exec, exec, s[18:19]
	v_cndmask_b32_e64 v0, 0, 1, s[54:55]
	v_cmp_ne_u32_e64 s[18:19], 1, v0
	s_andn2_b64 vcc, exec, s[54:55]
	v_cmp_ne_u16_sdwa s[20:21], v14, v53 src0_sel:BYTE_0 src1_sel:DWORD
	s_cbranch_vccnz .LBB4_3269
; %bb.3256:                             ;   in Loop: Header=BB4_2615 Depth=2
	v_mov_b32_e32 v1, 0
	v_mov_b32_e32 v0, 0
	s_and_saveexec_b64 s[56:57], s[20:21]
	s_cbranch_execz .LBB4_3262
; %bb.3257:                             ;   in Loop: Header=BB4_2615 Depth=2
	v_cmp_ne_u16_sdwa vcc, v14, s69 src0_sel:BYTE_0 src1_sel:DWORD
	v_bfrev_b32_e32 v0, 1
	s_and_saveexec_b64 s[58:59], vcc
	s_cbranch_execz .LBB4_3261
; %bb.3258:                             ;   in Loop: Header=BB4_2615 Depth=2
	v_and_b32_e32 v2, 0x7f, v14
	v_cmp_ne_u32_e32 vcc, s71, v2
	v_mov_b32_e32 v0, 0x7f800001
	s_and_saveexec_b64 s[60:61], vcc
	s_cbranch_execz .LBB4_3260
; %bb.3259:                             ;   in Loop: Header=BB4_2615 Depth=2
	v_and_b32_e32 v0, 7, v14
	v_ffbh_u32_e32 v0, v0
	v_min_u32_e32 v0, 32, v0
	v_subrev_u32_e32 v4, 28, v0
	v_cmp_gt_u32_e32 vcc, 8, v2
	v_lshrrev_b32_e32 v3, 3, v2
	v_sub_u32_e32 v0, 29, v0
	v_cndmask_b32_e32 v2, 0, v4, vcc
	v_cndmask_b32_e32 v0, v3, v0, vcc
	v_lshlrev_b64 v[2:3], v2, v[14:15]
	v_lshlrev_b32_e32 v2, 20, v2
	v_lshlrev_b32_e32 v3, 24, v14
	v_and_b32_e32 v2, 0x700000, v2
	v_and_b32_e32 v3, 0x80000000, v3
	v_lshl_add_u32 v0, v0, 23, v51
	v_or3_b32 v0, v3, v0, v2
.LBB4_3260:                             ;   in Loop: Header=BB4_2615 Depth=2
	s_or_b64 exec, exec, s[60:61]
.LBB4_3261:                             ;   in Loop: Header=BB4_2615 Depth=2
	s_or_b64 exec, exec, s[58:59]
.LBB4_3262:                             ;   in Loop: Header=BB4_2615 Depth=2
	s_or_b64 exec, exec, s[56:57]
	v_cmp_ne_u16_sdwa vcc, v10, v53 src0_sel:BYTE_0 src1_sel:DWORD
	s_and_saveexec_b64 s[56:57], vcc
	s_cbranch_execz .LBB4_3268
; %bb.3263:                             ;   in Loop: Header=BB4_2615 Depth=2
	v_cmp_ne_u16_sdwa vcc, v10, s69 src0_sel:BYTE_0 src1_sel:DWORD
	v_bfrev_b32_e32 v1, 1
	s_and_saveexec_b64 s[58:59], vcc
	s_cbranch_execz .LBB4_3267
; %bb.3264:                             ;   in Loop: Header=BB4_2615 Depth=2
	v_and_b32_e32 v2, 0x7f, v10
	v_cmp_ne_u32_e32 vcc, s71, v2
	v_mov_b32_e32 v1, 0x7f800001
	s_and_saveexec_b64 s[60:61], vcc
	s_cbranch_execz .LBB4_3266
; %bb.3265:                             ;   in Loop: Header=BB4_2615 Depth=2
	v_and_b32_e32 v1, 7, v10
	v_ffbh_u32_e32 v1, v1
	v_min_u32_e32 v1, 32, v1
	v_subrev_u32_e32 v4, 28, v1
	v_cmp_gt_u32_e32 vcc, 8, v2
	v_lshrrev_b32_e32 v3, 3, v2
	v_sub_u32_e32 v1, 29, v1
	v_cndmask_b32_e32 v2, 0, v4, vcc
	v_cndmask_b32_e32 v1, v3, v1, vcc
	v_lshlrev_b64 v[2:3], v2, v[10:11]
	v_lshlrev_b32_e32 v2, 20, v2
	v_lshlrev_b32_e32 v3, 24, v10
	v_and_b32_e32 v2, 0x700000, v2
	v_and_b32_e32 v3, 0x80000000, v3
	v_lshl_add_u32 v1, v1, 23, v51
	v_or3_b32 v1, v3, v1, v2
.LBB4_3266:                             ;   in Loop: Header=BB4_2615 Depth=2
	s_or_b64 exec, exec, s[60:61]
.LBB4_3267:                             ;   in Loop: Header=BB4_2615 Depth=2
	s_or_b64 exec, exec, s[58:59]
.LBB4_3268:                             ;   in Loop: Header=BB4_2615 Depth=2
	s_or_b64 exec, exec, s[56:57]
	v_max_f32_e32 v1, v1, v1
	v_max_f32_e32 v0, v0, v0
	;; [unrolled: 1-line block ×3, first 2 shown]
	s_branch .LBB4_3283
.LBB4_3269:                             ;   in Loop: Header=BB4_2615 Depth=2
                                        ; implicit-def: $vgpr1
	s_cbranch_execz .LBB4_3283
; %bb.3270:                             ;   in Loop: Header=BB4_2615 Depth=2
	v_mov_b32_e32 v1, 0
	v_mov_b32_e32 v0, 0
	s_and_saveexec_b64 s[56:57], s[20:21]
	s_cbranch_execz .LBB4_3276
; %bb.3271:                             ;   in Loop: Header=BB4_2615 Depth=2
	v_cmp_ne_u16_sdwa vcc, v14, s69 src0_sel:BYTE_0 src1_sel:DWORD
	v_bfrev_b32_e32 v0, 1
	s_and_saveexec_b64 s[20:21], vcc
	s_cbranch_execz .LBB4_3275
; %bb.3272:                             ;   in Loop: Header=BB4_2615 Depth=2
	v_and_b32_e32 v2, 0x7f, v14
	v_cmp_ne_u32_e32 vcc, s71, v2
	v_mov_b32_e32 v0, 0x7f800001
	s_and_saveexec_b64 s[58:59], vcc
	s_cbranch_execz .LBB4_3274
; %bb.3273:                             ;   in Loop: Header=BB4_2615 Depth=2
	v_and_b32_e32 v0, 7, v14
	v_ffbh_u32_e32 v0, v0
	v_min_u32_e32 v0, 32, v0
	v_subrev_u32_e32 v4, 28, v0
	v_cmp_gt_u32_e32 vcc, 8, v2
	v_lshrrev_b32_e32 v3, 3, v2
	v_sub_u32_e32 v0, 29, v0
	v_cndmask_b32_e32 v2, 0, v4, vcc
	v_cndmask_b32_e32 v0, v3, v0, vcc
	v_lshlrev_b64 v[2:3], v2, v[14:15]
	v_lshlrev_b32_e32 v2, 20, v2
	v_lshlrev_b32_e32 v3, 24, v14
	v_and_b32_e32 v2, 0x700000, v2
	v_and_b32_e32 v3, 0x80000000, v3
	v_lshl_add_u32 v0, v0, 23, v51
	v_or3_b32 v0, v3, v0, v2
.LBB4_3274:                             ;   in Loop: Header=BB4_2615 Depth=2
	s_or_b64 exec, exec, s[58:59]
.LBB4_3275:                             ;   in Loop: Header=BB4_2615 Depth=2
	s_or_b64 exec, exec, s[20:21]
.LBB4_3276:                             ;   in Loop: Header=BB4_2615 Depth=2
	s_or_b64 exec, exec, s[56:57]
	v_cmp_ne_u16_sdwa vcc, v10, v53 src0_sel:BYTE_0 src1_sel:DWORD
	s_and_saveexec_b64 s[20:21], vcc
	s_cbranch_execz .LBB4_3282
; %bb.3277:                             ;   in Loop: Header=BB4_2615 Depth=2
	v_cmp_ne_u16_sdwa vcc, v10, s69 src0_sel:BYTE_0 src1_sel:DWORD
	v_bfrev_b32_e32 v1, 1
	s_and_saveexec_b64 s[56:57], vcc
	s_cbranch_execz .LBB4_3281
; %bb.3278:                             ;   in Loop: Header=BB4_2615 Depth=2
	v_and_b32_e32 v2, 0x7f, v10
	v_cmp_ne_u32_e32 vcc, s71, v2
	v_mov_b32_e32 v1, 0x7f800001
	s_and_saveexec_b64 s[58:59], vcc
	s_cbranch_execz .LBB4_3280
; %bb.3279:                             ;   in Loop: Header=BB4_2615 Depth=2
	v_and_b32_e32 v1, 7, v10
	v_ffbh_u32_e32 v1, v1
	v_min_u32_e32 v1, 32, v1
	v_subrev_u32_e32 v4, 28, v1
	v_cmp_gt_u32_e32 vcc, 8, v2
	v_lshrrev_b32_e32 v3, 3, v2
	v_sub_u32_e32 v1, 29, v1
	v_cndmask_b32_e32 v2, 0, v4, vcc
	v_cndmask_b32_e32 v1, v3, v1, vcc
	v_lshlrev_b64 v[2:3], v2, v[10:11]
	v_lshlrev_b32_e32 v2, 20, v2
	v_lshlrev_b32_e32 v3, 24, v10
	v_and_b32_e32 v2, 0x700000, v2
	v_and_b32_e32 v3, 0x80000000, v3
	v_lshl_add_u32 v1, v1, 23, v51
	v_or3_b32 v1, v3, v1, v2
.LBB4_3280:                             ;   in Loop: Header=BB4_2615 Depth=2
	s_or_b64 exec, exec, s[58:59]
.LBB4_3281:                             ;   in Loop: Header=BB4_2615 Depth=2
	s_or_b64 exec, exec, s[56:57]
.LBB4_3282:                             ;   in Loop: Header=BB4_2615 Depth=2
	s_or_b64 exec, exec, s[20:21]
	v_max_f32_e32 v1, v1, v1
	v_max_f32_e32 v0, v0, v0
	v_min_f32_e32 v1, v0, v1
.LBB4_3283:                             ;   in Loop: Header=BB4_2615 Depth=2
	v_and_b32_sdwa v0, v1, s69 dst_sel:DWORD dst_unused:UNUSED_PAD src0_sel:BYTE_3 src1_sel:DWORD
	v_and_b32_e32 v2, 0x7f800000, v1
	v_mov_b32_e32 v3, v53
	v_and_b32_e32 v52, 0x7fffff, v1
	v_or_b32_e32 v24, 0x7e, v0
	v_cmp_ne_u64_e32 vcc, s[40:41], v[2:3]
	s_and_saveexec_b64 s[20:21], vcc
	s_xor_b64 s[56:57], exec, s[20:21]
	s_cbranch_execz .LBB4_3293
; %bb.3284:                             ;   in Loop: Header=BB4_2615 Depth=2
	v_and_b32_e32 v2, 0x7fffffff, v1
	v_mov_b32_e32 v3, v53
	v_cmp_gt_u64_e32 vcc, s[42:43], v[2:3]
	s_and_saveexec_b64 s[58:59], vcc
	s_cbranch_execz .LBB4_3292
; %bb.3285:                             ;   in Loop: Header=BB4_2615 Depth=2
	v_cmp_ne_u32_e32 vcc, 0, v1
	v_mov_b32_e32 v24, 0
	s_and_saveexec_b64 s[60:61], vcc
	s_cbranch_execz .LBB4_3291
; %bb.3286:                             ;   in Loop: Header=BB4_2615 Depth=2
	v_bfe_u32 v1, v1, 23, 8
	v_sub_u32_e32 v3, 0x79, v1
	v_cmp_gt_u32_e32 vcc, s73, v1
	v_add_u32_e32 v2, 0xffffff81, v1
	v_cndmask_b32_e32 v3, 0, v3, vcc
	v_cmp_eq_u32_e32 vcc, 0, v1
	v_mov_b32_e32 v1, 0xffffff82
	v_cndmask_b32_e32 v1, v2, v1, vcc
	v_mov_b32_e32 v2, 0x78
	v_or_b32_e32 v4, 0x800000, v52
	v_cndmask_b32_e32 v18, v3, v2, vcc
	v_cndmask_b32_e32 v52, v4, v52, vcc
	v_add_u32_e32 v2, 20, v18
	v_lshlrev_b64 v[2:3], v2, -1
	v_add_u32_e32 v4, 19, v18
	v_lshrrev_b64 v[8:9], v18, v[52:53]
	v_not_b32_e32 v3, v3
	v_not_b32_e32 v2, v2
	v_lshlrev_b64 v[6:7], v4, 1
	v_lshrrev_b32_e32 v4, 23, v8
	v_and_b32_e32 v3, 0, v3
	v_and_b32_e32 v2, v52, v2
	v_add3_u32 v19, v18, v1, v4
	v_bfe_u32 v1, v8, 20, 1
	v_add_u32_e32 v1, -1, v1
	v_cmp_eq_u64_e32 vcc, v[2:3], v[6:7]
	v_cndmask_b32_e32 v1, 0, v1, vcc
	v_add_u32_e32 v1, v1, v8
	v_and_b32_e32 v1, 0xfffff, v1
	v_add_co_u32_e32 v2, vcc, v1, v8
	v_add_u32_e32 v18, 6, v19
	v_addc_co_u32_e32 v3, vcc, 0, v9, vcc
	v_cmp_ne_u32_e32 vcc, 0, v18
                                        ; implicit-def: $vgpr1
	s_and_saveexec_b64 s[20:21], vcc
	s_xor_b64 s[20:21], exec, s[20:21]
; %bb.3287:                             ;   in Loop: Header=BB4_2615 Depth=2
	v_cmp_lt_u64_e32 vcc, s[46:47], v[2:3]
	v_add_u32_e32 v1, 7, v19
	v_cndmask_b32_e64 v4, 0, 1, vcc
	v_cndmask_b32_e32 v1, v18, v1, vcc
	v_lshrrev_b64 v[2:3], v4, v[2:3]
; %bb.3288:                             ;   in Loop: Header=BB4_2615 Depth=2
	s_andn2_saveexec_b64 s[20:21], s[20:21]
; %bb.3289:                             ;   in Loop: Header=BB4_2615 Depth=2
	v_bfe_u32 v1, v2, 23, 1
; %bb.3290:                             ;   in Loop: Header=BB4_2615 Depth=2
	s_or_b64 exec, exec, s[20:21]
	v_lshrrev_b64 v[2:3], 20, v[2:3]
	v_cmp_gt_i32_e32 vcc, 16, v1
	v_cndmask_b32_e32 v3, 0, v3, vcc
	v_cndmask_b32_e32 v2, 7, v2, vcc
	v_cmp_eq_u32_e32 vcc, 0, v1
	v_min_i32_e32 v1, 15, v1
	v_cmp_eq_u64_e64 s[20:21], 0, v[2:3]
	v_lshlrev_b32_e32 v1, 3, v1
	v_and_or_b32 v1, v2, 7, v1
	s_and_b64 s[20:21], vcc, s[20:21]
	v_cndmask_b32_e64 v1, v1, 0, s[20:21]
	v_or_b32_e32 v24, v1, v0
.LBB4_3291:                             ;   in Loop: Header=BB4_2615 Depth=2
	s_or_b64 exec, exec, s[60:61]
.LBB4_3292:                             ;   in Loop: Header=BB4_2615 Depth=2
	s_or_b64 exec, exec, s[58:59]
                                        ; implicit-def: $vgpr1
.LBB4_3293:                             ;   in Loop: Header=BB4_2615 Depth=2
	s_andn2_saveexec_b64 s[20:21], s[56:57]
; %bb.3294:                             ;   in Loop: Header=BB4_2615 Depth=2
	v_or_b32_sdwa v0, v1, s71 dst_sel:DWORD dst_unused:UNUSED_PAD src0_sel:BYTE_3 src1_sel:DWORD
	v_cmp_eq_u64_e32 vcc, 0, v[52:53]
	v_cndmask_b32_e32 v24, v0, v24, vcc
; %bb.3295:                             ;   in Loop: Header=BB4_2615 Depth=2
	s_or_b64 exec, exec, s[20:21]
	v_lshrrev_b16_e32 v18, 8, v14
	v_lshrrev_b16_e32 v2, 8, v10
	s_and_b64 vcc, exec, s[18:19]
	v_cmp_ne_u16_e64 s[20:21], 0, v18
	s_cbranch_vccnz .LBB4_3309
; %bb.3296:                             ;   in Loop: Header=BB4_2615 Depth=2
	v_mov_b32_e32 v1, 0
	v_mov_b32_e32 v0, 0
	s_and_saveexec_b64 s[56:57], s[20:21]
	s_cbranch_execz .LBB4_3302
; %bb.3297:                             ;   in Loop: Header=BB4_2615 Depth=2
	v_cmp_ne_u16_e32 vcc, s69, v18
	v_bfrev_b32_e32 v0, 1
	s_and_saveexec_b64 s[58:59], vcc
	s_cbranch_execz .LBB4_3301
; %bb.3298:                             ;   in Loop: Header=BB4_2615 Depth=2
	v_and_b32_e32 v3, 0x7f, v18
	v_cmp_ne_u32_e32 vcc, s71, v3
	v_mov_b32_e32 v0, 0x7f800001
	s_and_saveexec_b64 s[60:61], vcc
	s_cbranch_execz .LBB4_3300
; %bb.3299:                             ;   in Loop: Header=BB4_2615 Depth=2
	v_and_b32_e32 v0, 7, v18
	v_ffbh_u32_e32 v6, v0
	v_min_u32_e32 v8, 32, v6
	v_subrev_u32_e32 v6, 28, v8
	v_lshlrev_b64 v[6:7], v6, v[18:19]
	v_lshrrev_b32_e32 v4, 3, v3
	v_sub_u32_e32 v7, 29, v8
	v_and_b32_e32 v6, 7, v6
	v_cmp_gt_u32_e32 vcc, 8, v3
	v_cndmask_b32_e32 v3, v4, v7, vcc
	v_cndmask_b32_e32 v0, v0, v6, vcc
	v_lshlrev_b32_e32 v4, 16, v14
	v_lshlrev_b32_e32 v0, 20, v0
	v_and_b32_e32 v4, 0x80000000, v4
	v_lshl_add_u32 v3, v3, 23, v51
	v_or3_b32 v0, v4, v3, v0
.LBB4_3300:                             ;   in Loop: Header=BB4_2615 Depth=2
	s_or_b64 exec, exec, s[60:61]
.LBB4_3301:                             ;   in Loop: Header=BB4_2615 Depth=2
	s_or_b64 exec, exec, s[58:59]
.LBB4_3302:                             ;   in Loop: Header=BB4_2615 Depth=2
	s_or_b64 exec, exec, s[56:57]
	v_cmp_ne_u16_e32 vcc, 0, v2
	s_and_saveexec_b64 s[56:57], vcc
	s_cbranch_execz .LBB4_3308
; %bb.3303:                             ;   in Loop: Header=BB4_2615 Depth=2
	v_cmp_ne_u16_e32 vcc, s69, v2
	v_bfrev_b32_e32 v1, 1
	s_and_saveexec_b64 s[58:59], vcc
	s_cbranch_execz .LBB4_3307
; %bb.3304:                             ;   in Loop: Header=BB4_2615 Depth=2
	v_and_b32_e32 v3, 0x7f, v2
	v_cmp_ne_u32_e32 vcc, s71, v3
	v_mov_b32_e32 v1, 0x7f800001
	s_and_saveexec_b64 s[60:61], vcc
	s_cbranch_execz .LBB4_3306
; %bb.3305:                             ;   in Loop: Header=BB4_2615 Depth=2
	v_and_b32_e32 v1, 7, v2
	v_ffbh_u32_e32 v6, v1
	v_min_u32_e32 v8, 32, v6
	v_subrev_u32_e32 v6, 28, v8
	v_lshlrev_b64 v[6:7], v6, v[2:3]
	v_lshrrev_b32_e32 v4, 3, v3
	v_sub_u32_e32 v7, 29, v8
	v_and_b32_e32 v6, 7, v6
	v_cmp_gt_u32_e32 vcc, 8, v3
	v_cndmask_b32_e32 v3, v4, v7, vcc
	v_cndmask_b32_e32 v1, v1, v6, vcc
	v_lshlrev_b32_e32 v4, 16, v10
	v_lshlrev_b32_e32 v1, 20, v1
	v_and_b32_e32 v4, 0x80000000, v4
	v_lshl_add_u32 v3, v3, 23, v51
	v_or3_b32 v1, v4, v3, v1
.LBB4_3306:                             ;   in Loop: Header=BB4_2615 Depth=2
	s_or_b64 exec, exec, s[60:61]
.LBB4_3307:                             ;   in Loop: Header=BB4_2615 Depth=2
	s_or_b64 exec, exec, s[58:59]
.LBB4_3308:                             ;   in Loop: Header=BB4_2615 Depth=2
	s_or_b64 exec, exec, s[56:57]
	v_max_f32_e32 v1, v1, v1
	v_max_f32_e32 v0, v0, v0
	;; [unrolled: 1-line block ×3, first 2 shown]
	s_branch .LBB4_3323
.LBB4_3309:                             ;   in Loop: Header=BB4_2615 Depth=2
                                        ; implicit-def: $vgpr1
	s_cbranch_execz .LBB4_3323
; %bb.3310:                             ;   in Loop: Header=BB4_2615 Depth=2
	v_mov_b32_e32 v1, 0
	v_mov_b32_e32 v0, 0
	s_and_saveexec_b64 s[56:57], s[20:21]
	s_cbranch_execz .LBB4_3316
; %bb.3311:                             ;   in Loop: Header=BB4_2615 Depth=2
	v_cmp_ne_u16_e32 vcc, s69, v18
	v_bfrev_b32_e32 v0, 1
	s_and_saveexec_b64 s[20:21], vcc
	s_cbranch_execz .LBB4_3315
; %bb.3312:                             ;   in Loop: Header=BB4_2615 Depth=2
	v_and_b32_e32 v3, 0x7f, v18
	v_cmp_ne_u32_e32 vcc, s71, v3
	v_mov_b32_e32 v0, 0x7f800001
	s_and_saveexec_b64 s[58:59], vcc
	s_cbranch_execz .LBB4_3314
; %bb.3313:                             ;   in Loop: Header=BB4_2615 Depth=2
	v_and_b32_e32 v0, 7, v18
	v_ffbh_u32_e32 v6, v0
	v_min_u32_e32 v8, 32, v6
	v_subrev_u32_e32 v6, 28, v8
	v_lshlrev_b64 v[6:7], v6, v[18:19]
	v_lshrrev_b32_e32 v4, 3, v3
	v_sub_u32_e32 v7, 29, v8
	v_and_b32_e32 v6, 7, v6
	v_cmp_gt_u32_e32 vcc, 8, v3
	v_cndmask_b32_e32 v3, v4, v7, vcc
	v_cndmask_b32_e32 v0, v0, v6, vcc
	v_lshlrev_b32_e32 v4, 16, v14
	v_lshlrev_b32_e32 v0, 20, v0
	v_and_b32_e32 v4, 0x80000000, v4
	v_lshl_add_u32 v3, v3, 23, v51
	v_or3_b32 v0, v4, v3, v0
.LBB4_3314:                             ;   in Loop: Header=BB4_2615 Depth=2
	s_or_b64 exec, exec, s[58:59]
.LBB4_3315:                             ;   in Loop: Header=BB4_2615 Depth=2
	s_or_b64 exec, exec, s[20:21]
.LBB4_3316:                             ;   in Loop: Header=BB4_2615 Depth=2
	s_or_b64 exec, exec, s[56:57]
	v_cmp_ne_u16_e32 vcc, 0, v2
	s_and_saveexec_b64 s[20:21], vcc
	s_cbranch_execz .LBB4_3322
; %bb.3317:                             ;   in Loop: Header=BB4_2615 Depth=2
	v_cmp_ne_u16_e32 vcc, s69, v2
	v_bfrev_b32_e32 v1, 1
	s_and_saveexec_b64 s[56:57], vcc
	s_cbranch_execz .LBB4_3321
; %bb.3318:                             ;   in Loop: Header=BB4_2615 Depth=2
	v_and_b32_e32 v3, 0x7f, v2
	v_cmp_ne_u32_e32 vcc, s71, v3
	v_mov_b32_e32 v1, 0x7f800001
	s_and_saveexec_b64 s[58:59], vcc
	s_cbranch_execz .LBB4_3320
; %bb.3319:                             ;   in Loop: Header=BB4_2615 Depth=2
	v_and_b32_e32 v1, 7, v2
	v_ffbh_u32_e32 v6, v1
	v_min_u32_e32 v8, 32, v6
	v_subrev_u32_e32 v6, 28, v8
	v_lshlrev_b64 v[6:7], v6, v[2:3]
	v_lshrrev_b32_e32 v4, 3, v3
	v_sub_u32_e32 v2, 29, v8
	v_and_b32_e32 v6, 7, v6
	v_cmp_gt_u32_e32 vcc, 8, v3
	v_cndmask_b32_e32 v2, v4, v2, vcc
	v_cndmask_b32_e32 v1, v1, v6, vcc
	v_lshlrev_b32_e32 v3, 16, v10
	v_lshlrev_b32_e32 v1, 20, v1
	v_and_b32_e32 v3, 0x80000000, v3
	v_lshl_add_u32 v2, v2, 23, v51
	v_or3_b32 v1, v3, v2, v1
.LBB4_3320:                             ;   in Loop: Header=BB4_2615 Depth=2
	s_or_b64 exec, exec, s[58:59]
.LBB4_3321:                             ;   in Loop: Header=BB4_2615 Depth=2
	s_or_b64 exec, exec, s[56:57]
.LBB4_3322:                             ;   in Loop: Header=BB4_2615 Depth=2
	s_or_b64 exec, exec, s[20:21]
	v_max_f32_e32 v1, v1, v1
	v_max_f32_e32 v0, v0, v0
	v_min_f32_e32 v1, v0, v1
.LBB4_3323:                             ;   in Loop: Header=BB4_2615 Depth=2
	v_and_b32_sdwa v0, v1, s69 dst_sel:DWORD dst_unused:UNUSED_PAD src0_sel:BYTE_3 src1_sel:DWORD
	v_and_b32_e32 v2, 0x7f800000, v1
	v_mov_b32_e32 v3, v53
	v_and_b32_e32 v52, 0x7fffff, v1
	v_or_b32_e32 v25, 0x7e, v0
	v_cmp_ne_u64_e32 vcc, s[40:41], v[2:3]
	s_and_saveexec_b64 s[20:21], vcc
	s_xor_b64 s[56:57], exec, s[20:21]
	s_cbranch_execz .LBB4_3333
; %bb.3324:                             ;   in Loop: Header=BB4_2615 Depth=2
	v_and_b32_e32 v2, 0x7fffffff, v1
	v_mov_b32_e32 v3, v53
	v_cmp_gt_u64_e32 vcc, s[42:43], v[2:3]
	s_and_saveexec_b64 s[58:59], vcc
	s_cbranch_execz .LBB4_3332
; %bb.3325:                             ;   in Loop: Header=BB4_2615 Depth=2
	v_cmp_ne_u32_e32 vcc, 0, v1
	v_mov_b32_e32 v25, 0
	s_and_saveexec_b64 s[60:61], vcc
	s_cbranch_execz .LBB4_3331
; %bb.3326:                             ;   in Loop: Header=BB4_2615 Depth=2
	v_bfe_u32 v1, v1, 23, 8
	v_sub_u32_e32 v3, 0x79, v1
	v_cmp_gt_u32_e32 vcc, s73, v1
	v_add_u32_e32 v2, 0xffffff81, v1
	v_cndmask_b32_e32 v3, 0, v3, vcc
	v_cmp_eq_u32_e32 vcc, 0, v1
	v_mov_b32_e32 v1, 0xffffff82
	v_cndmask_b32_e32 v1, v2, v1, vcc
	v_mov_b32_e32 v2, 0x78
	v_or_b32_e32 v4, 0x800000, v52
	v_cndmask_b32_e32 v18, v3, v2, vcc
	v_cndmask_b32_e32 v52, v4, v52, vcc
	v_add_u32_e32 v2, 20, v18
	v_lshlrev_b64 v[2:3], v2, -1
	v_add_u32_e32 v4, 19, v18
	v_lshrrev_b64 v[8:9], v18, v[52:53]
	v_not_b32_e32 v3, v3
	v_not_b32_e32 v2, v2
	v_lshlrev_b64 v[6:7], v4, 1
	v_lshrrev_b32_e32 v4, 23, v8
	v_and_b32_e32 v3, 0, v3
	v_and_b32_e32 v2, v52, v2
	v_add3_u32 v19, v18, v1, v4
	v_bfe_u32 v1, v8, 20, 1
	v_add_u32_e32 v1, -1, v1
	v_cmp_eq_u64_e32 vcc, v[2:3], v[6:7]
	v_cndmask_b32_e32 v1, 0, v1, vcc
	v_add_u32_e32 v1, v1, v8
	v_and_b32_e32 v1, 0xfffff, v1
	v_add_co_u32_e32 v2, vcc, v1, v8
	v_add_u32_e32 v18, 6, v19
	v_addc_co_u32_e32 v3, vcc, 0, v9, vcc
	v_cmp_ne_u32_e32 vcc, 0, v18
                                        ; implicit-def: $vgpr1
	s_and_saveexec_b64 s[20:21], vcc
	s_xor_b64 s[20:21], exec, s[20:21]
; %bb.3327:                             ;   in Loop: Header=BB4_2615 Depth=2
	v_cmp_lt_u64_e32 vcc, s[46:47], v[2:3]
	v_add_u32_e32 v1, 7, v19
	v_cndmask_b32_e64 v4, 0, 1, vcc
	v_cndmask_b32_e32 v1, v18, v1, vcc
	v_lshrrev_b64 v[2:3], v4, v[2:3]
; %bb.3328:                             ;   in Loop: Header=BB4_2615 Depth=2
	s_andn2_saveexec_b64 s[20:21], s[20:21]
; %bb.3329:                             ;   in Loop: Header=BB4_2615 Depth=2
	v_bfe_u32 v1, v2, 23, 1
; %bb.3330:                             ;   in Loop: Header=BB4_2615 Depth=2
	s_or_b64 exec, exec, s[20:21]
	v_lshrrev_b64 v[2:3], 20, v[2:3]
	v_cmp_gt_i32_e32 vcc, 16, v1
	v_cndmask_b32_e32 v3, 0, v3, vcc
	v_cndmask_b32_e32 v2, 7, v2, vcc
	v_cmp_eq_u32_e32 vcc, 0, v1
	v_min_i32_e32 v1, 15, v1
	v_cmp_eq_u64_e64 s[20:21], 0, v[2:3]
	v_lshlrev_b32_e32 v1, 3, v1
	v_and_or_b32 v1, v2, 7, v1
	s_and_b64 s[20:21], vcc, s[20:21]
	v_cndmask_b32_e64 v1, v1, 0, s[20:21]
	v_or_b32_e32 v25, v1, v0
.LBB4_3331:                             ;   in Loop: Header=BB4_2615 Depth=2
	s_or_b64 exec, exec, s[60:61]
.LBB4_3332:                             ;   in Loop: Header=BB4_2615 Depth=2
	s_or_b64 exec, exec, s[58:59]
                                        ; implicit-def: $vgpr1
.LBB4_3333:                             ;   in Loop: Header=BB4_2615 Depth=2
	s_andn2_saveexec_b64 s[20:21], s[56:57]
; %bb.3334:                             ;   in Loop: Header=BB4_2615 Depth=2
	v_or_b32_sdwa v0, v1, s71 dst_sel:DWORD dst_unused:UNUSED_PAD src0_sel:BYTE_3 src1_sel:DWORD
	v_cmp_eq_u64_e32 vcc, 0, v[52:53]
	v_cndmask_b32_e32 v25, v0, v25, vcc
; %bb.3335:                             ;   in Loop: Header=BB4_2615 Depth=2
	s_or_b64 exec, exec, s[20:21]
	v_lshrrev_b32_e32 v18, 16, v14
	v_lshrrev_b32_e32 v2, 16, v10
	s_and_b64 vcc, exec, s[18:19]
	v_cmp_ne_u16_sdwa s[20:21], v18, v53 src0_sel:BYTE_0 src1_sel:DWORD
	s_cbranch_vccnz .LBB4_3349
; %bb.3336:                             ;   in Loop: Header=BB4_2615 Depth=2
	v_mov_b32_e32 v1, 0
	v_mov_b32_e32 v0, 0
	s_and_saveexec_b64 s[56:57], s[20:21]
	s_cbranch_execz .LBB4_3342
; %bb.3337:                             ;   in Loop: Header=BB4_2615 Depth=2
	v_cmp_ne_u16_sdwa vcc, v18, s69 src0_sel:BYTE_0 src1_sel:DWORD
	v_bfrev_b32_e32 v0, 1
	s_and_saveexec_b64 s[58:59], vcc
	s_cbranch_execz .LBB4_3341
; %bb.3338:                             ;   in Loop: Header=BB4_2615 Depth=2
	v_bfe_u32 v3, v14, 16, 7
	v_cmp_ne_u32_e32 vcc, s71, v3
	v_mov_b32_e32 v0, 0x7f800001
	s_and_saveexec_b64 s[60:61], vcc
	s_cbranch_execz .LBB4_3340
; %bb.3339:                             ;   in Loop: Header=BB4_2615 Depth=2
	v_and_b32_e32 v0, 7, v18
	v_ffbh_u32_e32 v6, v0
	v_min_u32_e32 v8, 32, v6
	v_subrev_u32_e32 v6, 28, v8
	v_lshlrev_b64 v[6:7], v6, v[18:19]
	v_lshrrev_b32_e32 v4, 3, v3
	v_sub_u32_e32 v7, 29, v8
	v_and_b32_e32 v6, 7, v6
	v_cmp_gt_u32_e32 vcc, 8, v3
	v_cndmask_b32_e32 v3, v4, v7, vcc
	v_cndmask_b32_e32 v0, v0, v6, vcc
	v_lshlrev_b32_e32 v4, 24, v18
	v_lshlrev_b32_e32 v0, 20, v0
	v_and_b32_e32 v4, 0x80000000, v4
	v_lshl_add_u32 v3, v3, 23, v51
	v_or3_b32 v0, v4, v3, v0
.LBB4_3340:                             ;   in Loop: Header=BB4_2615 Depth=2
	s_or_b64 exec, exec, s[60:61]
.LBB4_3341:                             ;   in Loop: Header=BB4_2615 Depth=2
	s_or_b64 exec, exec, s[58:59]
.LBB4_3342:                             ;   in Loop: Header=BB4_2615 Depth=2
	s_or_b64 exec, exec, s[56:57]
	v_cmp_ne_u16_sdwa vcc, v2, v53 src0_sel:BYTE_0 src1_sel:DWORD
	s_and_saveexec_b64 s[56:57], vcc
	s_cbranch_execz .LBB4_3348
; %bb.3343:                             ;   in Loop: Header=BB4_2615 Depth=2
	v_cmp_ne_u16_sdwa vcc, v2, s69 src0_sel:BYTE_0 src1_sel:DWORD
	v_bfrev_b32_e32 v1, 1
	s_and_saveexec_b64 s[58:59], vcc
	s_cbranch_execz .LBB4_3347
; %bb.3344:                             ;   in Loop: Header=BB4_2615 Depth=2
	v_bfe_u32 v3, v10, 16, 7
	v_cmp_ne_u32_e32 vcc, s71, v3
	v_mov_b32_e32 v1, 0x7f800001
	s_and_saveexec_b64 s[60:61], vcc
	s_cbranch_execz .LBB4_3346
; %bb.3345:                             ;   in Loop: Header=BB4_2615 Depth=2
	v_and_b32_e32 v1, 7, v2
	v_ffbh_u32_e32 v6, v1
	v_min_u32_e32 v8, 32, v6
	v_subrev_u32_e32 v6, 28, v8
	v_lshlrev_b64 v[6:7], v6, v[2:3]
	v_lshrrev_b32_e32 v4, 3, v3
	v_sub_u32_e32 v7, 29, v8
	v_and_b32_e32 v6, 7, v6
	v_cmp_gt_u32_e32 vcc, 8, v3
	v_cndmask_b32_e32 v3, v4, v7, vcc
	v_cndmask_b32_e32 v1, v1, v6, vcc
	v_lshlrev_b32_e32 v4, 24, v2
	v_lshlrev_b32_e32 v1, 20, v1
	v_and_b32_e32 v4, 0x80000000, v4
	v_lshl_add_u32 v3, v3, 23, v51
	v_or3_b32 v1, v4, v3, v1
.LBB4_3346:                             ;   in Loop: Header=BB4_2615 Depth=2
	s_or_b64 exec, exec, s[60:61]
.LBB4_3347:                             ;   in Loop: Header=BB4_2615 Depth=2
	s_or_b64 exec, exec, s[58:59]
.LBB4_3348:                             ;   in Loop: Header=BB4_2615 Depth=2
	s_or_b64 exec, exec, s[56:57]
	v_max_f32_e32 v1, v1, v1
	v_max_f32_e32 v0, v0, v0
	;; [unrolled: 1-line block ×3, first 2 shown]
	s_branch .LBB4_3363
.LBB4_3349:                             ;   in Loop: Header=BB4_2615 Depth=2
                                        ; implicit-def: $vgpr1
	s_cbranch_execz .LBB4_3363
; %bb.3350:                             ;   in Loop: Header=BB4_2615 Depth=2
	v_mov_b32_e32 v1, 0
	v_mov_b32_e32 v0, 0
	s_and_saveexec_b64 s[56:57], s[20:21]
	s_cbranch_execz .LBB4_3356
; %bb.3351:                             ;   in Loop: Header=BB4_2615 Depth=2
	v_cmp_ne_u16_sdwa vcc, v18, s69 src0_sel:BYTE_0 src1_sel:DWORD
	v_bfrev_b32_e32 v0, 1
	s_and_saveexec_b64 s[20:21], vcc
	s_cbranch_execz .LBB4_3355
; %bb.3352:                             ;   in Loop: Header=BB4_2615 Depth=2
	v_bfe_u32 v3, v14, 16, 7
	v_cmp_ne_u32_e32 vcc, s71, v3
	v_mov_b32_e32 v0, 0x7f800001
	s_and_saveexec_b64 s[58:59], vcc
	s_cbranch_execz .LBB4_3354
; %bb.3353:                             ;   in Loop: Header=BB4_2615 Depth=2
	v_and_b32_e32 v0, 7, v18
	v_ffbh_u32_e32 v6, v0
	v_min_u32_e32 v8, 32, v6
	v_subrev_u32_e32 v6, 28, v8
	v_lshlrev_b64 v[6:7], v6, v[18:19]
	v_lshrrev_b32_e32 v4, 3, v3
	v_sub_u32_e32 v7, 29, v8
	v_and_b32_e32 v6, 7, v6
	v_cmp_gt_u32_e32 vcc, 8, v3
	v_cndmask_b32_e32 v3, v4, v7, vcc
	v_cndmask_b32_e32 v0, v0, v6, vcc
	v_lshlrev_b32_e32 v4, 24, v18
	v_lshlrev_b32_e32 v0, 20, v0
	v_and_b32_e32 v4, 0x80000000, v4
	v_lshl_add_u32 v3, v3, 23, v51
	v_or3_b32 v0, v4, v3, v0
.LBB4_3354:                             ;   in Loop: Header=BB4_2615 Depth=2
	s_or_b64 exec, exec, s[58:59]
.LBB4_3355:                             ;   in Loop: Header=BB4_2615 Depth=2
	s_or_b64 exec, exec, s[20:21]
.LBB4_3356:                             ;   in Loop: Header=BB4_2615 Depth=2
	s_or_b64 exec, exec, s[56:57]
	v_cmp_ne_u16_sdwa vcc, v2, v53 src0_sel:BYTE_0 src1_sel:DWORD
	s_and_saveexec_b64 s[20:21], vcc
	s_cbranch_execz .LBB4_3362
; %bb.3357:                             ;   in Loop: Header=BB4_2615 Depth=2
	v_cmp_ne_u16_sdwa vcc, v2, s69 src0_sel:BYTE_0 src1_sel:DWORD
	v_bfrev_b32_e32 v1, 1
	s_and_saveexec_b64 s[56:57], vcc
	s_cbranch_execz .LBB4_3361
; %bb.3358:                             ;   in Loop: Header=BB4_2615 Depth=2
	v_bfe_u32 v3, v10, 16, 7
	v_cmp_ne_u32_e32 vcc, s71, v3
	v_mov_b32_e32 v1, 0x7f800001
	s_and_saveexec_b64 s[58:59], vcc
	s_cbranch_execz .LBB4_3360
; %bb.3359:                             ;   in Loop: Header=BB4_2615 Depth=2
	v_and_b32_e32 v1, 7, v2
	v_ffbh_u32_e32 v6, v1
	v_min_u32_e32 v8, 32, v6
	v_subrev_u32_e32 v6, 28, v8
	v_lshlrev_b64 v[6:7], v6, v[2:3]
	v_lshrrev_b32_e32 v4, 3, v3
	v_sub_u32_e32 v7, 29, v8
	v_and_b32_e32 v6, 7, v6
	v_cmp_gt_u32_e32 vcc, 8, v3
	v_cndmask_b32_e32 v3, v4, v7, vcc
	v_cndmask_b32_e32 v1, v1, v6, vcc
	v_lshlrev_b32_e32 v2, 24, v2
	v_lshlrev_b32_e32 v1, 20, v1
	v_and_b32_e32 v2, 0x80000000, v2
	v_lshl_add_u32 v3, v3, 23, v51
	v_or3_b32 v1, v2, v3, v1
.LBB4_3360:                             ;   in Loop: Header=BB4_2615 Depth=2
	s_or_b64 exec, exec, s[58:59]
.LBB4_3361:                             ;   in Loop: Header=BB4_2615 Depth=2
	s_or_b64 exec, exec, s[56:57]
.LBB4_3362:                             ;   in Loop: Header=BB4_2615 Depth=2
	s_or_b64 exec, exec, s[20:21]
	v_max_f32_e32 v1, v1, v1
	v_max_f32_e32 v0, v0, v0
	v_min_f32_e32 v1, v0, v1
.LBB4_3363:                             ;   in Loop: Header=BB4_2615 Depth=2
	v_and_b32_sdwa v0, v1, s69 dst_sel:DWORD dst_unused:UNUSED_PAD src0_sel:BYTE_3 src1_sel:DWORD
	v_and_b32_e32 v2, 0x7f800000, v1
	v_mov_b32_e32 v3, v53
	v_and_b32_e32 v52, 0x7fffff, v1
	v_or_b32_e32 v27, 0x7e, v0
	v_cmp_ne_u64_e32 vcc, s[40:41], v[2:3]
	s_and_saveexec_b64 s[20:21], vcc
	s_xor_b64 s[56:57], exec, s[20:21]
	s_cbranch_execz .LBB4_3373
; %bb.3364:                             ;   in Loop: Header=BB4_2615 Depth=2
	v_and_b32_e32 v2, 0x7fffffff, v1
	v_mov_b32_e32 v3, v53
	v_cmp_gt_u64_e32 vcc, s[42:43], v[2:3]
	s_and_saveexec_b64 s[58:59], vcc
	s_cbranch_execz .LBB4_3372
; %bb.3365:                             ;   in Loop: Header=BB4_2615 Depth=2
	v_cmp_ne_u32_e32 vcc, 0, v1
	v_mov_b32_e32 v27, 0
	s_and_saveexec_b64 s[60:61], vcc
	s_cbranch_execz .LBB4_3371
; %bb.3366:                             ;   in Loop: Header=BB4_2615 Depth=2
	v_bfe_u32 v1, v1, 23, 8
	v_sub_u32_e32 v3, 0x79, v1
	v_cmp_gt_u32_e32 vcc, s73, v1
	v_add_u32_e32 v2, 0xffffff81, v1
	v_cndmask_b32_e32 v3, 0, v3, vcc
	v_cmp_eq_u32_e32 vcc, 0, v1
	v_mov_b32_e32 v1, 0xffffff82
	v_cndmask_b32_e32 v1, v2, v1, vcc
	v_mov_b32_e32 v2, 0x78
	v_or_b32_e32 v4, 0x800000, v52
	v_cndmask_b32_e32 v18, v3, v2, vcc
	v_cndmask_b32_e32 v52, v4, v52, vcc
	v_add_u32_e32 v2, 20, v18
	v_lshlrev_b64 v[2:3], v2, -1
	v_add_u32_e32 v4, 19, v18
	v_lshrrev_b64 v[8:9], v18, v[52:53]
	v_not_b32_e32 v3, v3
	v_not_b32_e32 v2, v2
	v_lshlrev_b64 v[6:7], v4, 1
	v_lshrrev_b32_e32 v4, 23, v8
	v_and_b32_e32 v3, 0, v3
	v_and_b32_e32 v2, v52, v2
	v_add3_u32 v19, v18, v1, v4
	v_bfe_u32 v1, v8, 20, 1
	v_add_u32_e32 v1, -1, v1
	v_cmp_eq_u64_e32 vcc, v[2:3], v[6:7]
	v_cndmask_b32_e32 v1, 0, v1, vcc
	v_add_u32_e32 v1, v1, v8
	v_and_b32_e32 v1, 0xfffff, v1
	v_add_co_u32_e32 v2, vcc, v1, v8
	v_add_u32_e32 v18, 6, v19
	v_addc_co_u32_e32 v3, vcc, 0, v9, vcc
	v_cmp_ne_u32_e32 vcc, 0, v18
                                        ; implicit-def: $vgpr1
	s_and_saveexec_b64 s[20:21], vcc
	s_xor_b64 s[20:21], exec, s[20:21]
; %bb.3367:                             ;   in Loop: Header=BB4_2615 Depth=2
	v_cmp_lt_u64_e32 vcc, s[46:47], v[2:3]
	v_add_u32_e32 v1, 7, v19
	v_cndmask_b32_e64 v4, 0, 1, vcc
	v_cndmask_b32_e32 v1, v18, v1, vcc
	v_lshrrev_b64 v[2:3], v4, v[2:3]
; %bb.3368:                             ;   in Loop: Header=BB4_2615 Depth=2
	s_andn2_saveexec_b64 s[20:21], s[20:21]
; %bb.3369:                             ;   in Loop: Header=BB4_2615 Depth=2
	v_bfe_u32 v1, v2, 23, 1
; %bb.3370:                             ;   in Loop: Header=BB4_2615 Depth=2
	s_or_b64 exec, exec, s[20:21]
	v_lshrrev_b64 v[2:3], 20, v[2:3]
	v_cmp_gt_i32_e32 vcc, 16, v1
	v_cndmask_b32_e32 v3, 0, v3, vcc
	v_cndmask_b32_e32 v2, 7, v2, vcc
	v_cmp_eq_u32_e32 vcc, 0, v1
	v_min_i32_e32 v1, 15, v1
	v_cmp_eq_u64_e64 s[20:21], 0, v[2:3]
	v_lshlrev_b32_e32 v1, 3, v1
	v_and_or_b32 v1, v2, 7, v1
	s_and_b64 s[20:21], vcc, s[20:21]
	v_cndmask_b32_e64 v1, v1, 0, s[20:21]
	v_or_b32_e32 v27, v1, v0
.LBB4_3371:                             ;   in Loop: Header=BB4_2615 Depth=2
	s_or_b64 exec, exec, s[60:61]
.LBB4_3372:                             ;   in Loop: Header=BB4_2615 Depth=2
	s_or_b64 exec, exec, s[58:59]
                                        ; implicit-def: $vgpr1
.LBB4_3373:                             ;   in Loop: Header=BB4_2615 Depth=2
	s_andn2_saveexec_b64 s[20:21], s[56:57]
; %bb.3374:                             ;   in Loop: Header=BB4_2615 Depth=2
	v_or_b32_sdwa v0, v1, s71 dst_sel:DWORD dst_unused:UNUSED_PAD src0_sel:BYTE_3 src1_sel:DWORD
	v_cmp_eq_u64_e32 vcc, 0, v[52:53]
	v_cndmask_b32_e32 v27, v0, v27, vcc
; %bb.3375:                             ;   in Loop: Header=BB4_2615 Depth=2
	s_or_b64 exec, exec, s[20:21]
	v_lshrrev_b32_e32 v18, 24, v14
	v_lshrrev_b32_e32 v2, 24, v10
	s_and_b64 vcc, exec, s[18:19]
	v_cmp_lt_u32_e64 s[20:21], s45, v14
	s_cbranch_vccnz .LBB4_3389
; %bb.3376:                             ;   in Loop: Header=BB4_2615 Depth=2
	v_mov_b32_e32 v1, 0
	v_mov_b32_e32 v0, 0
	s_and_saveexec_b64 s[56:57], s[20:21]
	s_cbranch_execz .LBB4_3382
; %bb.3377:                             ;   in Loop: Header=BB4_2615 Depth=2
	v_cmp_ne_u32_e32 vcc, s69, v18
	v_bfrev_b32_e32 v0, 1
	s_and_saveexec_b64 s[58:59], vcc
	s_cbranch_execz .LBB4_3381
; %bb.3378:                             ;   in Loop: Header=BB4_2615 Depth=2
	v_bfe_u32 v3, v14, 24, 7
	v_cmp_ne_u32_e32 vcc, s71, v3
	v_mov_b32_e32 v0, 0x7f800001
	s_and_saveexec_b64 s[60:61], vcc
	s_cbranch_execz .LBB4_3380
; %bb.3379:                             ;   in Loop: Header=BB4_2615 Depth=2
	v_and_b32_e32 v0, 7, v18
	v_ffbh_u32_e32 v6, v0
	v_min_u32_e32 v8, 32, v6
	v_subrev_u32_e32 v6, 28, v8
	v_lshlrev_b64 v[6:7], v6, v[18:19]
	v_lshrrev_b32_e32 v4, 3, v3
	v_sub_u32_e32 v7, 29, v8
	v_and_b32_e32 v6, 7, v6
	v_cmp_gt_u32_e32 vcc, 8, v3
	v_cndmask_b32_e32 v3, v4, v7, vcc
	v_cndmask_b32_e32 v0, v0, v6, vcc
	v_lshlrev_b32_e32 v4, 24, v18
	v_lshlrev_b32_e32 v0, 20, v0
	v_and_b32_e32 v4, 0x80000000, v4
	v_lshl_add_u32 v3, v3, 23, v51
	v_or3_b32 v0, v4, v3, v0
.LBB4_3380:                             ;   in Loop: Header=BB4_2615 Depth=2
	s_or_b64 exec, exec, s[60:61]
.LBB4_3381:                             ;   in Loop: Header=BB4_2615 Depth=2
	s_or_b64 exec, exec, s[58:59]
.LBB4_3382:                             ;   in Loop: Header=BB4_2615 Depth=2
	s_or_b64 exec, exec, s[56:57]
	v_cmp_lt_u32_e32 vcc, s45, v10
	s_and_saveexec_b64 s[56:57], vcc
	s_cbranch_execz .LBB4_3388
; %bb.3383:                             ;   in Loop: Header=BB4_2615 Depth=2
	v_cmp_ne_u32_e32 vcc, s69, v2
	v_bfrev_b32_e32 v1, 1
	s_and_saveexec_b64 s[58:59], vcc
	s_cbranch_execz .LBB4_3387
; %bb.3384:                             ;   in Loop: Header=BB4_2615 Depth=2
	v_bfe_u32 v3, v10, 24, 7
	v_cmp_ne_u32_e32 vcc, s71, v3
	v_mov_b32_e32 v1, 0x7f800001
	s_and_saveexec_b64 s[60:61], vcc
	s_cbranch_execz .LBB4_3386
; %bb.3385:                             ;   in Loop: Header=BB4_2615 Depth=2
	v_and_b32_e32 v1, 7, v2
	v_ffbh_u32_e32 v6, v1
	v_min_u32_e32 v8, 32, v6
	v_subrev_u32_e32 v6, 28, v8
	v_lshlrev_b64 v[6:7], v6, v[2:3]
	v_lshrrev_b32_e32 v4, 3, v3
	v_sub_u32_e32 v7, 29, v8
	v_and_b32_e32 v6, 7, v6
	v_cmp_gt_u32_e32 vcc, 8, v3
	v_cndmask_b32_e32 v3, v4, v7, vcc
	v_cndmask_b32_e32 v1, v1, v6, vcc
	v_lshlrev_b32_e32 v4, 24, v2
	v_lshlrev_b32_e32 v1, 20, v1
	v_and_b32_e32 v4, 0x80000000, v4
	v_lshl_add_u32 v3, v3, 23, v51
	v_or3_b32 v1, v4, v3, v1
.LBB4_3386:                             ;   in Loop: Header=BB4_2615 Depth=2
	s_or_b64 exec, exec, s[60:61]
.LBB4_3387:                             ;   in Loop: Header=BB4_2615 Depth=2
	s_or_b64 exec, exec, s[58:59]
.LBB4_3388:                             ;   in Loop: Header=BB4_2615 Depth=2
	s_or_b64 exec, exec, s[56:57]
	v_max_f32_e32 v1, v1, v1
	v_max_f32_e32 v0, v0, v0
	;; [unrolled: 1-line block ×3, first 2 shown]
	s_branch .LBB4_3403
.LBB4_3389:                             ;   in Loop: Header=BB4_2615 Depth=2
                                        ; implicit-def: $vgpr1
	s_cbranch_execz .LBB4_3403
; %bb.3390:                             ;   in Loop: Header=BB4_2615 Depth=2
	v_mov_b32_e32 v1, 0
	v_mov_b32_e32 v0, 0
	s_and_saveexec_b64 s[56:57], s[20:21]
	s_cbranch_execz .LBB4_3396
; %bb.3391:                             ;   in Loop: Header=BB4_2615 Depth=2
	v_cmp_ne_u32_e32 vcc, s69, v18
	v_bfrev_b32_e32 v0, 1
	s_and_saveexec_b64 s[20:21], vcc
	s_cbranch_execz .LBB4_3395
; %bb.3392:                             ;   in Loop: Header=BB4_2615 Depth=2
	v_bfe_u32 v3, v14, 24, 7
	v_cmp_ne_u32_e32 vcc, s71, v3
	v_mov_b32_e32 v0, 0x7f800001
	s_and_saveexec_b64 s[58:59], vcc
	s_cbranch_execz .LBB4_3394
; %bb.3393:                             ;   in Loop: Header=BB4_2615 Depth=2
	v_and_b32_e32 v0, 7, v18
	v_ffbh_u32_e32 v6, v0
	v_min_u32_e32 v8, 32, v6
	v_subrev_u32_e32 v6, 28, v8
	v_lshlrev_b64 v[6:7], v6, v[18:19]
	v_lshrrev_b32_e32 v4, 3, v3
	v_sub_u32_e32 v7, 29, v8
	v_and_b32_e32 v6, 7, v6
	v_cmp_gt_u32_e32 vcc, 8, v3
	v_cndmask_b32_e32 v3, v4, v7, vcc
	v_cndmask_b32_e32 v0, v0, v6, vcc
	v_lshlrev_b32_e32 v4, 24, v18
	v_lshlrev_b32_e32 v0, 20, v0
	v_and_b32_e32 v4, 0x80000000, v4
	v_lshl_add_u32 v3, v3, 23, v51
	v_or3_b32 v0, v4, v3, v0
.LBB4_3394:                             ;   in Loop: Header=BB4_2615 Depth=2
	s_or_b64 exec, exec, s[58:59]
.LBB4_3395:                             ;   in Loop: Header=BB4_2615 Depth=2
	s_or_b64 exec, exec, s[20:21]
.LBB4_3396:                             ;   in Loop: Header=BB4_2615 Depth=2
	s_or_b64 exec, exec, s[56:57]
	v_cmp_lt_u32_e32 vcc, s45, v10
	s_and_saveexec_b64 s[20:21], vcc
	s_cbranch_execz .LBB4_3402
; %bb.3397:                             ;   in Loop: Header=BB4_2615 Depth=2
	v_cmp_ne_u32_e32 vcc, s69, v2
	v_bfrev_b32_e32 v1, 1
	s_and_saveexec_b64 s[56:57], vcc
	s_cbranch_execz .LBB4_3401
; %bb.3398:                             ;   in Loop: Header=BB4_2615 Depth=2
	v_bfe_u32 v3, v10, 24, 7
	v_cmp_ne_u32_e32 vcc, s71, v3
	v_mov_b32_e32 v1, 0x7f800001
	s_and_saveexec_b64 s[58:59], vcc
	s_cbranch_execz .LBB4_3400
; %bb.3399:                             ;   in Loop: Header=BB4_2615 Depth=2
	v_and_b32_e32 v1, 7, v2
	v_ffbh_u32_e32 v6, v1
	v_min_u32_e32 v8, 32, v6
	v_subrev_u32_e32 v6, 28, v8
	v_lshlrev_b64 v[6:7], v6, v[2:3]
	v_lshrrev_b32_e32 v4, 3, v3
	v_sub_u32_e32 v7, 29, v8
	v_and_b32_e32 v6, 7, v6
	v_cmp_gt_u32_e32 vcc, 8, v3
	v_cndmask_b32_e32 v3, v4, v7, vcc
	v_cndmask_b32_e32 v1, v1, v6, vcc
	v_lshlrev_b32_e32 v2, 24, v2
	v_lshlrev_b32_e32 v1, 20, v1
	v_and_b32_e32 v2, 0x80000000, v2
	v_lshl_add_u32 v3, v3, 23, v51
	v_or3_b32 v1, v2, v3, v1
.LBB4_3400:                             ;   in Loop: Header=BB4_2615 Depth=2
	s_or_b64 exec, exec, s[58:59]
.LBB4_3401:                             ;   in Loop: Header=BB4_2615 Depth=2
	s_or_b64 exec, exec, s[56:57]
.LBB4_3402:                             ;   in Loop: Header=BB4_2615 Depth=2
	s_or_b64 exec, exec, s[20:21]
	v_max_f32_e32 v1, v1, v1
	v_max_f32_e32 v0, v0, v0
	v_min_f32_e32 v1, v0, v1
.LBB4_3403:                             ;   in Loop: Header=BB4_2615 Depth=2
	v_and_b32_sdwa v0, v1, s69 dst_sel:DWORD dst_unused:UNUSED_PAD src0_sel:BYTE_3 src1_sel:DWORD
	v_and_b32_e32 v2, 0x7f800000, v1
	v_mov_b32_e32 v3, v53
	v_and_b32_e32 v52, 0x7fffff, v1
	v_or_b32_e32 v54, 0x7e, v0
	v_cmp_ne_u64_e32 vcc, s[40:41], v[2:3]
	s_and_saveexec_b64 s[20:21], vcc
	s_xor_b64 s[56:57], exec, s[20:21]
	s_cbranch_execz .LBB4_3413
; %bb.3404:                             ;   in Loop: Header=BB4_2615 Depth=2
	v_and_b32_e32 v2, 0x7fffffff, v1
	v_mov_b32_e32 v3, v53
	v_cmp_gt_u64_e32 vcc, s[42:43], v[2:3]
	s_and_saveexec_b64 s[58:59], vcc
	s_cbranch_execz .LBB4_3412
; %bb.3405:                             ;   in Loop: Header=BB4_2615 Depth=2
	v_cmp_ne_u32_e32 vcc, 0, v1
	v_mov_b32_e32 v54, 0
	s_and_saveexec_b64 s[60:61], vcc
	s_cbranch_execz .LBB4_3411
; %bb.3406:                             ;   in Loop: Header=BB4_2615 Depth=2
	v_bfe_u32 v1, v1, 23, 8
	v_sub_u32_e32 v3, 0x79, v1
	v_cmp_gt_u32_e32 vcc, s73, v1
	v_add_u32_e32 v2, 0xffffff81, v1
	v_cndmask_b32_e32 v3, 0, v3, vcc
	v_cmp_eq_u32_e32 vcc, 0, v1
	v_mov_b32_e32 v1, 0xffffff82
	v_cndmask_b32_e32 v1, v2, v1, vcc
	v_mov_b32_e32 v2, 0x78
	v_or_b32_e32 v4, 0x800000, v52
	v_cndmask_b32_e32 v18, v3, v2, vcc
	v_cndmask_b32_e32 v52, v4, v52, vcc
	v_add_u32_e32 v2, 20, v18
	v_lshlrev_b64 v[2:3], v2, -1
	v_add_u32_e32 v4, 19, v18
	v_lshrrev_b64 v[8:9], v18, v[52:53]
	v_not_b32_e32 v3, v3
	v_not_b32_e32 v2, v2
	v_lshlrev_b64 v[6:7], v4, 1
	v_lshrrev_b32_e32 v4, 23, v8
	v_and_b32_e32 v3, 0, v3
	v_and_b32_e32 v2, v52, v2
	v_add3_u32 v19, v18, v1, v4
	v_bfe_u32 v1, v8, 20, 1
	v_add_u32_e32 v1, -1, v1
	v_cmp_eq_u64_e32 vcc, v[2:3], v[6:7]
	v_cndmask_b32_e32 v1, 0, v1, vcc
	v_add_u32_e32 v1, v1, v8
	v_and_b32_e32 v1, 0xfffff, v1
	v_add_co_u32_e32 v2, vcc, v1, v8
	v_add_u32_e32 v18, 6, v19
	v_addc_co_u32_e32 v3, vcc, 0, v9, vcc
	v_cmp_ne_u32_e32 vcc, 0, v18
                                        ; implicit-def: $vgpr1
	s_and_saveexec_b64 s[20:21], vcc
	s_xor_b64 s[20:21], exec, s[20:21]
; %bb.3407:                             ;   in Loop: Header=BB4_2615 Depth=2
	v_cmp_lt_u64_e32 vcc, s[46:47], v[2:3]
	v_add_u32_e32 v1, 7, v19
	v_cndmask_b32_e64 v4, 0, 1, vcc
	v_cndmask_b32_e32 v1, v18, v1, vcc
	v_lshrrev_b64 v[2:3], v4, v[2:3]
; %bb.3408:                             ;   in Loop: Header=BB4_2615 Depth=2
	s_andn2_saveexec_b64 s[20:21], s[20:21]
; %bb.3409:                             ;   in Loop: Header=BB4_2615 Depth=2
	v_bfe_u32 v1, v2, 23, 1
; %bb.3410:                             ;   in Loop: Header=BB4_2615 Depth=2
	s_or_b64 exec, exec, s[20:21]
	v_lshrrev_b64 v[2:3], 20, v[2:3]
	v_cmp_gt_i32_e32 vcc, 16, v1
	v_cndmask_b32_e32 v3, 0, v3, vcc
	v_cndmask_b32_e32 v2, 7, v2, vcc
	v_cmp_eq_u32_e32 vcc, 0, v1
	v_min_i32_e32 v1, 15, v1
	v_cmp_eq_u64_e64 s[20:21], 0, v[2:3]
	v_lshlrev_b32_e32 v1, 3, v1
	v_and_or_b32 v1, v2, 7, v1
	s_and_b64 s[20:21], vcc, s[20:21]
	v_cndmask_b32_e64 v1, v1, 0, s[20:21]
	v_or_b32_e32 v54, v1, v0
.LBB4_3411:                             ;   in Loop: Header=BB4_2615 Depth=2
	s_or_b64 exec, exec, s[60:61]
.LBB4_3412:                             ;   in Loop: Header=BB4_2615 Depth=2
	s_or_b64 exec, exec, s[58:59]
                                        ; implicit-def: $vgpr1
.LBB4_3413:                             ;   in Loop: Header=BB4_2615 Depth=2
	s_andn2_saveexec_b64 s[20:21], s[56:57]
; %bb.3414:                             ;   in Loop: Header=BB4_2615 Depth=2
	v_or_b32_sdwa v0, v1, s71 dst_sel:DWORD dst_unused:UNUSED_PAD src0_sel:BYTE_3 src1_sel:DWORD
	v_cmp_eq_u64_e32 vcc, 0, v[52:53]
	v_cndmask_b32_e32 v54, v0, v54, vcc
; %bb.3415:                             ;   in Loop: Header=BB4_2615 Depth=2
	s_or_b64 exec, exec, s[20:21]
	v_mov_b32_e32 v52, v15
	v_mov_b32_e32 v2, v11
	;; [unrolled: 1-line block ×3, first 2 shown]
	s_and_b64 vcc, exec, s[18:19]
	v_cmp_ne_u16_sdwa s[20:21], v15, v53 src0_sel:BYTE_0 src1_sel:DWORD
	s_cbranch_vccnz .LBB4_3429
; %bb.3416:                             ;   in Loop: Header=BB4_2615 Depth=2
	v_mov_b32_e32 v1, 0
	v_mov_b32_e32 v0, 0
	s_and_saveexec_b64 s[56:57], s[20:21]
	s_cbranch_execz .LBB4_3422
; %bb.3417:                             ;   in Loop: Header=BB4_2615 Depth=2
	v_cmp_ne_u16_sdwa vcc, v15, s69 src0_sel:BYTE_0 src1_sel:DWORD
	v_bfrev_b32_e32 v0, 1
	s_and_saveexec_b64 s[58:59], vcc
	s_cbranch_execz .LBB4_3421
; %bb.3418:                             ;   in Loop: Header=BB4_2615 Depth=2
	v_and_b32_e32 v4, 0x7f, v15
	v_cmp_ne_u32_e32 vcc, s71, v4
	v_mov_b32_e32 v0, 0x7f800001
	s_and_saveexec_b64 s[60:61], vcc
	s_cbranch_execz .LBB4_3420
; %bb.3419:                             ;   in Loop: Header=BB4_2615 Depth=2
	v_and_b32_e32 v0, 7, v15
	v_ffbh_u32_e32 v0, v0
	v_min_u32_e32 v0, 32, v0
	v_subrev_u32_e32 v7, 28, v0
	v_cmp_gt_u32_e32 vcc, 8, v4
	v_lshrrev_b32_e32 v6, 3, v4
	v_sub_u32_e32 v0, 29, v0
	v_cndmask_b32_e32 v4, 0, v7, vcc
	v_cndmask_b32_e32 v0, v6, v0, vcc
	v_lshlrev_b64 v[6:7], v4, v[52:53]
	v_lshlrev_b32_e32 v4, 20, v6
	v_lshlrev_b32_e32 v6, 24, v52
	v_and_b32_e32 v4, 0x700000, v4
	v_and_b32_e32 v6, 0x80000000, v6
	v_lshl_add_u32 v0, v0, 23, v51
	v_or3_b32 v0, v6, v0, v4
.LBB4_3420:                             ;   in Loop: Header=BB4_2615 Depth=2
	s_or_b64 exec, exec, s[60:61]
.LBB4_3421:                             ;   in Loop: Header=BB4_2615 Depth=2
	s_or_b64 exec, exec, s[58:59]
.LBB4_3422:                             ;   in Loop: Header=BB4_2615 Depth=2
	s_or_b64 exec, exec, s[56:57]
	v_cmp_ne_u16_sdwa vcc, v11, v53 src0_sel:BYTE_0 src1_sel:DWORD
	s_and_saveexec_b64 s[56:57], vcc
	s_cbranch_execz .LBB4_3428
; %bb.3423:                             ;   in Loop: Header=BB4_2615 Depth=2
	v_cmp_ne_u16_sdwa vcc, v11, s69 src0_sel:BYTE_0 src1_sel:DWORD
	v_bfrev_b32_e32 v1, 1
	s_and_saveexec_b64 s[58:59], vcc
	s_cbranch_execz .LBB4_3427
; %bb.3424:                             ;   in Loop: Header=BB4_2615 Depth=2
	v_and_b32_e32 v4, 0x7f, v11
	v_cmp_ne_u32_e32 vcc, s71, v4
	v_mov_b32_e32 v1, 0x7f800001
	s_and_saveexec_b64 s[60:61], vcc
	s_cbranch_execz .LBB4_3426
; %bb.3425:                             ;   in Loop: Header=BB4_2615 Depth=2
	v_and_b32_e32 v1, 7, v11
	v_ffbh_u32_e32 v1, v1
	v_min_u32_e32 v1, 32, v1
	v_subrev_u32_e32 v7, 28, v1
	v_cmp_gt_u32_e32 vcc, 8, v4
	v_lshrrev_b32_e32 v6, 3, v4
	v_sub_u32_e32 v1, 29, v1
	v_cndmask_b32_e32 v4, 0, v7, vcc
	v_cndmask_b32_e32 v1, v6, v1, vcc
	v_lshlrev_b64 v[6:7], v4, v[2:3]
	v_lshlrev_b32_e32 v4, 20, v6
	v_lshlrev_b32_e32 v6, 24, v2
	v_and_b32_e32 v4, 0x700000, v4
	v_and_b32_e32 v6, 0x80000000, v6
	v_lshl_add_u32 v1, v1, 23, v51
	v_or3_b32 v1, v6, v1, v4
.LBB4_3426:                             ;   in Loop: Header=BB4_2615 Depth=2
	s_or_b64 exec, exec, s[60:61]
.LBB4_3427:                             ;   in Loop: Header=BB4_2615 Depth=2
	s_or_b64 exec, exec, s[58:59]
.LBB4_3428:                             ;   in Loop: Header=BB4_2615 Depth=2
	s_or_b64 exec, exec, s[56:57]
	v_max_f32_e32 v1, v1, v1
	v_max_f32_e32 v0, v0, v0
	v_max_f32_e32 v20, v0, v1
	s_branch .LBB4_3443
.LBB4_3429:                             ;   in Loop: Header=BB4_2615 Depth=2
                                        ; implicit-def: $vgpr20
	s_cbranch_execz .LBB4_3443
; %bb.3430:                             ;   in Loop: Header=BB4_2615 Depth=2
	v_mov_b32_e32 v1, 0
	v_mov_b32_e32 v0, 0
	s_and_saveexec_b64 s[56:57], s[20:21]
	s_cbranch_execz .LBB4_3436
; %bb.3431:                             ;   in Loop: Header=BB4_2615 Depth=2
	v_cmp_ne_u16_sdwa vcc, v15, s69 src0_sel:BYTE_0 src1_sel:DWORD
	v_bfrev_b32_e32 v0, 1
	s_and_saveexec_b64 s[20:21], vcc
	s_cbranch_execz .LBB4_3435
; %bb.3432:                             ;   in Loop: Header=BB4_2615 Depth=2
	v_and_b32_e32 v4, 0x7f, v15
	v_cmp_ne_u32_e32 vcc, s71, v4
	v_mov_b32_e32 v0, 0x7f800001
	s_and_saveexec_b64 s[58:59], vcc
	s_cbranch_execz .LBB4_3434
; %bb.3433:                             ;   in Loop: Header=BB4_2615 Depth=2
	v_and_b32_e32 v0, 7, v15
	v_ffbh_u32_e32 v0, v0
	v_min_u32_e32 v0, 32, v0
	v_subrev_u32_e32 v7, 28, v0
	v_cmp_gt_u32_e32 vcc, 8, v4
	v_lshrrev_b32_e32 v6, 3, v4
	v_sub_u32_e32 v0, 29, v0
	v_cndmask_b32_e32 v4, 0, v7, vcc
	v_cndmask_b32_e32 v0, v6, v0, vcc
	v_lshlrev_b64 v[6:7], v4, v[52:53]
	v_lshlrev_b32_e32 v4, 20, v6
	v_lshlrev_b32_e32 v6, 24, v52
	v_and_b32_e32 v4, 0x700000, v4
	v_and_b32_e32 v6, 0x80000000, v6
	v_lshl_add_u32 v0, v0, 23, v51
	v_or3_b32 v0, v6, v0, v4
.LBB4_3434:                             ;   in Loop: Header=BB4_2615 Depth=2
	s_or_b64 exec, exec, s[58:59]
.LBB4_3435:                             ;   in Loop: Header=BB4_2615 Depth=2
	s_or_b64 exec, exec, s[20:21]
.LBB4_3436:                             ;   in Loop: Header=BB4_2615 Depth=2
	s_or_b64 exec, exec, s[56:57]
	v_cmp_ne_u16_sdwa vcc, v11, v53 src0_sel:BYTE_0 src1_sel:DWORD
	s_and_saveexec_b64 s[20:21], vcc
	s_cbranch_execz .LBB4_3442
; %bb.3437:                             ;   in Loop: Header=BB4_2615 Depth=2
	v_cmp_ne_u16_sdwa vcc, v11, s69 src0_sel:BYTE_0 src1_sel:DWORD
	v_bfrev_b32_e32 v1, 1
	s_and_saveexec_b64 s[56:57], vcc
	s_cbranch_execz .LBB4_3441
; %bb.3438:                             ;   in Loop: Header=BB4_2615 Depth=2
	v_and_b32_e32 v4, 0x7f, v11
	v_cmp_ne_u32_e32 vcc, s71, v4
	v_mov_b32_e32 v1, 0x7f800001
	s_and_saveexec_b64 s[58:59], vcc
	s_cbranch_execz .LBB4_3440
; %bb.3439:                             ;   in Loop: Header=BB4_2615 Depth=2
	v_and_b32_e32 v1, 7, v11
	v_ffbh_u32_e32 v1, v1
	v_min_u32_e32 v1, 32, v1
	v_subrev_u32_e32 v7, 28, v1
	v_cmp_gt_u32_e32 vcc, 8, v4
	v_lshrrev_b32_e32 v6, 3, v4
	v_sub_u32_e32 v1, 29, v1
	v_cndmask_b32_e32 v4, 0, v7, vcc
	v_cndmask_b32_e32 v1, v6, v1, vcc
	v_lshlrev_b64 v[6:7], v4, v[2:3]
	v_lshlrev_b32_e32 v3, 20, v6
	v_lshlrev_b32_e32 v4, 24, v2
	v_and_b32_e32 v3, 0x700000, v3
	v_and_b32_e32 v4, 0x80000000, v4
	v_lshl_add_u32 v1, v1, 23, v51
	v_or3_b32 v1, v4, v1, v3
.LBB4_3440:                             ;   in Loop: Header=BB4_2615 Depth=2
	s_or_b64 exec, exec, s[58:59]
.LBB4_3441:                             ;   in Loop: Header=BB4_2615 Depth=2
	s_or_b64 exec, exec, s[56:57]
.LBB4_3442:                             ;   in Loop: Header=BB4_2615 Depth=2
	s_or_b64 exec, exec, s[20:21]
	v_max_f32_e32 v1, v1, v1
	v_max_f32_e32 v0, v0, v0
	v_min_f32_e32 v20, v0, v1
.LBB4_3443:                             ;   in Loop: Header=BB4_2615 Depth=2
	v_and_b32_sdwa v1, v20, s69 dst_sel:DWORD dst_unused:UNUSED_PAD src0_sel:BYTE_3 src1_sel:DWORD
	v_and_b32_e32 v6, 0x7f800000, v20
	v_mov_b32_e32 v7, v53
	v_and_b32_e32 v18, 0x7fffff, v20
	v_mov_b32_e32 v19, v53
	v_or_b32_e32 v0, 0x7e, v1
	v_cmp_ne_u64_e32 vcc, s[40:41], v[6:7]
	s_and_saveexec_b64 s[20:21], vcc
	s_xor_b64 s[56:57], exec, s[20:21]
	s_cbranch_execz .LBB4_3453
; %bb.3444:                             ;   in Loop: Header=BB4_2615 Depth=2
	v_and_b32_e32 v6, 0x7fffffff, v20
	v_mov_b32_e32 v7, v53
	v_cmp_gt_u64_e32 vcc, s[42:43], v[6:7]
	s_and_saveexec_b64 s[58:59], vcc
	s_cbranch_execz .LBB4_3452
; %bb.3445:                             ;   in Loop: Header=BB4_2615 Depth=2
	v_cmp_ne_u32_e32 vcc, 0, v20
	v_mov_b32_e32 v0, 0
	s_and_saveexec_b64 s[60:61], vcc
	s_cbranch_execz .LBB4_3451
; %bb.3446:                             ;   in Loop: Header=BB4_2615 Depth=2
	v_bfe_u32 v0, v20, 23, 8
	v_sub_u32_e32 v4, 0x79, v0
	v_cmp_gt_u32_e32 vcc, s73, v0
	v_add_u32_e32 v3, 0xffffff81, v0
	v_cndmask_b32_e32 v4, 0, v4, vcc
	v_cmp_eq_u32_e32 vcc, 0, v0
	v_mov_b32_e32 v0, 0xffffff82
	v_cndmask_b32_e32 v0, v3, v0, vcc
	v_mov_b32_e32 v3, 0x78
	v_cndmask_b32_e32 v3, v4, v3, vcc
	v_or_b32_e32 v6, 0x800000, v18
	v_add_u32_e32 v4, 20, v3
	v_cndmask_b32_e32 v18, v6, v18, vcc
	v_lshlrev_b64 v[6:7], v4, -1
	v_not_b32_e32 v4, v7
	v_not_b32_e32 v6, v6
	v_and_b32_e32 v7, 0, v4
	v_and_b32_e32 v6, v18, v6
	v_add_u32_e32 v4, 19, v3
	v_lshrrev_b64 v[18:19], v3, v[18:19]
	v_lshlrev_b64 v[8:9], v4, 1
	v_lshrrev_b32_e32 v4, 23, v18
	v_add3_u32 v20, v3, v0, v4
	v_bfe_u32 v0, v18, 20, 1
	v_add_u32_e32 v0, -1, v0
	v_cmp_eq_u64_e32 vcc, v[6:7], v[8:9]
	v_cndmask_b32_e32 v0, 0, v0, vcc
	v_add_u32_e32 v0, v0, v18
	v_and_b32_e32 v0, 0xfffff, v0
	v_add_co_u32_e32 v18, vcc, v0, v18
	v_add_u32_e32 v3, 6, v20
	v_addc_co_u32_e32 v19, vcc, 0, v19, vcc
	v_cmp_ne_u32_e32 vcc, 0, v3
                                        ; implicit-def: $vgpr0
	s_and_saveexec_b64 s[20:21], vcc
	s_xor_b64 s[20:21], exec, s[20:21]
; %bb.3447:                             ;   in Loop: Header=BB4_2615 Depth=2
	v_add_u32_e32 v0, 7, v20
	v_cmp_lt_u64_e32 vcc, s[46:47], v[18:19]
	v_cndmask_b32_e32 v0, v3, v0, vcc
	v_cndmask_b32_e64 v3, 0, 1, vcc
	v_lshrrev_b64 v[18:19], v3, v[18:19]
; %bb.3448:                             ;   in Loop: Header=BB4_2615 Depth=2
	s_andn2_saveexec_b64 s[20:21], s[20:21]
; %bb.3449:                             ;   in Loop: Header=BB4_2615 Depth=2
	v_bfe_u32 v0, v18, 23, 1
; %bb.3450:                             ;   in Loop: Header=BB4_2615 Depth=2
	s_or_b64 exec, exec, s[20:21]
	v_lshrrev_b64 v[6:7], 20, v[18:19]
	v_cmp_gt_i32_e32 vcc, 16, v0
	v_cndmask_b32_e32 v7, 0, v7, vcc
	v_cndmask_b32_e32 v6, 7, v6, vcc
	v_cmp_eq_u32_e32 vcc, 0, v0
	v_min_i32_e32 v0, 15, v0
	v_cmp_eq_u64_e64 s[20:21], 0, v[6:7]
	v_lshlrev_b32_e32 v0, 3, v0
	v_and_or_b32 v0, v6, 7, v0
	s_and_b64 s[20:21], vcc, s[20:21]
	v_cndmask_b32_e64 v0, v0, 0, s[20:21]
	v_or_b32_e32 v0, v0, v1
.LBB4_3451:                             ;   in Loop: Header=BB4_2615 Depth=2
	s_or_b64 exec, exec, s[60:61]
.LBB4_3452:                             ;   in Loop: Header=BB4_2615 Depth=2
	s_or_b64 exec, exec, s[58:59]
                                        ; implicit-def: $vgpr20
                                        ; implicit-def: $vgpr18_vgpr19
.LBB4_3453:                             ;   in Loop: Header=BB4_2615 Depth=2
	s_andn2_saveexec_b64 s[20:21], s[56:57]
; %bb.3454:                             ;   in Loop: Header=BB4_2615 Depth=2
	v_or_b32_sdwa v1, v20, s71 dst_sel:DWORD dst_unused:UNUSED_PAD src0_sel:BYTE_3 src1_sel:DWORD
	v_cmp_eq_u64_e32 vcc, 0, v[18:19]
	v_cndmask_b32_e32 v0, v1, v0, vcc
; %bb.3455:                             ;   in Loop: Header=BB4_2615 Depth=2
	s_or_b64 exec, exec, s[20:21]
	v_lshrrev_b16_e32 v20, 8, v52
	v_lshrrev_b16_e32 v18, 8, v2
	s_and_b64 vcc, exec, s[18:19]
	v_cmp_ne_u16_e64 s[20:21], 0, v20
	s_cbranch_vccnz .LBB4_3469
; %bb.3456:                             ;   in Loop: Header=BB4_2615 Depth=2
	v_mov_b32_e32 v3, 0
	v_mov_b32_e32 v1, 0
	s_and_saveexec_b64 s[56:57], s[20:21]
	s_cbranch_execz .LBB4_3462
; %bb.3457:                             ;   in Loop: Header=BB4_2615 Depth=2
	v_cmp_ne_u16_e32 vcc, s69, v20
	v_bfrev_b32_e32 v1, 1
	s_and_saveexec_b64 s[58:59], vcc
	s_cbranch_execz .LBB4_3461
; %bb.3458:                             ;   in Loop: Header=BB4_2615 Depth=2
	v_and_b32_e32 v4, 0x7f, v20
	v_cmp_ne_u32_e32 vcc, s71, v4
	v_mov_b32_e32 v1, 0x7f800001
	s_and_saveexec_b64 s[60:61], vcc
	s_cbranch_execz .LBB4_3460
; %bb.3459:                             ;   in Loop: Header=BB4_2615 Depth=2
	v_and_b32_e32 v1, 7, v20
	v_ffbh_u32_e32 v6, v1
	v_min_u32_e32 v9, 32, v6
	v_subrev_u32_e32 v6, 28, v9
	v_lshlrev_b64 v[6:7], v6, v[20:21]
	v_lshrrev_b32_e32 v8, 3, v4
	v_sub_u32_e32 v7, 29, v9
	v_and_b32_e32 v6, 7, v6
	v_cmp_gt_u32_e32 vcc, 8, v4
	v_cndmask_b32_e32 v4, v8, v7, vcc
	v_cndmask_b32_e32 v1, v1, v6, vcc
	v_lshlrev_b32_e32 v6, 16, v52
	v_lshlrev_b32_e32 v1, 20, v1
	v_and_b32_e32 v6, 0x80000000, v6
	v_lshl_add_u32 v4, v4, 23, v51
	v_or3_b32 v1, v6, v4, v1
.LBB4_3460:                             ;   in Loop: Header=BB4_2615 Depth=2
	s_or_b64 exec, exec, s[60:61]
.LBB4_3461:                             ;   in Loop: Header=BB4_2615 Depth=2
	s_or_b64 exec, exec, s[58:59]
.LBB4_3462:                             ;   in Loop: Header=BB4_2615 Depth=2
	s_or_b64 exec, exec, s[56:57]
	v_cmp_ne_u16_e32 vcc, 0, v18
	s_and_saveexec_b64 s[56:57], vcc
	s_cbranch_execz .LBB4_3468
; %bb.3463:                             ;   in Loop: Header=BB4_2615 Depth=2
	v_cmp_ne_u16_e32 vcc, s69, v18
	v_bfrev_b32_e32 v3, 1
	s_and_saveexec_b64 s[58:59], vcc
	s_cbranch_execz .LBB4_3467
; %bb.3464:                             ;   in Loop: Header=BB4_2615 Depth=2
	v_and_b32_e32 v4, 0x7f, v18
	v_cmp_ne_u32_e32 vcc, s71, v4
	v_mov_b32_e32 v3, 0x7f800001
	s_and_saveexec_b64 s[60:61], vcc
	s_cbranch_execz .LBB4_3466
; %bb.3465:                             ;   in Loop: Header=BB4_2615 Depth=2
	v_and_b32_e32 v3, 7, v18
	v_ffbh_u32_e32 v6, v3
	v_min_u32_e32 v9, 32, v6
	v_subrev_u32_e32 v6, 28, v9
	v_lshlrev_b64 v[6:7], v6, v[18:19]
	v_lshrrev_b32_e32 v8, 3, v4
	v_sub_u32_e32 v7, 29, v9
	v_and_b32_e32 v6, 7, v6
	v_cmp_gt_u32_e32 vcc, 8, v4
	v_cndmask_b32_e32 v4, v8, v7, vcc
	v_cndmask_b32_e32 v3, v3, v6, vcc
	v_lshlrev_b32_e32 v6, 16, v2
	v_lshlrev_b32_e32 v3, 20, v3
	v_and_b32_e32 v6, 0x80000000, v6
	v_lshl_add_u32 v4, v4, 23, v51
	v_or3_b32 v3, v6, v4, v3
.LBB4_3466:                             ;   in Loop: Header=BB4_2615 Depth=2
	s_or_b64 exec, exec, s[60:61]
.LBB4_3467:                             ;   in Loop: Header=BB4_2615 Depth=2
	s_or_b64 exec, exec, s[58:59]
.LBB4_3468:                             ;   in Loop: Header=BB4_2615 Depth=2
	s_or_b64 exec, exec, s[56:57]
	v_max_f32_e32 v3, v3, v3
	v_max_f32_e32 v1, v1, v1
	;; [unrolled: 1-line block ×3, first 2 shown]
	s_branch .LBB4_3483
.LBB4_3469:                             ;   in Loop: Header=BB4_2615 Depth=2
                                        ; implicit-def: $vgpr3
	s_cbranch_execz .LBB4_3483
; %bb.3470:                             ;   in Loop: Header=BB4_2615 Depth=2
	v_mov_b32_e32 v3, 0
	v_mov_b32_e32 v1, 0
	s_and_saveexec_b64 s[56:57], s[20:21]
	s_cbranch_execz .LBB4_3476
; %bb.3471:                             ;   in Loop: Header=BB4_2615 Depth=2
	v_cmp_ne_u16_e32 vcc, s69, v20
	v_bfrev_b32_e32 v1, 1
	s_and_saveexec_b64 s[20:21], vcc
	s_cbranch_execz .LBB4_3475
; %bb.3472:                             ;   in Loop: Header=BB4_2615 Depth=2
	v_and_b32_e32 v4, 0x7f, v20
	v_cmp_ne_u32_e32 vcc, s71, v4
	v_mov_b32_e32 v1, 0x7f800001
	s_and_saveexec_b64 s[58:59], vcc
	s_cbranch_execz .LBB4_3474
; %bb.3473:                             ;   in Loop: Header=BB4_2615 Depth=2
	v_and_b32_e32 v1, 7, v20
	v_ffbh_u32_e32 v6, v1
	v_min_u32_e32 v9, 32, v6
	v_subrev_u32_e32 v6, 28, v9
	v_lshlrev_b64 v[6:7], v6, v[20:21]
	v_lshrrev_b32_e32 v8, 3, v4
	v_sub_u32_e32 v7, 29, v9
	v_and_b32_e32 v6, 7, v6
	v_cmp_gt_u32_e32 vcc, 8, v4
	v_cndmask_b32_e32 v4, v8, v7, vcc
	v_cndmask_b32_e32 v1, v1, v6, vcc
	v_lshlrev_b32_e32 v6, 16, v52
	v_lshlrev_b32_e32 v1, 20, v1
	v_and_b32_e32 v6, 0x80000000, v6
	v_lshl_add_u32 v4, v4, 23, v51
	v_or3_b32 v1, v6, v4, v1
.LBB4_3474:                             ;   in Loop: Header=BB4_2615 Depth=2
	s_or_b64 exec, exec, s[58:59]
.LBB4_3475:                             ;   in Loop: Header=BB4_2615 Depth=2
	s_or_b64 exec, exec, s[20:21]
.LBB4_3476:                             ;   in Loop: Header=BB4_2615 Depth=2
	s_or_b64 exec, exec, s[56:57]
	v_cmp_ne_u16_e32 vcc, 0, v18
	s_and_saveexec_b64 s[20:21], vcc
	s_cbranch_execz .LBB4_3482
; %bb.3477:                             ;   in Loop: Header=BB4_2615 Depth=2
	v_cmp_ne_u16_e32 vcc, s69, v18
	v_bfrev_b32_e32 v3, 1
	s_and_saveexec_b64 s[56:57], vcc
	s_cbranch_execz .LBB4_3481
; %bb.3478:                             ;   in Loop: Header=BB4_2615 Depth=2
	v_and_b32_e32 v4, 0x7f, v18
	v_cmp_ne_u32_e32 vcc, s71, v4
	v_mov_b32_e32 v3, 0x7f800001
	s_and_saveexec_b64 s[58:59], vcc
	s_cbranch_execz .LBB4_3480
; %bb.3479:                             ;   in Loop: Header=BB4_2615 Depth=2
	v_and_b32_e32 v3, 7, v18
	v_ffbh_u32_e32 v6, v3
	v_min_u32_e32 v9, 32, v6
	v_subrev_u32_e32 v6, 28, v9
	v_lshlrev_b64 v[6:7], v6, v[18:19]
	v_lshrrev_b32_e32 v8, 3, v4
	v_sub_u32_e32 v7, 29, v9
	v_and_b32_e32 v6, 7, v6
	v_cmp_gt_u32_e32 vcc, 8, v4
	v_cndmask_b32_e32 v4, v8, v7, vcc
	v_cndmask_b32_e32 v3, v3, v6, vcc
	v_lshlrev_b32_e32 v2, 16, v2
	v_lshlrev_b32_e32 v3, 20, v3
	v_and_b32_e32 v2, 0x80000000, v2
	v_lshl_add_u32 v4, v4, 23, v51
	v_or3_b32 v3, v2, v4, v3
.LBB4_3480:                             ;   in Loop: Header=BB4_2615 Depth=2
	s_or_b64 exec, exec, s[58:59]
.LBB4_3481:                             ;   in Loop: Header=BB4_2615 Depth=2
	s_or_b64 exec, exec, s[56:57]
.LBB4_3482:                             ;   in Loop: Header=BB4_2615 Depth=2
	s_or_b64 exec, exec, s[20:21]
	v_max_f32_e32 v2, v3, v3
	v_max_f32_e32 v1, v1, v1
	v_min_f32_e32 v3, v1, v2
.LBB4_3483:                             ;   in Loop: Header=BB4_2615 Depth=2
	v_and_b32_sdwa v1, v3, s69 dst_sel:DWORD dst_unused:UNUSED_PAD src0_sel:BYTE_3 src1_sel:DWORD
	v_and_b32_e32 v6, 0x7f800000, v3
	v_mov_b32_e32 v7, v53
	v_and_b32_e32 v52, 0x7fffff, v3
	v_or_b32_e32 v19, 0x7e, v1
	v_cmp_ne_u64_e32 vcc, s[40:41], v[6:7]
	s_and_saveexec_b64 s[20:21], vcc
	s_xor_b64 s[56:57], exec, s[20:21]
	s_cbranch_execz .LBB4_3493
; %bb.3484:                             ;   in Loop: Header=BB4_2615 Depth=2
	v_and_b32_e32 v6, 0x7fffffff, v3
	v_mov_b32_e32 v7, v53
	v_cmp_gt_u64_e32 vcc, s[42:43], v[6:7]
	s_and_saveexec_b64 s[58:59], vcc
	s_cbranch_execz .LBB4_3492
; %bb.3485:                             ;   in Loop: Header=BB4_2615 Depth=2
	v_cmp_ne_u32_e32 vcc, 0, v3
	v_mov_b32_e32 v19, 0
	s_and_saveexec_b64 s[60:61], vcc
	s_cbranch_execz .LBB4_3491
; %bb.3486:                             ;   in Loop: Header=BB4_2615 Depth=2
	v_bfe_u32 v2, v3, 23, 8
	v_sub_u32_e32 v4, 0x79, v2
	v_cmp_gt_u32_e32 vcc, s73, v2
	v_add_u32_e32 v3, 0xffffff81, v2
	v_cndmask_b32_e32 v4, 0, v4, vcc
	v_cmp_eq_u32_e32 vcc, 0, v2
	v_mov_b32_e32 v2, 0xffffff82
	v_cndmask_b32_e32 v18, v3, v2, vcc
	v_mov_b32_e32 v2, 0x78
	v_or_b32_e32 v6, 0x800000, v52
	v_cndmask_b32_e32 v4, v4, v2, vcc
	v_cndmask_b32_e32 v52, v6, v52, vcc
	v_add_u32_e32 v2, 20, v4
	v_lshlrev_b64 v[2:3], v2, -1
	v_lshrrev_b64 v[8:9], v4, v[52:53]
	v_not_b32_e32 v3, v3
	v_not_b32_e32 v2, v2
	v_add_u32_e32 v6, 19, v4
	v_lshrrev_b32_e32 v19, 23, v8
	v_and_b32_e32 v3, 0, v3
	v_and_b32_e32 v2, v52, v2
	v_lshlrev_b64 v[6:7], v6, 1
	v_add3_u32 v20, v4, v18, v19
	v_bfe_u32 v4, v8, 20, 1
	v_add_u32_e32 v4, -1, v4
	v_cmp_eq_u64_e32 vcc, v[2:3], v[6:7]
	v_cndmask_b32_e32 v2, 0, v4, vcc
	v_add_u32_e32 v2, v2, v8
	v_and_b32_e32 v2, 0xfffff, v2
	v_add_co_u32_e32 v2, vcc, v2, v8
	v_add_u32_e32 v19, 6, v20
	v_addc_co_u32_e32 v3, vcc, 0, v9, vcc
	v_cmp_ne_u32_e32 vcc, 0, v19
                                        ; implicit-def: $vgpr18
	s_and_saveexec_b64 s[20:21], vcc
	s_xor_b64 s[20:21], exec, s[20:21]
; %bb.3487:                             ;   in Loop: Header=BB4_2615 Depth=2
	v_add_u32_e32 v4, 7, v20
	v_cmp_lt_u64_e32 vcc, s[46:47], v[2:3]
	v_cndmask_b32_e32 v18, v19, v4, vcc
	v_cndmask_b32_e64 v4, 0, 1, vcc
	v_lshrrev_b64 v[2:3], v4, v[2:3]
; %bb.3488:                             ;   in Loop: Header=BB4_2615 Depth=2
	s_andn2_saveexec_b64 s[20:21], s[20:21]
; %bb.3489:                             ;   in Loop: Header=BB4_2615 Depth=2
	v_bfe_u32 v18, v2, 23, 1
; %bb.3490:                             ;   in Loop: Header=BB4_2615 Depth=2
	s_or_b64 exec, exec, s[20:21]
	v_lshrrev_b64 v[2:3], 20, v[2:3]
	v_cmp_gt_i32_e32 vcc, 16, v18
	v_cndmask_b32_e32 v3, 0, v3, vcc
	v_cndmask_b32_e32 v2, 7, v2, vcc
	v_cmp_eq_u64_e64 s[20:21], 0, v[2:3]
	v_min_i32_e32 v3, 15, v18
	v_cmp_eq_u32_e32 vcc, 0, v18
	v_lshlrev_b32_e32 v3, 3, v3
	v_and_or_b32 v2, v2, 7, v3
	s_and_b64 s[20:21], vcc, s[20:21]
	v_cndmask_b32_e64 v2, v2, 0, s[20:21]
	v_or_b32_e32 v19, v2, v1
.LBB4_3491:                             ;   in Loop: Header=BB4_2615 Depth=2
	s_or_b64 exec, exec, s[60:61]
.LBB4_3492:                             ;   in Loop: Header=BB4_2615 Depth=2
	s_or_b64 exec, exec, s[58:59]
                                        ; implicit-def: $vgpr3
.LBB4_3493:                             ;   in Loop: Header=BB4_2615 Depth=2
	s_andn2_saveexec_b64 s[20:21], s[56:57]
; %bb.3494:                             ;   in Loop: Header=BB4_2615 Depth=2
	v_or_b32_sdwa v1, v3, s71 dst_sel:DWORD dst_unused:UNUSED_PAD src0_sel:BYTE_3 src1_sel:DWORD
	v_cmp_eq_u64_e32 vcc, 0, v[52:53]
	v_cndmask_b32_e32 v19, v1, v19, vcc
; %bb.3495:                             ;   in Loop: Header=BB4_2615 Depth=2
	s_or_b64 exec, exec, s[20:21]
	v_lshrrev_b32_e32 v18, 16, v15
	v_lshrrev_b32_e32 v2, 16, v11
	s_and_b64 vcc, exec, s[18:19]
	v_cmp_ne_u16_sdwa s[20:21], v18, v53 src0_sel:BYTE_0 src1_sel:DWORD
	s_cbranch_vccnz .LBB4_3509
; %bb.3496:                             ;   in Loop: Header=BB4_2615 Depth=2
	v_mov_b32_e32 v3, 0
	v_mov_b32_e32 v1, 0
	s_and_saveexec_b64 s[56:57], s[20:21]
	s_cbranch_execz .LBB4_3502
; %bb.3497:                             ;   in Loop: Header=BB4_2615 Depth=2
	v_cmp_ne_u16_sdwa vcc, v18, s69 src0_sel:BYTE_0 src1_sel:DWORD
	v_bfrev_b32_e32 v1, 1
	s_and_saveexec_b64 s[58:59], vcc
	s_cbranch_execz .LBB4_3501
; %bb.3498:                             ;   in Loop: Header=BB4_2615 Depth=2
	v_bfe_u32 v4, v15, 16, 7
	v_cmp_ne_u32_e32 vcc, s71, v4
	v_mov_b32_e32 v1, 0x7f800001
	s_and_saveexec_b64 s[60:61], vcc
	s_cbranch_execz .LBB4_3500
; %bb.3499:                             ;   in Loop: Header=BB4_2615 Depth=2
	v_and_b32_e32 v1, 7, v18
	v_ffbh_u32_e32 v6, v1
	v_min_u32_e32 v9, 32, v6
	v_subrev_u32_e32 v6, 28, v9
	v_lshlrev_b64 v[6:7], v6, v[18:19]
	v_lshrrev_b32_e32 v8, 3, v4
	v_sub_u32_e32 v7, 29, v9
	v_and_b32_e32 v6, 7, v6
	v_cmp_gt_u32_e32 vcc, 8, v4
	v_cndmask_b32_e32 v4, v8, v7, vcc
	v_cndmask_b32_e32 v1, v1, v6, vcc
	v_lshlrev_b32_e32 v6, 24, v18
	v_lshlrev_b32_e32 v1, 20, v1
	v_and_b32_e32 v6, 0x80000000, v6
	v_lshl_add_u32 v4, v4, 23, v51
	v_or3_b32 v1, v6, v4, v1
.LBB4_3500:                             ;   in Loop: Header=BB4_2615 Depth=2
	s_or_b64 exec, exec, s[60:61]
.LBB4_3501:                             ;   in Loop: Header=BB4_2615 Depth=2
	s_or_b64 exec, exec, s[58:59]
.LBB4_3502:                             ;   in Loop: Header=BB4_2615 Depth=2
	s_or_b64 exec, exec, s[56:57]
	v_cmp_ne_u16_sdwa vcc, v2, v53 src0_sel:BYTE_0 src1_sel:DWORD
	s_and_saveexec_b64 s[56:57], vcc
	s_cbranch_execz .LBB4_3508
; %bb.3503:                             ;   in Loop: Header=BB4_2615 Depth=2
	v_cmp_ne_u16_sdwa vcc, v2, s69 src0_sel:BYTE_0 src1_sel:DWORD
	v_bfrev_b32_e32 v3, 1
	s_and_saveexec_b64 s[58:59], vcc
	s_cbranch_execz .LBB4_3507
; %bb.3504:                             ;   in Loop: Header=BB4_2615 Depth=2
	v_bfe_u32 v4, v11, 16, 7
	v_cmp_ne_u32_e32 vcc, s71, v4
	v_mov_b32_e32 v3, 0x7f800001
	s_and_saveexec_b64 s[60:61], vcc
	s_cbranch_execz .LBB4_3506
; %bb.3505:                             ;   in Loop: Header=BB4_2615 Depth=2
	v_and_b32_e32 v3, 7, v2
	v_ffbh_u32_e32 v6, v3
	v_min_u32_e32 v9, 32, v6
	v_subrev_u32_e32 v6, 28, v9
	v_lshlrev_b64 v[6:7], v6, v[2:3]
	v_lshrrev_b32_e32 v8, 3, v4
	v_sub_u32_e32 v7, 29, v9
	v_and_b32_e32 v6, 7, v6
	v_cmp_gt_u32_e32 vcc, 8, v4
	v_cndmask_b32_e32 v4, v8, v7, vcc
	v_cndmask_b32_e32 v3, v3, v6, vcc
	v_lshlrev_b32_e32 v6, 24, v2
	v_lshlrev_b32_e32 v3, 20, v3
	v_and_b32_e32 v6, 0x80000000, v6
	v_lshl_add_u32 v4, v4, 23, v51
	v_or3_b32 v3, v6, v4, v3
.LBB4_3506:                             ;   in Loop: Header=BB4_2615 Depth=2
	s_or_b64 exec, exec, s[60:61]
.LBB4_3507:                             ;   in Loop: Header=BB4_2615 Depth=2
	s_or_b64 exec, exec, s[58:59]
.LBB4_3508:                             ;   in Loop: Header=BB4_2615 Depth=2
	s_or_b64 exec, exec, s[56:57]
	v_max_f32_e32 v3, v3, v3
	v_max_f32_e32 v1, v1, v1
	;; [unrolled: 1-line block ×3, first 2 shown]
	s_branch .LBB4_3523
.LBB4_3509:                             ;   in Loop: Header=BB4_2615 Depth=2
                                        ; implicit-def: $vgpr3
	s_cbranch_execz .LBB4_3523
; %bb.3510:                             ;   in Loop: Header=BB4_2615 Depth=2
	v_mov_b32_e32 v3, 0
	v_mov_b32_e32 v1, 0
	s_and_saveexec_b64 s[56:57], s[20:21]
	s_cbranch_execz .LBB4_3516
; %bb.3511:                             ;   in Loop: Header=BB4_2615 Depth=2
	v_cmp_ne_u16_sdwa vcc, v18, s69 src0_sel:BYTE_0 src1_sel:DWORD
	v_bfrev_b32_e32 v1, 1
	s_and_saveexec_b64 s[20:21], vcc
	s_cbranch_execz .LBB4_3515
; %bb.3512:                             ;   in Loop: Header=BB4_2615 Depth=2
	v_bfe_u32 v4, v15, 16, 7
	v_cmp_ne_u32_e32 vcc, s71, v4
	v_mov_b32_e32 v1, 0x7f800001
	s_and_saveexec_b64 s[58:59], vcc
	s_cbranch_execz .LBB4_3514
; %bb.3513:                             ;   in Loop: Header=BB4_2615 Depth=2
	v_and_b32_e32 v1, 7, v18
	v_ffbh_u32_e32 v6, v1
	v_min_u32_e32 v9, 32, v6
	v_subrev_u32_e32 v6, 28, v9
	v_lshlrev_b64 v[6:7], v6, v[18:19]
	v_lshrrev_b32_e32 v8, 3, v4
	v_sub_u32_e32 v7, 29, v9
	v_and_b32_e32 v6, 7, v6
	v_cmp_gt_u32_e32 vcc, 8, v4
	v_cndmask_b32_e32 v4, v8, v7, vcc
	v_cndmask_b32_e32 v1, v1, v6, vcc
	v_lshlrev_b32_e32 v6, 24, v18
	v_lshlrev_b32_e32 v1, 20, v1
	v_and_b32_e32 v6, 0x80000000, v6
	v_lshl_add_u32 v4, v4, 23, v51
	v_or3_b32 v1, v6, v4, v1
.LBB4_3514:                             ;   in Loop: Header=BB4_2615 Depth=2
	s_or_b64 exec, exec, s[58:59]
.LBB4_3515:                             ;   in Loop: Header=BB4_2615 Depth=2
	s_or_b64 exec, exec, s[20:21]
.LBB4_3516:                             ;   in Loop: Header=BB4_2615 Depth=2
	s_or_b64 exec, exec, s[56:57]
	v_cmp_ne_u16_sdwa vcc, v2, v53 src0_sel:BYTE_0 src1_sel:DWORD
	s_and_saveexec_b64 s[20:21], vcc
	s_cbranch_execz .LBB4_3522
; %bb.3517:                             ;   in Loop: Header=BB4_2615 Depth=2
	v_cmp_ne_u16_sdwa vcc, v2, s69 src0_sel:BYTE_0 src1_sel:DWORD
	v_bfrev_b32_e32 v3, 1
	s_and_saveexec_b64 s[56:57], vcc
	s_cbranch_execz .LBB4_3521
; %bb.3518:                             ;   in Loop: Header=BB4_2615 Depth=2
	v_bfe_u32 v4, v11, 16, 7
	v_cmp_ne_u32_e32 vcc, s71, v4
	v_mov_b32_e32 v3, 0x7f800001
	s_and_saveexec_b64 s[58:59], vcc
	s_cbranch_execz .LBB4_3520
; %bb.3519:                             ;   in Loop: Header=BB4_2615 Depth=2
	v_and_b32_e32 v3, 7, v2
	v_ffbh_u32_e32 v6, v3
	v_min_u32_e32 v9, 32, v6
	v_subrev_u32_e32 v6, 28, v9
	v_lshlrev_b64 v[6:7], v6, v[2:3]
	v_lshrrev_b32_e32 v8, 3, v4
	v_sub_u32_e32 v7, 29, v9
	v_and_b32_e32 v6, 7, v6
	v_cmp_gt_u32_e32 vcc, 8, v4
	v_cndmask_b32_e32 v4, v8, v7, vcc
	v_cndmask_b32_e32 v3, v3, v6, vcc
	v_lshlrev_b32_e32 v2, 24, v2
	v_lshlrev_b32_e32 v3, 20, v3
	v_and_b32_e32 v2, 0x80000000, v2
	v_lshl_add_u32 v4, v4, 23, v51
	v_or3_b32 v3, v2, v4, v3
.LBB4_3520:                             ;   in Loop: Header=BB4_2615 Depth=2
	s_or_b64 exec, exec, s[58:59]
.LBB4_3521:                             ;   in Loop: Header=BB4_2615 Depth=2
	s_or_b64 exec, exec, s[56:57]
.LBB4_3522:                             ;   in Loop: Header=BB4_2615 Depth=2
	s_or_b64 exec, exec, s[20:21]
	v_max_f32_e32 v2, v3, v3
	v_max_f32_e32 v1, v1, v1
	v_min_f32_e32 v3, v1, v2
.LBB4_3523:                             ;   in Loop: Header=BB4_2615 Depth=2
	v_and_b32_sdwa v1, v3, s69 dst_sel:DWORD dst_unused:UNUSED_PAD src0_sel:BYTE_3 src1_sel:DWORD
	v_and_b32_e32 v6, 0x7f800000, v3
	v_mov_b32_e32 v7, v53
	v_and_b32_e32 v52, 0x7fffff, v3
	v_or_b32_e32 v20, 0x7e, v1
	v_cmp_ne_u64_e32 vcc, s[40:41], v[6:7]
	s_and_saveexec_b64 s[20:21], vcc
	s_xor_b64 s[56:57], exec, s[20:21]
	s_cbranch_execz .LBB4_3533
; %bb.3524:                             ;   in Loop: Header=BB4_2615 Depth=2
	v_and_b32_e32 v6, 0x7fffffff, v3
	v_mov_b32_e32 v7, v53
	v_cmp_gt_u64_e32 vcc, s[42:43], v[6:7]
	s_and_saveexec_b64 s[58:59], vcc
	s_cbranch_execz .LBB4_3532
; %bb.3525:                             ;   in Loop: Header=BB4_2615 Depth=2
	v_cmp_ne_u32_e32 vcc, 0, v3
	v_mov_b32_e32 v20, 0
	s_and_saveexec_b64 s[60:61], vcc
	s_cbranch_execz .LBB4_3531
; %bb.3526:                             ;   in Loop: Header=BB4_2615 Depth=2
	v_bfe_u32 v2, v3, 23, 8
	v_sub_u32_e32 v4, 0x79, v2
	v_cmp_gt_u32_e32 vcc, s73, v2
	v_add_u32_e32 v3, 0xffffff81, v2
	v_cndmask_b32_e32 v4, 0, v4, vcc
	v_cmp_eq_u32_e32 vcc, 0, v2
	v_mov_b32_e32 v2, 0xffffff82
	v_cndmask_b32_e32 v18, v3, v2, vcc
	v_mov_b32_e32 v2, 0x78
	v_or_b32_e32 v6, 0x800000, v52
	v_cndmask_b32_e32 v4, v4, v2, vcc
	v_cndmask_b32_e32 v52, v6, v52, vcc
	v_add_u32_e32 v2, 20, v4
	v_lshlrev_b64 v[2:3], v2, -1
	v_lshrrev_b64 v[8:9], v4, v[52:53]
	v_not_b32_e32 v3, v3
	v_not_b32_e32 v2, v2
	v_add_u32_e32 v6, 19, v4
	v_lshrrev_b32_e32 v20, 23, v8
	v_and_b32_e32 v3, 0, v3
	v_and_b32_e32 v2, v52, v2
	v_lshlrev_b64 v[6:7], v6, 1
	v_add3_u32 v48, v4, v18, v20
	v_bfe_u32 v4, v8, 20, 1
	v_add_u32_e32 v4, -1, v4
	v_cmp_eq_u64_e32 vcc, v[2:3], v[6:7]
	v_cndmask_b32_e32 v2, 0, v4, vcc
	v_add_u32_e32 v2, v2, v8
	v_and_b32_e32 v2, 0xfffff, v2
	v_add_co_u32_e32 v2, vcc, v2, v8
	v_add_u32_e32 v20, 6, v48
	v_addc_co_u32_e32 v3, vcc, 0, v9, vcc
	v_cmp_ne_u32_e32 vcc, 0, v20
                                        ; implicit-def: $vgpr18
	s_and_saveexec_b64 s[20:21], vcc
	s_xor_b64 s[20:21], exec, s[20:21]
; %bb.3527:                             ;   in Loop: Header=BB4_2615 Depth=2
	v_add_u32_e32 v4, 7, v48
	v_cmp_lt_u64_e32 vcc, s[46:47], v[2:3]
	v_cndmask_b32_e32 v18, v20, v4, vcc
	v_cndmask_b32_e64 v4, 0, 1, vcc
	v_lshrrev_b64 v[2:3], v4, v[2:3]
; %bb.3528:                             ;   in Loop: Header=BB4_2615 Depth=2
	s_andn2_saveexec_b64 s[20:21], s[20:21]
; %bb.3529:                             ;   in Loop: Header=BB4_2615 Depth=2
	v_bfe_u32 v18, v2, 23, 1
; %bb.3530:                             ;   in Loop: Header=BB4_2615 Depth=2
	s_or_b64 exec, exec, s[20:21]
	v_lshrrev_b64 v[2:3], 20, v[2:3]
	v_cmp_gt_i32_e32 vcc, 16, v18
	v_cndmask_b32_e32 v3, 0, v3, vcc
	v_cndmask_b32_e32 v2, 7, v2, vcc
	v_cmp_eq_u64_e64 s[20:21], 0, v[2:3]
	v_min_i32_e32 v3, 15, v18
	v_lshlrev_b32_e32 v3, 3, v3
	v_cmp_eq_u32_e32 vcc, 0, v18
	v_and_b32_e32 v3, 0xf8, v3
	v_and_or_b32 v2, v2, 7, v3
	s_and_b64 s[20:21], vcc, s[20:21]
	v_cndmask_b32_e64 v2, v2, 0, s[20:21]
	v_or_b32_e32 v20, v2, v1
.LBB4_3531:                             ;   in Loop: Header=BB4_2615 Depth=2
	s_or_b64 exec, exec, s[60:61]
.LBB4_3532:                             ;   in Loop: Header=BB4_2615 Depth=2
	s_or_b64 exec, exec, s[58:59]
                                        ; implicit-def: $vgpr3
.LBB4_3533:                             ;   in Loop: Header=BB4_2615 Depth=2
	s_andn2_saveexec_b64 s[20:21], s[56:57]
; %bb.3534:                             ;   in Loop: Header=BB4_2615 Depth=2
	v_or_b32_sdwa v1, v3, s71 dst_sel:DWORD dst_unused:UNUSED_PAD src0_sel:BYTE_3 src1_sel:DWORD
	v_cmp_eq_u64_e32 vcc, 0, v[52:53]
	v_cndmask_b32_e32 v20, v1, v20, vcc
; %bb.3535:                             ;   in Loop: Header=BB4_2615 Depth=2
	s_or_b64 exec, exec, s[20:21]
	v_lshrrev_b32_e32 v18, 24, v15
	v_lshrrev_b32_e32 v2, 24, v11
	s_and_b64 vcc, exec, s[18:19]
	v_cmp_lt_u64_e64 s[20:21], s[44:45], v[14:15]
	s_cbranch_vccnz .LBB4_3549
; %bb.3536:                             ;   in Loop: Header=BB4_2615 Depth=2
	v_mov_b32_e32 v3, 0
	v_mov_b32_e32 v1, 0
	s_and_saveexec_b64 s[56:57], s[20:21]
	s_cbranch_execz .LBB4_3542
; %bb.3537:                             ;   in Loop: Header=BB4_2615 Depth=2
	v_cmp_ne_u32_e32 vcc, s69, v18
	v_bfrev_b32_e32 v1, 1
	s_and_saveexec_b64 s[58:59], vcc
	s_cbranch_execz .LBB4_3541
; %bb.3538:                             ;   in Loop: Header=BB4_2615 Depth=2
	v_bfe_u32 v4, v15, 24, 7
	v_cmp_ne_u32_e32 vcc, s71, v4
	v_mov_b32_e32 v1, 0x7f800001
	s_and_saveexec_b64 s[60:61], vcc
	s_cbranch_execz .LBB4_3540
; %bb.3539:                             ;   in Loop: Header=BB4_2615 Depth=2
	v_and_b32_e32 v1, 7, v18
	v_ffbh_u32_e32 v6, v1
	v_min_u32_e32 v9, 32, v6
	v_subrev_u32_e32 v6, 28, v9
	v_lshlrev_b64 v[6:7], v6, v[18:19]
	v_lshrrev_b32_e32 v8, 3, v4
	v_sub_u32_e32 v7, 29, v9
	v_and_b32_e32 v6, 7, v6
	v_cmp_gt_u32_e32 vcc, 8, v4
	v_cndmask_b32_e32 v4, v8, v7, vcc
	v_cndmask_b32_e32 v1, v1, v6, vcc
	v_lshlrev_b32_e32 v6, 24, v18
	v_lshlrev_b32_e32 v1, 20, v1
	v_and_b32_e32 v6, 0x80000000, v6
	v_lshl_add_u32 v4, v4, 23, v51
	v_or3_b32 v1, v6, v4, v1
.LBB4_3540:                             ;   in Loop: Header=BB4_2615 Depth=2
	s_or_b64 exec, exec, s[60:61]
.LBB4_3541:                             ;   in Loop: Header=BB4_2615 Depth=2
	s_or_b64 exec, exec, s[58:59]
.LBB4_3542:                             ;   in Loop: Header=BB4_2615 Depth=2
	s_or_b64 exec, exec, s[56:57]
	v_cmp_lt_u64_e32 vcc, s[44:45], v[10:11]
	s_and_saveexec_b64 s[56:57], vcc
	s_cbranch_execz .LBB4_3548
; %bb.3543:                             ;   in Loop: Header=BB4_2615 Depth=2
	v_cmp_ne_u32_e32 vcc, s69, v2
	v_bfrev_b32_e32 v3, 1
	s_and_saveexec_b64 s[58:59], vcc
	s_cbranch_execz .LBB4_3547
; %bb.3544:                             ;   in Loop: Header=BB4_2615 Depth=2
	v_bfe_u32 v4, v11, 24, 7
	v_cmp_ne_u32_e32 vcc, s71, v4
	v_mov_b32_e32 v3, 0x7f800001
	s_and_saveexec_b64 s[60:61], vcc
	s_cbranch_execz .LBB4_3546
; %bb.3545:                             ;   in Loop: Header=BB4_2615 Depth=2
	v_and_b32_e32 v3, 7, v2
	v_ffbh_u32_e32 v6, v3
	v_min_u32_e32 v9, 32, v6
	v_subrev_u32_e32 v6, 28, v9
	v_lshlrev_b64 v[6:7], v6, v[2:3]
	v_lshrrev_b32_e32 v8, 3, v4
	v_sub_u32_e32 v7, 29, v9
	v_and_b32_e32 v6, 7, v6
	v_cmp_gt_u32_e32 vcc, 8, v4
	v_cndmask_b32_e32 v4, v8, v7, vcc
	v_cndmask_b32_e32 v3, v3, v6, vcc
	v_lshlrev_b32_e32 v6, 24, v2
	v_lshlrev_b32_e32 v3, 20, v3
	v_and_b32_e32 v6, 0x80000000, v6
	v_lshl_add_u32 v4, v4, 23, v51
	v_or3_b32 v3, v6, v4, v3
.LBB4_3546:                             ;   in Loop: Header=BB4_2615 Depth=2
	s_or_b64 exec, exec, s[60:61]
.LBB4_3547:                             ;   in Loop: Header=BB4_2615 Depth=2
	s_or_b64 exec, exec, s[58:59]
.LBB4_3548:                             ;   in Loop: Header=BB4_2615 Depth=2
	s_or_b64 exec, exec, s[56:57]
	v_max_f32_e32 v3, v3, v3
	v_max_f32_e32 v1, v1, v1
	;; [unrolled: 1-line block ×3, first 2 shown]
	s_branch .LBB4_3563
.LBB4_3549:                             ;   in Loop: Header=BB4_2615 Depth=2
                                        ; implicit-def: $vgpr3
	s_cbranch_execz .LBB4_3563
; %bb.3550:                             ;   in Loop: Header=BB4_2615 Depth=2
	v_mov_b32_e32 v3, 0
	v_mov_b32_e32 v1, 0
	s_and_saveexec_b64 s[56:57], s[20:21]
	s_cbranch_execz .LBB4_3556
; %bb.3551:                             ;   in Loop: Header=BB4_2615 Depth=2
	v_cmp_ne_u32_e32 vcc, s69, v18
	v_bfrev_b32_e32 v1, 1
	s_and_saveexec_b64 s[20:21], vcc
	s_cbranch_execz .LBB4_3555
; %bb.3552:                             ;   in Loop: Header=BB4_2615 Depth=2
	v_bfe_u32 v4, v15, 24, 7
	v_cmp_ne_u32_e32 vcc, s71, v4
	v_mov_b32_e32 v1, 0x7f800001
	s_and_saveexec_b64 s[58:59], vcc
	s_cbranch_execz .LBB4_3554
; %bb.3553:                             ;   in Loop: Header=BB4_2615 Depth=2
	v_and_b32_e32 v1, 7, v18
	v_ffbh_u32_e32 v6, v1
	v_min_u32_e32 v9, 32, v6
	v_subrev_u32_e32 v6, 28, v9
	v_lshlrev_b64 v[6:7], v6, v[18:19]
	v_lshrrev_b32_e32 v8, 3, v4
	v_sub_u32_e32 v7, 29, v9
	v_and_b32_e32 v6, 7, v6
	v_cmp_gt_u32_e32 vcc, 8, v4
	v_cndmask_b32_e32 v4, v8, v7, vcc
	v_cndmask_b32_e32 v1, v1, v6, vcc
	v_lshlrev_b32_e32 v6, 24, v18
	v_lshlrev_b32_e32 v1, 20, v1
	v_and_b32_e32 v6, 0x80000000, v6
	v_lshl_add_u32 v4, v4, 23, v51
	v_or3_b32 v1, v6, v4, v1
.LBB4_3554:                             ;   in Loop: Header=BB4_2615 Depth=2
	s_or_b64 exec, exec, s[58:59]
.LBB4_3555:                             ;   in Loop: Header=BB4_2615 Depth=2
	s_or_b64 exec, exec, s[20:21]
.LBB4_3556:                             ;   in Loop: Header=BB4_2615 Depth=2
	s_or_b64 exec, exec, s[56:57]
	v_cmp_lt_u64_e32 vcc, s[44:45], v[10:11]
	s_and_saveexec_b64 s[20:21], vcc
	s_cbranch_execz .LBB4_3562
; %bb.3557:                             ;   in Loop: Header=BB4_2615 Depth=2
	v_cmp_ne_u32_e32 vcc, s69, v2
	v_bfrev_b32_e32 v3, 1
	s_and_saveexec_b64 s[56:57], vcc
	s_cbranch_execz .LBB4_3561
; %bb.3558:                             ;   in Loop: Header=BB4_2615 Depth=2
	v_bfe_u32 v4, v11, 24, 7
	v_cmp_ne_u32_e32 vcc, s71, v4
	v_mov_b32_e32 v3, 0x7f800001
	s_and_saveexec_b64 s[58:59], vcc
	s_cbranch_execz .LBB4_3560
; %bb.3559:                             ;   in Loop: Header=BB4_2615 Depth=2
	v_and_b32_e32 v3, 7, v2
	v_ffbh_u32_e32 v6, v3
	v_min_u32_e32 v9, 32, v6
	v_subrev_u32_e32 v6, 28, v9
	v_lshlrev_b64 v[6:7], v6, v[2:3]
	v_lshrrev_b32_e32 v8, 3, v4
	v_sub_u32_e32 v7, 29, v9
	v_and_b32_e32 v6, 7, v6
	v_cmp_gt_u32_e32 vcc, 8, v4
	v_cndmask_b32_e32 v4, v8, v7, vcc
	v_cndmask_b32_e32 v3, v3, v6, vcc
	v_lshlrev_b32_e32 v2, 24, v2
	v_lshlrev_b32_e32 v3, 20, v3
	v_and_b32_e32 v2, 0x80000000, v2
	v_lshl_add_u32 v4, v4, 23, v51
	v_or3_b32 v3, v2, v4, v3
.LBB4_3560:                             ;   in Loop: Header=BB4_2615 Depth=2
	s_or_b64 exec, exec, s[58:59]
.LBB4_3561:                             ;   in Loop: Header=BB4_2615 Depth=2
	s_or_b64 exec, exec, s[56:57]
.LBB4_3562:                             ;   in Loop: Header=BB4_2615 Depth=2
	s_or_b64 exec, exec, s[20:21]
	v_max_f32_e32 v2, v3, v3
	v_max_f32_e32 v1, v1, v1
	v_min_f32_e32 v3, v1, v2
.LBB4_3563:                             ;   in Loop: Header=BB4_2615 Depth=2
	v_and_b32_sdwa v1, v3, s69 dst_sel:DWORD dst_unused:UNUSED_PAD src0_sel:BYTE_3 src1_sel:DWORD
	v_and_b32_e32 v6, 0x7f800000, v3
	v_mov_b32_e32 v7, v53
	v_and_b32_e32 v52, 0x7fffff, v3
	v_or_b32_e32 v15, 0x7e, v1
	v_cmp_ne_u64_e32 vcc, s[40:41], v[6:7]
	s_and_saveexec_b64 s[20:21], vcc
	s_xor_b64 s[56:57], exec, s[20:21]
	s_cbranch_execnz .LBB4_3579
; %bb.3564:                             ;   in Loop: Header=BB4_2615 Depth=2
	s_andn2_saveexec_b64 s[20:21], s[56:57]
	s_cbranch_execnz .LBB4_3588
.LBB4_3565:                             ;   in Loop: Header=BB4_2615 Depth=2
	s_or_b64 exec, exec, s[20:21]
	s_and_b64 vcc, exec, s[18:19]
	v_cmp_ne_u16_sdwa s[20:21], v16, v53 src0_sel:BYTE_0 src1_sel:DWORD
	s_cbranch_vccnz .LBB4_3589
.LBB4_3566:                             ;   in Loop: Header=BB4_2615 Depth=2
	v_mov_b32_e32 v2, 0
	v_mov_b32_e32 v1, 0
	s_and_saveexec_b64 s[56:57], s[20:21]
	s_cbranch_execz .LBB4_3572
; %bb.3567:                             ;   in Loop: Header=BB4_2615 Depth=2
	v_cmp_ne_u16_sdwa vcc, v16, s69 src0_sel:BYTE_0 src1_sel:DWORD
	v_bfrev_b32_e32 v1, 1
	s_and_saveexec_b64 s[58:59], vcc
	s_cbranch_execz .LBB4_3571
; %bb.3568:                             ;   in Loop: Header=BB4_2615 Depth=2
	v_and_b32_e32 v3, 0x7f, v16
	v_cmp_ne_u32_e32 vcc, s71, v3
	v_mov_b32_e32 v1, 0x7f800001
	s_and_saveexec_b64 s[60:61], vcc
	s_cbranch_execz .LBB4_3570
; %bb.3569:                             ;   in Loop: Header=BB4_2615 Depth=2
	v_and_b32_e32 v1, 7, v16
	v_ffbh_u32_e32 v1, v1
	v_min_u32_e32 v1, 32, v1
	v_subrev_u32_e32 v6, 28, v1
	v_cmp_gt_u32_e32 vcc, 8, v3
	v_lshrrev_b32_e32 v4, 3, v3
	v_cndmask_b32_e32 v3, 0, v6, vcc
	v_sub_u32_e32 v1, 29, v1
	v_lshlrev_b64 v[6:7], v3, v[16:17]
	v_cndmask_b32_e32 v1, v4, v1, vcc
	v_lshlrev_b32_e32 v3, 20, v6
	v_lshlrev_b32_e32 v4, 24, v16
	v_and_b32_e32 v3, 0x700000, v3
	v_and_b32_e32 v4, 0x80000000, v4
	v_lshl_add_u32 v1, v1, 23, v51
	v_or3_b32 v1, v4, v1, v3
.LBB4_3570:                             ;   in Loop: Header=BB4_2615 Depth=2
	s_or_b64 exec, exec, s[60:61]
.LBB4_3571:                             ;   in Loop: Header=BB4_2615 Depth=2
	s_or_b64 exec, exec, s[58:59]
.LBB4_3572:                             ;   in Loop: Header=BB4_2615 Depth=2
	s_or_b64 exec, exec, s[56:57]
	v_cmp_ne_u16_sdwa vcc, v12, v53 src0_sel:BYTE_0 src1_sel:DWORD
	s_and_saveexec_b64 s[56:57], vcc
	s_cbranch_execz .LBB4_3578
; %bb.3573:                             ;   in Loop: Header=BB4_2615 Depth=2
	v_cmp_ne_u16_sdwa vcc, v12, s69 src0_sel:BYTE_0 src1_sel:DWORD
	v_bfrev_b32_e32 v2, 1
	s_and_saveexec_b64 s[58:59], vcc
	s_cbranch_execz .LBB4_3577
; %bb.3574:                             ;   in Loop: Header=BB4_2615 Depth=2
	v_and_b32_e32 v3, 0x7f, v12
	v_cmp_ne_u32_e32 vcc, s71, v3
	v_mov_b32_e32 v2, 0x7f800001
	s_and_saveexec_b64 s[60:61], vcc
	s_cbranch_execz .LBB4_3576
; %bb.3575:                             ;   in Loop: Header=BB4_2615 Depth=2
	v_and_b32_e32 v2, 7, v12
	v_ffbh_u32_e32 v2, v2
	v_min_u32_e32 v2, 32, v2
	v_lshrrev_b32_e32 v4, 3, v3
	v_subrev_u32_e32 v6, 28, v2
	v_sub_u32_e32 v2, 29, v2
	v_cmp_gt_u32_e32 vcc, 8, v3
	v_cndmask_b32_e32 v4, v4, v2, vcc
	v_cndmask_b32_e32 v2, 0, v6, vcc
	v_lshlrev_b64 v[2:3], v2, v[12:13]
	v_lshlrev_b32_e32 v2, 20, v2
	v_lshlrev_b32_e32 v3, 24, v12
	v_and_b32_e32 v2, 0x700000, v2
	v_and_b32_e32 v3, 0x80000000, v3
	v_lshl_add_u32 v4, v4, 23, v51
	v_or3_b32 v2, v3, v4, v2
.LBB4_3576:                             ;   in Loop: Header=BB4_2615 Depth=2
	s_or_b64 exec, exec, s[60:61]
.LBB4_3577:                             ;   in Loop: Header=BB4_2615 Depth=2
	s_or_b64 exec, exec, s[58:59]
.LBB4_3578:                             ;   in Loop: Header=BB4_2615 Depth=2
	s_or_b64 exec, exec, s[56:57]
	v_max_f32_e32 v2, v2, v2
	v_max_f32_e32 v1, v1, v1
	;; [unrolled: 1-line block ×3, first 2 shown]
	s_branch .LBB4_3603
.LBB4_3579:                             ;   in Loop: Header=BB4_2615 Depth=2
	v_and_b32_e32 v6, 0x7fffffff, v3
	v_mov_b32_e32 v7, v53
	v_cmp_gt_u64_e32 vcc, s[42:43], v[6:7]
	s_and_saveexec_b64 s[58:59], vcc
	s_cbranch_execz .LBB4_3587
; %bb.3580:                             ;   in Loop: Header=BB4_2615 Depth=2
	v_cmp_ne_u32_e32 vcc, 0, v3
	v_mov_b32_e32 v15, 0
	s_and_saveexec_b64 s[60:61], vcc
	s_cbranch_execz .LBB4_3586
; %bb.3581:                             ;   in Loop: Header=BB4_2615 Depth=2
	v_bfe_u32 v2, v3, 23, 8
	v_sub_u32_e32 v4, 0x79, v2
	v_cmp_gt_u32_e32 vcc, s73, v2
	v_add_u32_e32 v3, 0xffffff81, v2
	v_cndmask_b32_e32 v4, 0, v4, vcc
	v_cmp_eq_u32_e32 vcc, 0, v2
	v_mov_b32_e32 v2, 0xffffff82
	v_cndmask_b32_e32 v10, v3, v2, vcc
	v_mov_b32_e32 v2, 0x78
	v_or_b32_e32 v6, 0x800000, v52
	v_cndmask_b32_e32 v4, v4, v2, vcc
	v_cndmask_b32_e32 v52, v6, v52, vcc
	v_add_u32_e32 v2, 20, v4
	v_lshlrev_b64 v[2:3], v2, -1
	v_lshrrev_b64 v[8:9], v4, v[52:53]
	v_not_b32_e32 v3, v3
	v_not_b32_e32 v2, v2
	v_add_u32_e32 v6, 19, v4
	v_lshrrev_b32_e32 v11, 23, v8
	v_and_b32_e32 v3, 0, v3
	v_and_b32_e32 v2, v52, v2
	v_lshlrev_b64 v[6:7], v6, 1
	v_add3_u32 v14, v4, v10, v11
	v_bfe_u32 v4, v8, 20, 1
	v_add_u32_e32 v4, -1, v4
	v_cmp_eq_u64_e32 vcc, v[2:3], v[6:7]
	v_cndmask_b32_e32 v2, 0, v4, vcc
	v_add_u32_e32 v2, v2, v8
	v_and_b32_e32 v2, 0xfffff, v2
	v_add_co_u32_e32 v2, vcc, v2, v8
	v_add_u32_e32 v11, 6, v14
	v_addc_co_u32_e32 v3, vcc, 0, v9, vcc
	v_cmp_ne_u32_e32 vcc, 0, v11
                                        ; implicit-def: $vgpr10
	s_and_saveexec_b64 s[20:21], vcc
	s_xor_b64 s[20:21], exec, s[20:21]
; %bb.3582:                             ;   in Loop: Header=BB4_2615 Depth=2
	v_add_u32_e32 v4, 7, v14
	v_cmp_lt_u64_e32 vcc, s[46:47], v[2:3]
	v_cndmask_b32_e32 v10, v11, v4, vcc
	v_cndmask_b32_e64 v4, 0, 1, vcc
	v_lshrrev_b64 v[2:3], v4, v[2:3]
; %bb.3583:                             ;   in Loop: Header=BB4_2615 Depth=2
	s_andn2_saveexec_b64 s[20:21], s[20:21]
; %bb.3584:                             ;   in Loop: Header=BB4_2615 Depth=2
	v_bfe_u32 v10, v2, 23, 1
; %bb.3585:                             ;   in Loop: Header=BB4_2615 Depth=2
	s_or_b64 exec, exec, s[20:21]
	v_lshrrev_b64 v[2:3], 20, v[2:3]
	v_cmp_gt_i32_e32 vcc, 16, v10
	v_cndmask_b32_e32 v3, 0, v3, vcc
	v_cndmask_b32_e32 v2, 7, v2, vcc
	v_cmp_eq_u64_e64 s[20:21], 0, v[2:3]
	v_min_i32_e32 v3, 15, v10
	v_lshlrev_b32_e32 v3, 3, v3
	v_cmp_eq_u32_e32 vcc, 0, v10
	v_and_b32_e32 v3, 0xf8, v3
	v_and_or_b32 v2, v2, 7, v3
	s_and_b64 s[20:21], vcc, s[20:21]
	v_cndmask_b32_e64 v2, v2, 0, s[20:21]
	v_or_b32_e32 v15, v2, v1
.LBB4_3586:                             ;   in Loop: Header=BB4_2615 Depth=2
	s_or_b64 exec, exec, s[60:61]
.LBB4_3587:                             ;   in Loop: Header=BB4_2615 Depth=2
	s_or_b64 exec, exec, s[58:59]
                                        ; implicit-def: $vgpr3
	s_andn2_saveexec_b64 s[20:21], s[56:57]
	s_cbranch_execz .LBB4_3565
.LBB4_3588:                             ;   in Loop: Header=BB4_2615 Depth=2
	v_or_b32_sdwa v1, v3, s71 dst_sel:DWORD dst_unused:UNUSED_PAD src0_sel:BYTE_3 src1_sel:DWORD
	v_cmp_eq_u64_e32 vcc, 0, v[52:53]
	v_cndmask_b32_e32 v15, v1, v15, vcc
	s_or_b64 exec, exec, s[20:21]
	s_and_b64 vcc, exec, s[18:19]
	v_cmp_ne_u16_sdwa s[20:21], v16, v53 src0_sel:BYTE_0 src1_sel:DWORD
	s_cbranch_vccz .LBB4_3566
.LBB4_3589:                             ;   in Loop: Header=BB4_2615 Depth=2
                                        ; implicit-def: $vgpr2
	s_cbranch_execz .LBB4_3603
; %bb.3590:                             ;   in Loop: Header=BB4_2615 Depth=2
	v_mov_b32_e32 v2, 0
	v_mov_b32_e32 v1, 0
	s_and_saveexec_b64 s[56:57], s[20:21]
	s_cbranch_execz .LBB4_3596
; %bb.3591:                             ;   in Loop: Header=BB4_2615 Depth=2
	v_cmp_ne_u16_sdwa vcc, v16, s69 src0_sel:BYTE_0 src1_sel:DWORD
	v_bfrev_b32_e32 v1, 1
	s_and_saveexec_b64 s[20:21], vcc
	s_cbranch_execz .LBB4_3595
; %bb.3592:                             ;   in Loop: Header=BB4_2615 Depth=2
	v_and_b32_e32 v3, 0x7f, v16
	v_cmp_ne_u32_e32 vcc, s71, v3
	v_mov_b32_e32 v1, 0x7f800001
	s_and_saveexec_b64 s[58:59], vcc
	s_cbranch_execz .LBB4_3594
; %bb.3593:                             ;   in Loop: Header=BB4_2615 Depth=2
	v_and_b32_e32 v1, 7, v16
	v_ffbh_u32_e32 v1, v1
	v_min_u32_e32 v1, 32, v1
	v_subrev_u32_e32 v6, 28, v1
	v_cmp_gt_u32_e32 vcc, 8, v3
	v_lshrrev_b32_e32 v4, 3, v3
	v_cndmask_b32_e32 v3, 0, v6, vcc
	v_sub_u32_e32 v1, 29, v1
	v_lshlrev_b64 v[6:7], v3, v[16:17]
	v_cndmask_b32_e32 v1, v4, v1, vcc
	v_lshlrev_b32_e32 v3, 20, v6
	v_lshlrev_b32_e32 v4, 24, v16
	v_and_b32_e32 v3, 0x700000, v3
	v_and_b32_e32 v4, 0x80000000, v4
	v_lshl_add_u32 v1, v1, 23, v51
	v_or3_b32 v1, v4, v1, v3
.LBB4_3594:                             ;   in Loop: Header=BB4_2615 Depth=2
	s_or_b64 exec, exec, s[58:59]
.LBB4_3595:                             ;   in Loop: Header=BB4_2615 Depth=2
	s_or_b64 exec, exec, s[20:21]
.LBB4_3596:                             ;   in Loop: Header=BB4_2615 Depth=2
	s_or_b64 exec, exec, s[56:57]
	v_cmp_ne_u16_sdwa vcc, v12, v53 src0_sel:BYTE_0 src1_sel:DWORD
	s_and_saveexec_b64 s[20:21], vcc
	s_cbranch_execz .LBB4_3602
; %bb.3597:                             ;   in Loop: Header=BB4_2615 Depth=2
	v_cmp_ne_u16_sdwa vcc, v12, s69 src0_sel:BYTE_0 src1_sel:DWORD
	v_bfrev_b32_e32 v2, 1
	s_and_saveexec_b64 s[56:57], vcc
	s_cbranch_execz .LBB4_3601
; %bb.3598:                             ;   in Loop: Header=BB4_2615 Depth=2
	v_and_b32_e32 v3, 0x7f, v12
	v_cmp_ne_u32_e32 vcc, s71, v3
	v_mov_b32_e32 v2, 0x7f800001
	s_and_saveexec_b64 s[58:59], vcc
	s_cbranch_execz .LBB4_3600
; %bb.3599:                             ;   in Loop: Header=BB4_2615 Depth=2
	v_and_b32_e32 v2, 7, v12
	v_ffbh_u32_e32 v2, v2
	v_min_u32_e32 v2, 32, v2
	v_lshrrev_b32_e32 v4, 3, v3
	v_subrev_u32_e32 v6, 28, v2
	v_sub_u32_e32 v2, 29, v2
	v_cmp_gt_u32_e32 vcc, 8, v3
	v_cndmask_b32_e32 v4, v4, v2, vcc
	v_cndmask_b32_e32 v2, 0, v6, vcc
	v_lshlrev_b64 v[2:3], v2, v[12:13]
	v_lshlrev_b32_e32 v2, 20, v2
	v_lshlrev_b32_e32 v3, 24, v12
	v_and_b32_e32 v2, 0x700000, v2
	v_and_b32_e32 v3, 0x80000000, v3
	v_lshl_add_u32 v4, v4, 23, v51
	v_or3_b32 v2, v3, v4, v2
.LBB4_3600:                             ;   in Loop: Header=BB4_2615 Depth=2
	s_or_b64 exec, exec, s[58:59]
.LBB4_3601:                             ;   in Loop: Header=BB4_2615 Depth=2
	s_or_b64 exec, exec, s[56:57]
.LBB4_3602:                             ;   in Loop: Header=BB4_2615 Depth=2
	s_or_b64 exec, exec, s[20:21]
	v_max_f32_e32 v2, v2, v2
	v_max_f32_e32 v1, v1, v1
	v_min_f32_e32 v2, v1, v2
.LBB4_3603:                             ;   in Loop: Header=BB4_2615 Depth=2
	v_and_b32_sdwa v1, v2, s69 dst_sel:DWORD dst_unused:UNUSED_PAD src0_sel:BYTE_3 src1_sel:DWORD
	v_and_b32_e32 v6, 0x7f800000, v2
	v_mov_b32_e32 v7, v53
	v_and_b32_e32 v52, 0x7fffff, v2
	v_or_b32_e32 v18, 0x7e, v1
	v_cmp_ne_u64_e32 vcc, s[40:41], v[6:7]
	s_and_saveexec_b64 s[20:21], vcc
	s_xor_b64 s[56:57], exec, s[20:21]
	s_cbranch_execz .LBB4_3613
; %bb.3604:                             ;   in Loop: Header=BB4_2615 Depth=2
	v_and_b32_e32 v6, 0x7fffffff, v2
	v_mov_b32_e32 v7, v53
	v_cmp_gt_u64_e32 vcc, s[42:43], v[6:7]
	s_and_saveexec_b64 s[58:59], vcc
	s_cbranch_execz .LBB4_3612
; %bb.3605:                             ;   in Loop: Header=BB4_2615 Depth=2
	v_cmp_ne_u32_e32 vcc, 0, v2
	v_mov_b32_e32 v18, 0
	s_and_saveexec_b64 s[60:61], vcc
	s_cbranch_execz .LBB4_3611
; %bb.3606:                             ;   in Loop: Header=BB4_2615 Depth=2
	v_bfe_u32 v2, v2, 23, 8
	v_sub_u32_e32 v4, 0x79, v2
	v_cmp_gt_u32_e32 vcc, s73, v2
	v_add_u32_e32 v3, 0xffffff81, v2
	v_cndmask_b32_e32 v4, 0, v4, vcc
	v_cmp_eq_u32_e32 vcc, 0, v2
	v_mov_b32_e32 v2, 0xffffff82
	v_cndmask_b32_e32 v10, v3, v2, vcc
	v_mov_b32_e32 v2, 0x78
	v_or_b32_e32 v6, 0x800000, v52
	v_cndmask_b32_e32 v4, v4, v2, vcc
	v_cndmask_b32_e32 v52, v6, v52, vcc
	v_add_u32_e32 v2, 20, v4
	v_lshlrev_b64 v[2:3], v2, -1
	v_lshrrev_b64 v[8:9], v4, v[52:53]
	v_not_b32_e32 v3, v3
	v_not_b32_e32 v2, v2
	v_add_u32_e32 v6, 19, v4
	v_lshrrev_b32_e32 v11, 23, v8
	v_and_b32_e32 v3, 0, v3
	v_and_b32_e32 v2, v52, v2
	v_lshlrev_b64 v[6:7], v6, 1
	v_add3_u32 v14, v4, v10, v11
	v_bfe_u32 v4, v8, 20, 1
	v_add_u32_e32 v4, -1, v4
	v_cmp_eq_u64_e32 vcc, v[2:3], v[6:7]
	v_cndmask_b32_e32 v2, 0, v4, vcc
	v_add_u32_e32 v2, v2, v8
	v_and_b32_e32 v2, 0xfffff, v2
	v_add_co_u32_e32 v2, vcc, v2, v8
	v_add_u32_e32 v11, 6, v14
	v_addc_co_u32_e32 v3, vcc, 0, v9, vcc
	v_cmp_ne_u32_e32 vcc, 0, v11
                                        ; implicit-def: $vgpr10
	s_and_saveexec_b64 s[20:21], vcc
	s_xor_b64 s[20:21], exec, s[20:21]
; %bb.3607:                             ;   in Loop: Header=BB4_2615 Depth=2
	v_add_u32_e32 v4, 7, v14
	v_cmp_lt_u64_e32 vcc, s[46:47], v[2:3]
	v_cndmask_b32_e32 v10, v11, v4, vcc
	v_cndmask_b32_e64 v4, 0, 1, vcc
	v_lshrrev_b64 v[2:3], v4, v[2:3]
; %bb.3608:                             ;   in Loop: Header=BB4_2615 Depth=2
	s_andn2_saveexec_b64 s[20:21], s[20:21]
; %bb.3609:                             ;   in Loop: Header=BB4_2615 Depth=2
	v_bfe_u32 v10, v2, 23, 1
; %bb.3610:                             ;   in Loop: Header=BB4_2615 Depth=2
	s_or_b64 exec, exec, s[20:21]
	v_lshrrev_b64 v[2:3], 20, v[2:3]
	v_cmp_gt_i32_e32 vcc, 16, v10
	v_cndmask_b32_e32 v3, 0, v3, vcc
	v_cndmask_b32_e32 v2, 7, v2, vcc
	v_cmp_eq_u64_e64 s[20:21], 0, v[2:3]
	v_min_i32_e32 v3, 15, v10
	v_cmp_eq_u32_e32 vcc, 0, v10
	v_lshlrev_b32_e32 v3, 3, v3
	v_and_or_b32 v2, v2, 7, v3
	s_and_b64 s[20:21], vcc, s[20:21]
	v_cndmask_b32_e64 v2, v2, 0, s[20:21]
	v_or_b32_e32 v18, v2, v1
.LBB4_3611:                             ;   in Loop: Header=BB4_2615 Depth=2
	s_or_b64 exec, exec, s[60:61]
.LBB4_3612:                             ;   in Loop: Header=BB4_2615 Depth=2
	s_or_b64 exec, exec, s[58:59]
                                        ; implicit-def: $vgpr2
.LBB4_3613:                             ;   in Loop: Header=BB4_2615 Depth=2
	s_andn2_saveexec_b64 s[20:21], s[56:57]
; %bb.3614:                             ;   in Loop: Header=BB4_2615 Depth=2
	v_or_b32_sdwa v1, v2, s71 dst_sel:DWORD dst_unused:UNUSED_PAD src0_sel:BYTE_3 src1_sel:DWORD
	v_cmp_eq_u64_e32 vcc, 0, v[52:53]
	v_cndmask_b32_e32 v18, v1, v18, vcc
; %bb.3615:                             ;   in Loop: Header=BB4_2615 Depth=2
	s_or_b64 exec, exec, s[20:21]
	v_lshrrev_b16_e32 v10, 8, v16
	v_lshrrev_b16_e32 v2, 8, v12
	s_and_b64 vcc, exec, s[18:19]
	v_cmp_ne_u16_e64 s[20:21], 0, v10
	s_cbranch_vccnz .LBB4_3629
; %bb.3616:                             ;   in Loop: Header=BB4_2615 Depth=2
	v_mov_b32_e32 v3, 0
	v_mov_b32_e32 v1, 0
	s_and_saveexec_b64 s[56:57], s[20:21]
	s_cbranch_execz .LBB4_3622
; %bb.3617:                             ;   in Loop: Header=BB4_2615 Depth=2
	v_cmp_ne_u16_e32 vcc, s69, v10
	v_bfrev_b32_e32 v1, 1
	s_and_saveexec_b64 s[58:59], vcc
	s_cbranch_execz .LBB4_3621
; %bb.3618:                             ;   in Loop: Header=BB4_2615 Depth=2
	v_and_b32_e32 v4, 0x7f, v10
	v_cmp_ne_u32_e32 vcc, s71, v4
	v_mov_b32_e32 v1, 0x7f800001
	s_and_saveexec_b64 s[60:61], vcc
	s_cbranch_execz .LBB4_3620
; %bb.3619:                             ;   in Loop: Header=BB4_2615 Depth=2
	v_and_b32_e32 v1, 7, v10
	v_ffbh_u32_e32 v6, v1
	v_min_u32_e32 v9, 32, v6
	v_subrev_u32_e32 v6, 28, v9
	v_lshlrev_b64 v[6:7], v6, v[10:11]
	v_lshrrev_b32_e32 v8, 3, v4
	v_sub_u32_e32 v7, 29, v9
	v_and_b32_e32 v6, 7, v6
	v_cmp_gt_u32_e32 vcc, 8, v4
	v_cndmask_b32_e32 v4, v8, v7, vcc
	v_cndmask_b32_e32 v1, v1, v6, vcc
	v_lshlrev_b32_e32 v6, 16, v16
	v_lshlrev_b32_e32 v1, 20, v1
	v_and_b32_e32 v6, 0x80000000, v6
	v_lshl_add_u32 v4, v4, 23, v51
	v_or3_b32 v1, v6, v4, v1
.LBB4_3620:                             ;   in Loop: Header=BB4_2615 Depth=2
	s_or_b64 exec, exec, s[60:61]
.LBB4_3621:                             ;   in Loop: Header=BB4_2615 Depth=2
	s_or_b64 exec, exec, s[58:59]
.LBB4_3622:                             ;   in Loop: Header=BB4_2615 Depth=2
	s_or_b64 exec, exec, s[56:57]
	v_cmp_ne_u16_e32 vcc, 0, v2
	s_and_saveexec_b64 s[56:57], vcc
	s_cbranch_execz .LBB4_3628
; %bb.3623:                             ;   in Loop: Header=BB4_2615 Depth=2
	v_cmp_ne_u16_e32 vcc, s69, v2
	v_bfrev_b32_e32 v3, 1
	s_and_saveexec_b64 s[58:59], vcc
	s_cbranch_execz .LBB4_3627
; %bb.3624:                             ;   in Loop: Header=BB4_2615 Depth=2
	v_and_b32_e32 v4, 0x7f, v2
	v_cmp_ne_u32_e32 vcc, s71, v4
	v_mov_b32_e32 v3, 0x7f800001
	s_and_saveexec_b64 s[60:61], vcc
	s_cbranch_execz .LBB4_3626
; %bb.3625:                             ;   in Loop: Header=BB4_2615 Depth=2
	v_and_b32_e32 v3, 7, v2
	v_ffbh_u32_e32 v6, v3
	v_min_u32_e32 v9, 32, v6
	v_subrev_u32_e32 v6, 28, v9
	v_lshlrev_b64 v[6:7], v6, v[2:3]
	v_lshrrev_b32_e32 v8, 3, v4
	v_sub_u32_e32 v7, 29, v9
	v_and_b32_e32 v6, 7, v6
	v_cmp_gt_u32_e32 vcc, 8, v4
	v_cndmask_b32_e32 v4, v8, v7, vcc
	v_cndmask_b32_e32 v3, v3, v6, vcc
	v_lshlrev_b32_e32 v6, 16, v12
	v_lshlrev_b32_e32 v3, 20, v3
	v_and_b32_e32 v6, 0x80000000, v6
	v_lshl_add_u32 v4, v4, 23, v51
	v_or3_b32 v3, v6, v4, v3
.LBB4_3626:                             ;   in Loop: Header=BB4_2615 Depth=2
	s_or_b64 exec, exec, s[60:61]
.LBB4_3627:                             ;   in Loop: Header=BB4_2615 Depth=2
	s_or_b64 exec, exec, s[58:59]
.LBB4_3628:                             ;   in Loop: Header=BB4_2615 Depth=2
	s_or_b64 exec, exec, s[56:57]
	v_max_f32_e32 v3, v3, v3
	v_max_f32_e32 v1, v1, v1
	;; [unrolled: 1-line block ×3, first 2 shown]
	s_branch .LBB4_3643
.LBB4_3629:                             ;   in Loop: Header=BB4_2615 Depth=2
                                        ; implicit-def: $vgpr3
	s_cbranch_execz .LBB4_3643
; %bb.3630:                             ;   in Loop: Header=BB4_2615 Depth=2
	v_mov_b32_e32 v3, 0
	v_mov_b32_e32 v1, 0
	s_and_saveexec_b64 s[56:57], s[20:21]
	s_cbranch_execz .LBB4_3636
; %bb.3631:                             ;   in Loop: Header=BB4_2615 Depth=2
	v_cmp_ne_u16_e32 vcc, s69, v10
	v_bfrev_b32_e32 v1, 1
	s_and_saveexec_b64 s[20:21], vcc
	s_cbranch_execz .LBB4_3635
; %bb.3632:                             ;   in Loop: Header=BB4_2615 Depth=2
	v_and_b32_e32 v4, 0x7f, v10
	v_cmp_ne_u32_e32 vcc, s71, v4
	v_mov_b32_e32 v1, 0x7f800001
	s_and_saveexec_b64 s[58:59], vcc
	s_cbranch_execz .LBB4_3634
; %bb.3633:                             ;   in Loop: Header=BB4_2615 Depth=2
	v_and_b32_e32 v1, 7, v10
	v_ffbh_u32_e32 v6, v1
	v_min_u32_e32 v9, 32, v6
	v_subrev_u32_e32 v6, 28, v9
	v_lshlrev_b64 v[6:7], v6, v[10:11]
	v_lshrrev_b32_e32 v8, 3, v4
	v_sub_u32_e32 v7, 29, v9
	v_and_b32_e32 v6, 7, v6
	v_cmp_gt_u32_e32 vcc, 8, v4
	v_cndmask_b32_e32 v4, v8, v7, vcc
	v_cndmask_b32_e32 v1, v1, v6, vcc
	v_lshlrev_b32_e32 v6, 16, v16
	v_lshlrev_b32_e32 v1, 20, v1
	v_and_b32_e32 v6, 0x80000000, v6
	v_lshl_add_u32 v4, v4, 23, v51
	v_or3_b32 v1, v6, v4, v1
.LBB4_3634:                             ;   in Loop: Header=BB4_2615 Depth=2
	s_or_b64 exec, exec, s[58:59]
.LBB4_3635:                             ;   in Loop: Header=BB4_2615 Depth=2
	s_or_b64 exec, exec, s[20:21]
.LBB4_3636:                             ;   in Loop: Header=BB4_2615 Depth=2
	s_or_b64 exec, exec, s[56:57]
	v_cmp_ne_u16_e32 vcc, 0, v2
	s_and_saveexec_b64 s[20:21], vcc
	s_cbranch_execz .LBB4_3642
; %bb.3637:                             ;   in Loop: Header=BB4_2615 Depth=2
	v_cmp_ne_u16_e32 vcc, s69, v2
	v_bfrev_b32_e32 v3, 1
	s_and_saveexec_b64 s[56:57], vcc
	s_cbranch_execz .LBB4_3641
; %bb.3638:                             ;   in Loop: Header=BB4_2615 Depth=2
	v_and_b32_e32 v4, 0x7f, v2
	v_cmp_ne_u32_e32 vcc, s71, v4
	v_mov_b32_e32 v3, 0x7f800001
	s_and_saveexec_b64 s[58:59], vcc
	s_cbranch_execz .LBB4_3640
; %bb.3639:                             ;   in Loop: Header=BB4_2615 Depth=2
	v_and_b32_e32 v6, 7, v2
	v_ffbh_u32_e32 v3, v6
	v_min_u32_e32 v8, 32, v3
	v_subrev_u32_e32 v3, 28, v8
	v_lshlrev_b64 v[2:3], v3, v[2:3]
	v_lshrrev_b32_e32 v7, 3, v4
	v_sub_u32_e32 v3, 29, v8
	v_and_b32_e32 v2, 7, v2
	v_cmp_gt_u32_e32 vcc, 8, v4
	v_cndmask_b32_e32 v3, v7, v3, vcc
	v_cndmask_b32_e32 v2, v6, v2, vcc
	v_lshlrev_b32_e32 v4, 16, v12
	v_lshlrev_b32_e32 v2, 20, v2
	v_and_b32_e32 v4, 0x80000000, v4
	v_lshl_add_u32 v3, v3, 23, v51
	v_or3_b32 v3, v4, v3, v2
.LBB4_3640:                             ;   in Loop: Header=BB4_2615 Depth=2
	s_or_b64 exec, exec, s[58:59]
.LBB4_3641:                             ;   in Loop: Header=BB4_2615 Depth=2
	s_or_b64 exec, exec, s[56:57]
.LBB4_3642:                             ;   in Loop: Header=BB4_2615 Depth=2
	s_or_b64 exec, exec, s[20:21]
	v_max_f32_e32 v2, v3, v3
	v_max_f32_e32 v1, v1, v1
	v_min_f32_e32 v3, v1, v2
.LBB4_3643:                             ;   in Loop: Header=BB4_2615 Depth=2
	v_and_b32_sdwa v1, v3, s69 dst_sel:DWORD dst_unused:UNUSED_PAD src0_sel:BYTE_3 src1_sel:DWORD
	v_and_b32_e32 v6, 0x7f800000, v3
	v_mov_b32_e32 v7, v53
	v_and_b32_e32 v52, 0x7fffff, v3
	v_or_b32_e32 v61, 0x7e, v1
	v_cmp_ne_u64_e32 vcc, s[40:41], v[6:7]
	s_and_saveexec_b64 s[20:21], vcc
	s_xor_b64 s[56:57], exec, s[20:21]
	s_cbranch_execz .LBB4_3653
; %bb.3644:                             ;   in Loop: Header=BB4_2615 Depth=2
	v_and_b32_e32 v6, 0x7fffffff, v3
	v_mov_b32_e32 v7, v53
	v_cmp_gt_u64_e32 vcc, s[42:43], v[6:7]
	s_and_saveexec_b64 s[58:59], vcc
	s_cbranch_execz .LBB4_3652
; %bb.3645:                             ;   in Loop: Header=BB4_2615 Depth=2
	v_cmp_ne_u32_e32 vcc, 0, v3
	v_mov_b32_e32 v61, 0
	s_and_saveexec_b64 s[60:61], vcc
	s_cbranch_execz .LBB4_3651
; %bb.3646:                             ;   in Loop: Header=BB4_2615 Depth=2
	v_bfe_u32 v2, v3, 23, 8
	v_sub_u32_e32 v4, 0x79, v2
	v_cmp_gt_u32_e32 vcc, s73, v2
	v_add_u32_e32 v3, 0xffffff81, v2
	v_cndmask_b32_e32 v4, 0, v4, vcc
	v_cmp_eq_u32_e32 vcc, 0, v2
	v_mov_b32_e32 v2, 0xffffff82
	v_cndmask_b32_e32 v10, v3, v2, vcc
	v_mov_b32_e32 v2, 0x78
	v_or_b32_e32 v6, 0x800000, v52
	v_cndmask_b32_e32 v4, v4, v2, vcc
	v_cndmask_b32_e32 v52, v6, v52, vcc
	v_add_u32_e32 v2, 20, v4
	v_lshlrev_b64 v[2:3], v2, -1
	v_lshrrev_b64 v[8:9], v4, v[52:53]
	v_not_b32_e32 v3, v3
	v_not_b32_e32 v2, v2
	v_add_u32_e32 v6, 19, v4
	v_lshrrev_b32_e32 v11, 23, v8
	v_and_b32_e32 v3, 0, v3
	v_and_b32_e32 v2, v52, v2
	v_lshlrev_b64 v[6:7], v6, 1
	v_add3_u32 v14, v4, v10, v11
	v_bfe_u32 v4, v8, 20, 1
	v_add_u32_e32 v4, -1, v4
	v_cmp_eq_u64_e32 vcc, v[2:3], v[6:7]
	v_cndmask_b32_e32 v2, 0, v4, vcc
	v_add_u32_e32 v2, v2, v8
	v_and_b32_e32 v2, 0xfffff, v2
	v_add_co_u32_e32 v2, vcc, v2, v8
	v_add_u32_e32 v11, 6, v14
	v_addc_co_u32_e32 v3, vcc, 0, v9, vcc
	v_cmp_ne_u32_e32 vcc, 0, v11
                                        ; implicit-def: $vgpr10
	s_and_saveexec_b64 s[20:21], vcc
	s_xor_b64 s[20:21], exec, s[20:21]
; %bb.3647:                             ;   in Loop: Header=BB4_2615 Depth=2
	v_add_u32_e32 v4, 7, v14
	v_cmp_lt_u64_e32 vcc, s[46:47], v[2:3]
	v_cndmask_b32_e32 v10, v11, v4, vcc
	v_cndmask_b32_e64 v4, 0, 1, vcc
	v_lshrrev_b64 v[2:3], v4, v[2:3]
; %bb.3648:                             ;   in Loop: Header=BB4_2615 Depth=2
	s_andn2_saveexec_b64 s[20:21], s[20:21]
; %bb.3649:                             ;   in Loop: Header=BB4_2615 Depth=2
	v_bfe_u32 v10, v2, 23, 1
; %bb.3650:                             ;   in Loop: Header=BB4_2615 Depth=2
	s_or_b64 exec, exec, s[20:21]
	v_lshrrev_b64 v[2:3], 20, v[2:3]
	v_cmp_gt_i32_e32 vcc, 16, v10
	v_cndmask_b32_e32 v3, 0, v3, vcc
	v_cndmask_b32_e32 v2, 7, v2, vcc
	v_cmp_eq_u64_e64 s[20:21], 0, v[2:3]
	v_min_i32_e32 v3, 15, v10
	v_cmp_eq_u32_e32 vcc, 0, v10
	v_lshlrev_b32_e32 v3, 3, v3
	v_and_or_b32 v2, v2, 7, v3
	s_and_b64 s[20:21], vcc, s[20:21]
	v_cndmask_b32_e64 v2, v2, 0, s[20:21]
	v_or_b32_e32 v61, v2, v1
.LBB4_3651:                             ;   in Loop: Header=BB4_2615 Depth=2
	s_or_b64 exec, exec, s[60:61]
.LBB4_3652:                             ;   in Loop: Header=BB4_2615 Depth=2
	s_or_b64 exec, exec, s[58:59]
                                        ; implicit-def: $vgpr3
.LBB4_3653:                             ;   in Loop: Header=BB4_2615 Depth=2
	s_andn2_saveexec_b64 s[20:21], s[56:57]
; %bb.3654:                             ;   in Loop: Header=BB4_2615 Depth=2
	v_or_b32_sdwa v1, v3, s71 dst_sel:DWORD dst_unused:UNUSED_PAD src0_sel:BYTE_3 src1_sel:DWORD
	v_cmp_eq_u64_e32 vcc, 0, v[52:53]
	v_cndmask_b32_e32 v61, v1, v61, vcc
; %bb.3655:                             ;   in Loop: Header=BB4_2615 Depth=2
	s_or_b64 exec, exec, s[20:21]
	v_lshrrev_b32_e32 v10, 16, v16
	v_lshrrev_b32_e32 v2, 16, v12
	s_and_b64 vcc, exec, s[18:19]
	v_cmp_ne_u16_sdwa s[20:21], v10, v53 src0_sel:BYTE_0 src1_sel:DWORD
	s_cbranch_vccnz .LBB4_3669
; %bb.3656:                             ;   in Loop: Header=BB4_2615 Depth=2
	v_mov_b32_e32 v3, 0
	v_mov_b32_e32 v1, 0
	s_and_saveexec_b64 s[56:57], s[20:21]
	s_cbranch_execz .LBB4_3662
; %bb.3657:                             ;   in Loop: Header=BB4_2615 Depth=2
	v_cmp_ne_u16_sdwa vcc, v10, s69 src0_sel:BYTE_0 src1_sel:DWORD
	v_bfrev_b32_e32 v1, 1
	s_and_saveexec_b64 s[58:59], vcc
	s_cbranch_execz .LBB4_3661
; %bb.3658:                             ;   in Loop: Header=BB4_2615 Depth=2
	v_bfe_u32 v4, v16, 16, 7
	v_cmp_ne_u32_e32 vcc, s71, v4
	v_mov_b32_e32 v1, 0x7f800001
	s_and_saveexec_b64 s[60:61], vcc
	s_cbranch_execz .LBB4_3660
; %bb.3659:                             ;   in Loop: Header=BB4_2615 Depth=2
	v_and_b32_e32 v1, 7, v10
	v_ffbh_u32_e32 v6, v1
	v_min_u32_e32 v9, 32, v6
	v_subrev_u32_e32 v6, 28, v9
	v_lshlrev_b64 v[6:7], v6, v[10:11]
	v_lshrrev_b32_e32 v8, 3, v4
	v_sub_u32_e32 v7, 29, v9
	v_and_b32_e32 v6, 7, v6
	v_cmp_gt_u32_e32 vcc, 8, v4
	v_cndmask_b32_e32 v4, v8, v7, vcc
	v_cndmask_b32_e32 v1, v1, v6, vcc
	v_lshlrev_b32_e32 v6, 24, v10
	v_lshlrev_b32_e32 v1, 20, v1
	v_and_b32_e32 v6, 0x80000000, v6
	v_lshl_add_u32 v4, v4, 23, v51
	v_or3_b32 v1, v6, v4, v1
.LBB4_3660:                             ;   in Loop: Header=BB4_2615 Depth=2
	s_or_b64 exec, exec, s[60:61]
.LBB4_3661:                             ;   in Loop: Header=BB4_2615 Depth=2
	s_or_b64 exec, exec, s[58:59]
.LBB4_3662:                             ;   in Loop: Header=BB4_2615 Depth=2
	s_or_b64 exec, exec, s[56:57]
	v_cmp_ne_u16_sdwa vcc, v2, v53 src0_sel:BYTE_0 src1_sel:DWORD
	s_and_saveexec_b64 s[56:57], vcc
	s_cbranch_execz .LBB4_3668
; %bb.3663:                             ;   in Loop: Header=BB4_2615 Depth=2
	v_cmp_ne_u16_sdwa vcc, v2, s69 src0_sel:BYTE_0 src1_sel:DWORD
	v_bfrev_b32_e32 v3, 1
	s_and_saveexec_b64 s[58:59], vcc
	s_cbranch_execz .LBB4_3667
; %bb.3664:                             ;   in Loop: Header=BB4_2615 Depth=2
	v_bfe_u32 v4, v12, 16, 7
	v_cmp_ne_u32_e32 vcc, s71, v4
	v_mov_b32_e32 v3, 0x7f800001
	s_and_saveexec_b64 s[60:61], vcc
	s_cbranch_execz .LBB4_3666
; %bb.3665:                             ;   in Loop: Header=BB4_2615 Depth=2
	v_and_b32_e32 v3, 7, v2
	v_ffbh_u32_e32 v6, v3
	v_min_u32_e32 v9, 32, v6
	v_subrev_u32_e32 v6, 28, v9
	v_lshlrev_b64 v[6:7], v6, v[2:3]
	v_lshrrev_b32_e32 v8, 3, v4
	v_sub_u32_e32 v7, 29, v9
	v_and_b32_e32 v6, 7, v6
	v_cmp_gt_u32_e32 vcc, 8, v4
	v_cndmask_b32_e32 v4, v8, v7, vcc
	v_cndmask_b32_e32 v3, v3, v6, vcc
	v_lshlrev_b32_e32 v6, 24, v2
	v_lshlrev_b32_e32 v3, 20, v3
	v_and_b32_e32 v6, 0x80000000, v6
	v_lshl_add_u32 v4, v4, 23, v51
	v_or3_b32 v3, v6, v4, v3
.LBB4_3666:                             ;   in Loop: Header=BB4_2615 Depth=2
	s_or_b64 exec, exec, s[60:61]
.LBB4_3667:                             ;   in Loop: Header=BB4_2615 Depth=2
	s_or_b64 exec, exec, s[58:59]
.LBB4_3668:                             ;   in Loop: Header=BB4_2615 Depth=2
	s_or_b64 exec, exec, s[56:57]
	v_max_f32_e32 v3, v3, v3
	v_max_f32_e32 v1, v1, v1
	;; [unrolled: 1-line block ×3, first 2 shown]
	s_branch .LBB4_3683
.LBB4_3669:                             ;   in Loop: Header=BB4_2615 Depth=2
                                        ; implicit-def: $vgpr3
	s_cbranch_execz .LBB4_3683
; %bb.3670:                             ;   in Loop: Header=BB4_2615 Depth=2
	v_mov_b32_e32 v3, 0
	v_mov_b32_e32 v1, 0
	s_and_saveexec_b64 s[56:57], s[20:21]
	s_cbranch_execz .LBB4_3676
; %bb.3671:                             ;   in Loop: Header=BB4_2615 Depth=2
	v_cmp_ne_u16_sdwa vcc, v10, s69 src0_sel:BYTE_0 src1_sel:DWORD
	v_bfrev_b32_e32 v1, 1
	s_and_saveexec_b64 s[20:21], vcc
	s_cbranch_execz .LBB4_3675
; %bb.3672:                             ;   in Loop: Header=BB4_2615 Depth=2
	v_bfe_u32 v4, v16, 16, 7
	v_cmp_ne_u32_e32 vcc, s71, v4
	v_mov_b32_e32 v1, 0x7f800001
	s_and_saveexec_b64 s[58:59], vcc
	s_cbranch_execz .LBB4_3674
; %bb.3673:                             ;   in Loop: Header=BB4_2615 Depth=2
	v_and_b32_e32 v1, 7, v10
	v_ffbh_u32_e32 v6, v1
	v_min_u32_e32 v9, 32, v6
	v_subrev_u32_e32 v6, 28, v9
	v_lshlrev_b64 v[6:7], v6, v[10:11]
	v_lshrrev_b32_e32 v8, 3, v4
	v_sub_u32_e32 v7, 29, v9
	v_and_b32_e32 v6, 7, v6
	v_cmp_gt_u32_e32 vcc, 8, v4
	v_cndmask_b32_e32 v4, v8, v7, vcc
	v_cndmask_b32_e32 v1, v1, v6, vcc
	v_lshlrev_b32_e32 v6, 24, v10
	v_lshlrev_b32_e32 v1, 20, v1
	v_and_b32_e32 v6, 0x80000000, v6
	v_lshl_add_u32 v4, v4, 23, v51
	v_or3_b32 v1, v6, v4, v1
.LBB4_3674:                             ;   in Loop: Header=BB4_2615 Depth=2
	s_or_b64 exec, exec, s[58:59]
.LBB4_3675:                             ;   in Loop: Header=BB4_2615 Depth=2
	s_or_b64 exec, exec, s[20:21]
.LBB4_3676:                             ;   in Loop: Header=BB4_2615 Depth=2
	s_or_b64 exec, exec, s[56:57]
	v_cmp_ne_u16_sdwa vcc, v2, v53 src0_sel:BYTE_0 src1_sel:DWORD
	s_and_saveexec_b64 s[20:21], vcc
	s_cbranch_execz .LBB4_3682
; %bb.3677:                             ;   in Loop: Header=BB4_2615 Depth=2
	v_cmp_ne_u16_sdwa vcc, v2, s69 src0_sel:BYTE_0 src1_sel:DWORD
	v_bfrev_b32_e32 v3, 1
	s_and_saveexec_b64 s[56:57], vcc
	s_cbranch_execz .LBB4_3681
; %bb.3678:                             ;   in Loop: Header=BB4_2615 Depth=2
	v_bfe_u32 v4, v12, 16, 7
	v_cmp_ne_u32_e32 vcc, s71, v4
	v_mov_b32_e32 v3, 0x7f800001
	s_and_saveexec_b64 s[58:59], vcc
	s_cbranch_execz .LBB4_3680
; %bb.3679:                             ;   in Loop: Header=BB4_2615 Depth=2
	v_and_b32_e32 v3, 7, v2
	v_ffbh_u32_e32 v6, v3
	v_min_u32_e32 v9, 32, v6
	v_subrev_u32_e32 v6, 28, v9
	v_lshlrev_b64 v[6:7], v6, v[2:3]
	v_lshrrev_b32_e32 v8, 3, v4
	v_sub_u32_e32 v7, 29, v9
	v_and_b32_e32 v6, 7, v6
	v_cmp_gt_u32_e32 vcc, 8, v4
	v_cndmask_b32_e32 v4, v8, v7, vcc
	v_cndmask_b32_e32 v3, v3, v6, vcc
	v_lshlrev_b32_e32 v2, 24, v2
	v_lshlrev_b32_e32 v3, 20, v3
	v_and_b32_e32 v2, 0x80000000, v2
	v_lshl_add_u32 v4, v4, 23, v51
	v_or3_b32 v3, v2, v4, v3
.LBB4_3680:                             ;   in Loop: Header=BB4_2615 Depth=2
	s_or_b64 exec, exec, s[58:59]
.LBB4_3681:                             ;   in Loop: Header=BB4_2615 Depth=2
	s_or_b64 exec, exec, s[56:57]
.LBB4_3682:                             ;   in Loop: Header=BB4_2615 Depth=2
	s_or_b64 exec, exec, s[20:21]
	v_max_f32_e32 v2, v3, v3
	v_max_f32_e32 v1, v1, v1
	v_min_f32_e32 v3, v1, v2
.LBB4_3683:                             ;   in Loop: Header=BB4_2615 Depth=2
	v_and_b32_sdwa v10, v3, s69 dst_sel:DWORD dst_unused:UNUSED_PAD src0_sel:BYTE_3 src1_sel:DWORD
	v_and_b32_e32 v6, 0x7f800000, v3
	v_mov_b32_e32 v7, v53
	v_and_b32_e32 v52, 0x7fffff, v3
	v_or_b32_e32 v1, 0x7e, v10
	v_cmp_ne_u64_e32 vcc, s[40:41], v[6:7]
	s_and_saveexec_b64 s[20:21], vcc
	s_xor_b64 s[56:57], exec, s[20:21]
	s_cbranch_execz .LBB4_3693
; %bb.3684:                             ;   in Loop: Header=BB4_2615 Depth=2
	v_and_b32_e32 v6, 0x7fffffff, v3
	v_mov_b32_e32 v7, v53
	v_cmp_gt_u64_e32 vcc, s[42:43], v[6:7]
	s_and_saveexec_b64 s[58:59], vcc
	s_cbranch_execz .LBB4_3692
; %bb.3685:                             ;   in Loop: Header=BB4_2615 Depth=2
	v_cmp_ne_u32_e32 vcc, 0, v3
	v_mov_b32_e32 v1, 0
	s_and_saveexec_b64 s[60:61], vcc
	s_cbranch_execz .LBB4_3691
; %bb.3686:                             ;   in Loop: Header=BB4_2615 Depth=2
	v_bfe_u32 v1, v3, 23, 8
	v_sub_u32_e32 v3, 0x79, v1
	v_cmp_gt_u32_e32 vcc, s73, v1
	v_add_u32_e32 v2, 0xffffff81, v1
	v_cndmask_b32_e32 v3, 0, v3, vcc
	v_cmp_eq_u32_e32 vcc, 0, v1
	v_mov_b32_e32 v1, 0xffffff82
	v_cndmask_b32_e32 v1, v2, v1, vcc
	v_mov_b32_e32 v2, 0x78
	v_or_b32_e32 v4, 0x800000, v52
	v_cndmask_b32_e32 v11, v3, v2, vcc
	v_cndmask_b32_e32 v52, v4, v52, vcc
	v_add_u32_e32 v2, 20, v11
	v_lshlrev_b64 v[2:3], v2, -1
	v_add_u32_e32 v4, 19, v11
	v_lshrrev_b64 v[8:9], v11, v[52:53]
	v_not_b32_e32 v3, v3
	v_not_b32_e32 v2, v2
	v_lshlrev_b64 v[6:7], v4, 1
	v_lshrrev_b32_e32 v4, 23, v8
	v_and_b32_e32 v3, 0, v3
	v_and_b32_e32 v2, v52, v2
	v_add3_u32 v14, v11, v1, v4
	v_bfe_u32 v1, v8, 20, 1
	v_add_u32_e32 v1, -1, v1
	v_cmp_eq_u64_e32 vcc, v[2:3], v[6:7]
	v_cndmask_b32_e32 v1, 0, v1, vcc
	v_add_u32_e32 v1, v1, v8
	v_and_b32_e32 v1, 0xfffff, v1
	v_add_co_u32_e32 v2, vcc, v1, v8
	v_add_u32_e32 v11, 6, v14
	v_addc_co_u32_e32 v3, vcc, 0, v9, vcc
	v_cmp_ne_u32_e32 vcc, 0, v11
                                        ; implicit-def: $vgpr1
	s_and_saveexec_b64 s[20:21], vcc
	s_xor_b64 s[20:21], exec, s[20:21]
; %bb.3687:                             ;   in Loop: Header=BB4_2615 Depth=2
	v_cmp_lt_u64_e32 vcc, s[46:47], v[2:3]
	v_add_u32_e32 v1, 7, v14
	v_cndmask_b32_e64 v4, 0, 1, vcc
	v_cndmask_b32_e32 v1, v11, v1, vcc
	v_lshrrev_b64 v[2:3], v4, v[2:3]
; %bb.3688:                             ;   in Loop: Header=BB4_2615 Depth=2
	s_andn2_saveexec_b64 s[20:21], s[20:21]
; %bb.3689:                             ;   in Loop: Header=BB4_2615 Depth=2
	v_bfe_u32 v1, v2, 23, 1
; %bb.3690:                             ;   in Loop: Header=BB4_2615 Depth=2
	s_or_b64 exec, exec, s[20:21]
	v_lshrrev_b64 v[2:3], 20, v[2:3]
	v_cmp_gt_i32_e32 vcc, 16, v1
	v_cndmask_b32_e32 v3, 0, v3, vcc
	v_cndmask_b32_e32 v2, 7, v2, vcc
	v_cmp_eq_u32_e32 vcc, 0, v1
	v_min_i32_e32 v1, 15, v1
	v_cmp_eq_u64_e64 s[20:21], 0, v[2:3]
	v_lshlrev_b32_e32 v1, 3, v1
	v_and_or_b32 v1, v2, 7, v1
	s_and_b64 s[20:21], vcc, s[20:21]
	v_cndmask_b32_e64 v1, v1, 0, s[20:21]
	v_or_b32_e32 v1, v1, v10
.LBB4_3691:                             ;   in Loop: Header=BB4_2615 Depth=2
	s_or_b64 exec, exec, s[60:61]
.LBB4_3692:                             ;   in Loop: Header=BB4_2615 Depth=2
	s_or_b64 exec, exec, s[58:59]
                                        ; implicit-def: $vgpr3
.LBB4_3693:                             ;   in Loop: Header=BB4_2615 Depth=2
	s_andn2_saveexec_b64 s[20:21], s[56:57]
; %bb.3694:                             ;   in Loop: Header=BB4_2615 Depth=2
	v_or_b32_sdwa v2, v3, s71 dst_sel:DWORD dst_unused:UNUSED_PAD src0_sel:BYTE_3 src1_sel:DWORD
	v_cmp_eq_u64_e32 vcc, 0, v[52:53]
	v_cndmask_b32_e32 v1, v2, v1, vcc
; %bb.3695:                             ;   in Loop: Header=BB4_2615 Depth=2
	s_or_b64 exec, exec, s[20:21]
	v_lshrrev_b32_e32 v10, 24, v16
	v_lshrrev_b32_e32 v2, 24, v12
	s_and_b64 vcc, exec, s[18:19]
	v_cmp_lt_u32_e64 s[20:21], s45, v16
	s_cbranch_vccnz .LBB4_3709
; %bb.3696:                             ;   in Loop: Header=BB4_2615 Depth=2
	v_mov_b32_e32 v11, 0
	v_mov_b32_e32 v3, 0
	s_and_saveexec_b64 s[56:57], s[20:21]
	s_cbranch_execz .LBB4_3702
; %bb.3697:                             ;   in Loop: Header=BB4_2615 Depth=2
	v_cmp_ne_u32_e32 vcc, s69, v10
	v_bfrev_b32_e32 v3, 1
	s_and_saveexec_b64 s[58:59], vcc
	s_cbranch_execz .LBB4_3701
; %bb.3698:                             ;   in Loop: Header=BB4_2615 Depth=2
	v_bfe_u32 v4, v16, 24, 7
	v_cmp_ne_u32_e32 vcc, s71, v4
	v_mov_b32_e32 v3, 0x7f800001
	s_and_saveexec_b64 s[60:61], vcc
	s_cbranch_execz .LBB4_3700
; %bb.3699:                             ;   in Loop: Header=BB4_2615 Depth=2
	v_and_b32_e32 v3, 7, v10
	v_ffbh_u32_e32 v6, v3
	v_min_u32_e32 v9, 32, v6
	v_subrev_u32_e32 v6, 28, v9
	v_lshlrev_b64 v[6:7], v6, v[10:11]
	v_lshrrev_b32_e32 v8, 3, v4
	v_sub_u32_e32 v7, 29, v9
	v_and_b32_e32 v6, 7, v6
	v_cmp_gt_u32_e32 vcc, 8, v4
	v_cndmask_b32_e32 v4, v8, v7, vcc
	v_cndmask_b32_e32 v3, v3, v6, vcc
	v_lshlrev_b32_e32 v6, 24, v10
	v_lshlrev_b32_e32 v3, 20, v3
	v_and_b32_e32 v6, 0x80000000, v6
	v_lshl_add_u32 v4, v4, 23, v51
	v_or3_b32 v3, v6, v4, v3
.LBB4_3700:                             ;   in Loop: Header=BB4_2615 Depth=2
	s_or_b64 exec, exec, s[60:61]
.LBB4_3701:                             ;   in Loop: Header=BB4_2615 Depth=2
	s_or_b64 exec, exec, s[58:59]
.LBB4_3702:                             ;   in Loop: Header=BB4_2615 Depth=2
	s_or_b64 exec, exec, s[56:57]
	v_cmp_lt_u32_e32 vcc, s45, v12
	s_and_saveexec_b64 s[56:57], vcc
	s_cbranch_execz .LBB4_3708
; %bb.3703:                             ;   in Loop: Header=BB4_2615 Depth=2
	v_cmp_ne_u32_e32 vcc, s69, v2
	v_bfrev_b32_e32 v11, 1
	s_and_saveexec_b64 s[58:59], vcc
	s_cbranch_execz .LBB4_3707
; %bb.3704:                             ;   in Loop: Header=BB4_2615 Depth=2
	v_bfe_u32 v4, v12, 24, 7
	v_cmp_ne_u32_e32 vcc, s71, v4
	v_mov_b32_e32 v11, 0x7f800001
	s_and_saveexec_b64 s[60:61], vcc
	s_cbranch_execz .LBB4_3706
; %bb.3705:                             ;   in Loop: Header=BB4_2615 Depth=2
	v_and_b32_e32 v8, 7, v2
	v_ffbh_u32_e32 v6, v8
	v_min_u32_e32 v11, 32, v6
	v_subrev_u32_e32 v6, 28, v11
	v_lshlrev_b64 v[6:7], v6, v[2:3]
	v_lshrrev_b32_e32 v9, 3, v4
	v_sub_u32_e32 v7, 29, v11
	v_and_b32_e32 v6, 7, v6
	v_cmp_gt_u32_e32 vcc, 8, v4
	v_cndmask_b32_e32 v4, v9, v7, vcc
	v_cndmask_b32_e32 v6, v8, v6, vcc
	v_lshlrev_b32_e32 v7, 24, v2
	v_lshlrev_b32_e32 v6, 20, v6
	v_and_b32_e32 v7, 0x80000000, v7
	v_lshl_add_u32 v4, v4, 23, v51
	v_or3_b32 v11, v7, v4, v6
.LBB4_3706:                             ;   in Loop: Header=BB4_2615 Depth=2
	s_or_b64 exec, exec, s[60:61]
.LBB4_3707:                             ;   in Loop: Header=BB4_2615 Depth=2
	s_or_b64 exec, exec, s[58:59]
.LBB4_3708:                             ;   in Loop: Header=BB4_2615 Depth=2
	s_or_b64 exec, exec, s[56:57]
	v_max_f32_e32 v4, v11, v11
	v_max_f32_e32 v3, v3, v3
	v_max_f32_e32 v3, v3, v4
	s_branch .LBB4_3723
.LBB4_3709:                             ;   in Loop: Header=BB4_2615 Depth=2
                                        ; implicit-def: $vgpr3
	s_cbranch_execz .LBB4_3723
; %bb.3710:                             ;   in Loop: Header=BB4_2615 Depth=2
	v_mov_b32_e32 v11, 0
	v_mov_b32_e32 v3, 0
	s_and_saveexec_b64 s[56:57], s[20:21]
	s_cbranch_execz .LBB4_3716
; %bb.3711:                             ;   in Loop: Header=BB4_2615 Depth=2
	v_cmp_ne_u32_e32 vcc, s69, v10
	v_bfrev_b32_e32 v3, 1
	s_and_saveexec_b64 s[20:21], vcc
	s_cbranch_execz .LBB4_3715
; %bb.3712:                             ;   in Loop: Header=BB4_2615 Depth=2
	v_bfe_u32 v4, v16, 24, 7
	v_cmp_ne_u32_e32 vcc, s71, v4
	v_mov_b32_e32 v3, 0x7f800001
	s_and_saveexec_b64 s[58:59], vcc
	s_cbranch_execz .LBB4_3714
; %bb.3713:                             ;   in Loop: Header=BB4_2615 Depth=2
	v_and_b32_e32 v3, 7, v10
	v_ffbh_u32_e32 v6, v3
	v_min_u32_e32 v9, 32, v6
	v_subrev_u32_e32 v6, 28, v9
	v_lshlrev_b64 v[6:7], v6, v[10:11]
	v_lshrrev_b32_e32 v8, 3, v4
	v_sub_u32_e32 v7, 29, v9
	v_and_b32_e32 v6, 7, v6
	v_cmp_gt_u32_e32 vcc, 8, v4
	v_cndmask_b32_e32 v4, v8, v7, vcc
	v_cndmask_b32_e32 v3, v3, v6, vcc
	v_lshlrev_b32_e32 v6, 24, v10
	v_lshlrev_b32_e32 v3, 20, v3
	v_and_b32_e32 v6, 0x80000000, v6
	v_lshl_add_u32 v4, v4, 23, v51
	v_or3_b32 v3, v6, v4, v3
.LBB4_3714:                             ;   in Loop: Header=BB4_2615 Depth=2
	s_or_b64 exec, exec, s[58:59]
.LBB4_3715:                             ;   in Loop: Header=BB4_2615 Depth=2
	s_or_b64 exec, exec, s[20:21]
.LBB4_3716:                             ;   in Loop: Header=BB4_2615 Depth=2
	s_or_b64 exec, exec, s[56:57]
	v_cmp_lt_u32_e32 vcc, s45, v12
	s_and_saveexec_b64 s[20:21], vcc
	s_cbranch_execz .LBB4_3722
; %bb.3717:                             ;   in Loop: Header=BB4_2615 Depth=2
	v_cmp_ne_u32_e32 vcc, s69, v2
	v_bfrev_b32_e32 v11, 1
	s_and_saveexec_b64 s[56:57], vcc
	s_cbranch_execz .LBB4_3721
; %bb.3718:                             ;   in Loop: Header=BB4_2615 Depth=2
	v_bfe_u32 v4, v12, 24, 7
	v_cmp_ne_u32_e32 vcc, s71, v4
	v_mov_b32_e32 v11, 0x7f800001
	s_and_saveexec_b64 s[58:59], vcc
	s_cbranch_execz .LBB4_3720
; %bb.3719:                             ;   in Loop: Header=BB4_2615 Depth=2
	v_and_b32_e32 v8, 7, v2
	v_ffbh_u32_e32 v6, v8
	v_min_u32_e32 v10, 32, v6
	v_subrev_u32_e32 v6, 28, v10
	v_lshlrev_b64 v[6:7], v6, v[2:3]
	v_lshrrev_b32_e32 v9, 3, v4
	v_sub_u32_e32 v7, 29, v10
	v_and_b32_e32 v6, 7, v6
	v_cmp_gt_u32_e32 vcc, 8, v4
	v_cndmask_b32_e32 v4, v9, v7, vcc
	v_cndmask_b32_e32 v6, v8, v6, vcc
	v_lshlrev_b32_e32 v2, 24, v2
	v_lshlrev_b32_e32 v6, 20, v6
	v_and_b32_e32 v2, 0x80000000, v2
	v_lshl_add_u32 v4, v4, 23, v51
	v_or3_b32 v11, v2, v4, v6
.LBB4_3720:                             ;   in Loop: Header=BB4_2615 Depth=2
	s_or_b64 exec, exec, s[58:59]
.LBB4_3721:                             ;   in Loop: Header=BB4_2615 Depth=2
	s_or_b64 exec, exec, s[56:57]
.LBB4_3722:                             ;   in Loop: Header=BB4_2615 Depth=2
	s_or_b64 exec, exec, s[20:21]
	v_max_f32_e32 v2, v11, v11
	v_max_f32_e32 v3, v3, v3
	v_min_f32_e32 v3, v3, v2
.LBB4_3723:                             ;   in Loop: Header=BB4_2615 Depth=2
	v_and_b32_sdwa v10, v3, s69 dst_sel:DWORD dst_unused:UNUSED_PAD src0_sel:BYTE_3 src1_sel:DWORD
	v_and_b32_e32 v6, 0x7f800000, v3
	v_mov_b32_e32 v7, v53
	v_and_b32_e32 v52, 0x7fffff, v3
	v_or_b32_e32 v48, 0x7e, v10
	v_cmp_ne_u64_e32 vcc, s[40:41], v[6:7]
	s_and_saveexec_b64 s[20:21], vcc
	s_xor_b64 s[56:57], exec, s[20:21]
	s_cbranch_execz .LBB4_3733
; %bb.3724:                             ;   in Loop: Header=BB4_2615 Depth=2
	v_and_b32_e32 v6, 0x7fffffff, v3
	v_mov_b32_e32 v7, v53
	v_cmp_gt_u64_e32 vcc, s[42:43], v[6:7]
	s_and_saveexec_b64 s[58:59], vcc
	s_cbranch_execz .LBB4_3732
; %bb.3725:                             ;   in Loop: Header=BB4_2615 Depth=2
	v_cmp_ne_u32_e32 vcc, 0, v3
	v_mov_b32_e32 v48, 0
	s_and_saveexec_b64 s[60:61], vcc
	s_cbranch_execz .LBB4_3731
; %bb.3726:                             ;   in Loop: Header=BB4_2615 Depth=2
	v_bfe_u32 v2, v3, 23, 8
	v_sub_u32_e32 v4, 0x79, v2
	v_cmp_gt_u32_e32 vcc, s73, v2
	v_add_u32_e32 v3, 0xffffff81, v2
	v_cndmask_b32_e32 v4, 0, v4, vcc
	v_cmp_eq_u32_e32 vcc, 0, v2
	v_mov_b32_e32 v2, 0xffffff82
	v_cndmask_b32_e32 v11, v3, v2, vcc
	v_mov_b32_e32 v2, 0x78
	v_or_b32_e32 v6, 0x800000, v52
	v_cndmask_b32_e32 v4, v4, v2, vcc
	v_cndmask_b32_e32 v52, v6, v52, vcc
	v_add_u32_e32 v2, 20, v4
	v_lshlrev_b64 v[2:3], v2, -1
	v_lshrrev_b64 v[8:9], v4, v[52:53]
	v_not_b32_e32 v3, v3
	v_not_b32_e32 v2, v2
	v_add_u32_e32 v6, 19, v4
	v_lshrrev_b32_e32 v14, 23, v8
	v_and_b32_e32 v3, 0, v3
	v_and_b32_e32 v2, v52, v2
	v_lshlrev_b64 v[6:7], v6, 1
	v_add3_u32 v48, v4, v11, v14
	v_bfe_u32 v4, v8, 20, 1
	v_add_u32_e32 v4, -1, v4
	v_cmp_eq_u64_e32 vcc, v[2:3], v[6:7]
	v_cndmask_b32_e32 v2, 0, v4, vcc
	v_add_u32_e32 v2, v2, v8
	v_and_b32_e32 v2, 0xfffff, v2
	v_add_co_u32_e32 v2, vcc, v2, v8
	v_add_u32_e32 v14, 6, v48
	v_addc_co_u32_e32 v3, vcc, 0, v9, vcc
	v_cmp_ne_u32_e32 vcc, 0, v14
                                        ; implicit-def: $vgpr11
	s_and_saveexec_b64 s[20:21], vcc
	s_xor_b64 s[20:21], exec, s[20:21]
; %bb.3727:                             ;   in Loop: Header=BB4_2615 Depth=2
	v_add_u32_e32 v4, 7, v48
	v_cmp_lt_u64_e32 vcc, s[46:47], v[2:3]
	v_cndmask_b32_e32 v11, v14, v4, vcc
	v_cndmask_b32_e64 v4, 0, 1, vcc
	v_lshrrev_b64 v[2:3], v4, v[2:3]
; %bb.3728:                             ;   in Loop: Header=BB4_2615 Depth=2
	s_andn2_saveexec_b64 s[20:21], s[20:21]
; %bb.3729:                             ;   in Loop: Header=BB4_2615 Depth=2
	v_bfe_u32 v11, v2, 23, 1
; %bb.3730:                             ;   in Loop: Header=BB4_2615 Depth=2
	s_or_b64 exec, exec, s[20:21]
	v_lshrrev_b64 v[2:3], 20, v[2:3]
	v_cmp_gt_i32_e32 vcc, 16, v11
	v_cndmask_b32_e32 v3, 0, v3, vcc
	v_cndmask_b32_e32 v2, 7, v2, vcc
	v_cmp_eq_u64_e64 s[20:21], 0, v[2:3]
	v_min_i32_e32 v3, 15, v11
	v_cmp_eq_u32_e32 vcc, 0, v11
	v_lshlrev_b32_e32 v3, 3, v3
	v_and_or_b32 v2, v2, 7, v3
	s_and_b64 s[20:21], vcc, s[20:21]
	v_cndmask_b32_e64 v2, v2, 0, s[20:21]
	v_or_b32_e32 v48, v2, v10
.LBB4_3731:                             ;   in Loop: Header=BB4_2615 Depth=2
	s_or_b64 exec, exec, s[60:61]
.LBB4_3732:                             ;   in Loop: Header=BB4_2615 Depth=2
	s_or_b64 exec, exec, s[58:59]
                                        ; implicit-def: $vgpr3
.LBB4_3733:                             ;   in Loop: Header=BB4_2615 Depth=2
	s_andn2_saveexec_b64 s[20:21], s[56:57]
; %bb.3734:                             ;   in Loop: Header=BB4_2615 Depth=2
	v_or_b32_sdwa v2, v3, s71 dst_sel:DWORD dst_unused:UNUSED_PAD src0_sel:BYTE_3 src1_sel:DWORD
	v_cmp_eq_u64_e32 vcc, 0, v[52:53]
	v_cndmask_b32_e32 v48, v2, v48, vcc
; %bb.3735:                             ;   in Loop: Header=BB4_2615 Depth=2
	s_or_b64 exec, exec, s[20:21]
	v_mov_b32_e32 v52, v17
	v_mov_b32_e32 v2, v13
	v_mov_b32_e32 v3, v53
	s_and_b64 vcc, exec, s[18:19]
	v_cmp_ne_u16_sdwa s[20:21], v17, v53 src0_sel:BYTE_0 src1_sel:DWORD
	s_cbranch_vccnz .LBB4_3749
; %bb.3736:                             ;   in Loop: Header=BB4_2615 Depth=2
	v_mov_b32_e32 v11, 0
	v_mov_b32_e32 v10, 0
	s_and_saveexec_b64 s[56:57], s[20:21]
	s_cbranch_execz .LBB4_3742
; %bb.3737:                             ;   in Loop: Header=BB4_2615 Depth=2
	v_cmp_ne_u16_sdwa vcc, v17, s69 src0_sel:BYTE_0 src1_sel:DWORD
	v_bfrev_b32_e32 v10, 1
	s_and_saveexec_b64 s[58:59], vcc
	s_cbranch_execz .LBB4_3741
; %bb.3738:                             ;   in Loop: Header=BB4_2615 Depth=2
	v_and_b32_e32 v4, 0x7f, v17
	v_cmp_ne_u32_e32 vcc, s71, v4
	v_mov_b32_e32 v10, 0x7f800001
	s_and_saveexec_b64 s[60:61], vcc
	s_cbranch_execz .LBB4_3740
; %bb.3739:                             ;   in Loop: Header=BB4_2615 Depth=2
	v_and_b32_e32 v6, 7, v17
	v_ffbh_u32_e32 v6, v6
	v_min_u32_e32 v6, 32, v6
	v_lshrrev_b32_e32 v7, 3, v4
	v_subrev_u32_e32 v8, 28, v6
	v_sub_u32_e32 v6, 29, v6
	v_cmp_gt_u32_e32 vcc, 8, v4
	v_cndmask_b32_e32 v4, v7, v6, vcc
	v_cndmask_b32_e32 v6, 0, v8, vcc
	v_lshlrev_b64 v[6:7], v6, v[52:53]
	v_lshlrev_b32_e32 v6, 20, v6
	v_lshlrev_b32_e32 v7, 24, v52
	v_and_b32_e32 v6, 0x700000, v6
	v_and_b32_e32 v7, 0x80000000, v7
	v_lshl_add_u32 v4, v4, 23, v51
	v_or3_b32 v10, v7, v4, v6
.LBB4_3740:                             ;   in Loop: Header=BB4_2615 Depth=2
	s_or_b64 exec, exec, s[60:61]
.LBB4_3741:                             ;   in Loop: Header=BB4_2615 Depth=2
	s_or_b64 exec, exec, s[58:59]
.LBB4_3742:                             ;   in Loop: Header=BB4_2615 Depth=2
	s_or_b64 exec, exec, s[56:57]
	v_cmp_ne_u16_sdwa vcc, v13, v53 src0_sel:BYTE_0 src1_sel:DWORD
	s_and_saveexec_b64 s[56:57], vcc
	s_cbranch_execz .LBB4_3748
; %bb.3743:                             ;   in Loop: Header=BB4_2615 Depth=2
	v_cmp_ne_u16_sdwa vcc, v13, s69 src0_sel:BYTE_0 src1_sel:DWORD
	v_bfrev_b32_e32 v11, 1
	s_and_saveexec_b64 s[58:59], vcc
	s_cbranch_execz .LBB4_3747
; %bb.3744:                             ;   in Loop: Header=BB4_2615 Depth=2
	v_and_b32_e32 v4, 0x7f, v13
	v_cmp_ne_u32_e32 vcc, s71, v4
	v_mov_b32_e32 v11, 0x7f800001
	s_and_saveexec_b64 s[60:61], vcc
	s_cbranch_execz .LBB4_3746
; %bb.3745:                             ;   in Loop: Header=BB4_2615 Depth=2
	v_and_b32_e32 v6, 7, v13
	v_ffbh_u32_e32 v6, v6
	v_min_u32_e32 v6, 32, v6
	v_lshrrev_b32_e32 v7, 3, v4
	v_subrev_u32_e32 v8, 28, v6
	v_sub_u32_e32 v6, 29, v6
	v_cmp_gt_u32_e32 vcc, 8, v4
	v_cndmask_b32_e32 v4, v7, v6, vcc
	v_cndmask_b32_e32 v6, 0, v8, vcc
	v_lshlrev_b64 v[6:7], v6, v[2:3]
	v_lshlrev_b32_e32 v6, 20, v6
	v_lshlrev_b32_e32 v7, 24, v2
	v_and_b32_e32 v6, 0x700000, v6
	v_and_b32_e32 v7, 0x80000000, v7
	v_lshl_add_u32 v4, v4, 23, v51
	v_or3_b32 v11, v7, v4, v6
.LBB4_3746:                             ;   in Loop: Header=BB4_2615 Depth=2
	s_or_b64 exec, exec, s[60:61]
.LBB4_3747:                             ;   in Loop: Header=BB4_2615 Depth=2
	s_or_b64 exec, exec, s[58:59]
.LBB4_3748:                             ;   in Loop: Header=BB4_2615 Depth=2
	s_or_b64 exec, exec, s[56:57]
	v_max_f32_e32 v4, v11, v11
	v_max_f32_e32 v6, v10, v10
	;; [unrolled: 1-line block ×3, first 2 shown]
	s_branch .LBB4_3763
.LBB4_3749:                             ;   in Loop: Header=BB4_2615 Depth=2
                                        ; implicit-def: $vgpr14
	s_cbranch_execz .LBB4_3763
; %bb.3750:                             ;   in Loop: Header=BB4_2615 Depth=2
	v_mov_b32_e32 v11, 0
	v_mov_b32_e32 v10, 0
	s_and_saveexec_b64 s[56:57], s[20:21]
	s_cbranch_execz .LBB4_3756
; %bb.3751:                             ;   in Loop: Header=BB4_2615 Depth=2
	v_cmp_ne_u16_sdwa vcc, v17, s69 src0_sel:BYTE_0 src1_sel:DWORD
	v_bfrev_b32_e32 v10, 1
	s_and_saveexec_b64 s[20:21], vcc
	s_cbranch_execz .LBB4_3755
; %bb.3752:                             ;   in Loop: Header=BB4_2615 Depth=2
	v_and_b32_e32 v4, 0x7f, v17
	v_cmp_ne_u32_e32 vcc, s71, v4
	v_mov_b32_e32 v10, 0x7f800001
	s_and_saveexec_b64 s[58:59], vcc
	s_cbranch_execz .LBB4_3754
; %bb.3753:                             ;   in Loop: Header=BB4_2615 Depth=2
	v_and_b32_e32 v6, 7, v17
	v_ffbh_u32_e32 v6, v6
	v_min_u32_e32 v6, 32, v6
	v_lshrrev_b32_e32 v7, 3, v4
	v_subrev_u32_e32 v8, 28, v6
	v_sub_u32_e32 v6, 29, v6
	v_cmp_gt_u32_e32 vcc, 8, v4
	v_cndmask_b32_e32 v4, v7, v6, vcc
	v_cndmask_b32_e32 v6, 0, v8, vcc
	v_lshlrev_b64 v[6:7], v6, v[52:53]
	v_lshlrev_b32_e32 v6, 20, v6
	v_lshlrev_b32_e32 v7, 24, v52
	v_and_b32_e32 v6, 0x700000, v6
	v_and_b32_e32 v7, 0x80000000, v7
	v_lshl_add_u32 v4, v4, 23, v51
	v_or3_b32 v10, v7, v4, v6
.LBB4_3754:                             ;   in Loop: Header=BB4_2615 Depth=2
	s_or_b64 exec, exec, s[58:59]
.LBB4_3755:                             ;   in Loop: Header=BB4_2615 Depth=2
	s_or_b64 exec, exec, s[20:21]
.LBB4_3756:                             ;   in Loop: Header=BB4_2615 Depth=2
	s_or_b64 exec, exec, s[56:57]
	v_cmp_ne_u16_sdwa vcc, v13, v53 src0_sel:BYTE_0 src1_sel:DWORD
	s_and_saveexec_b64 s[20:21], vcc
	s_cbranch_execz .LBB4_3762
; %bb.3757:                             ;   in Loop: Header=BB4_2615 Depth=2
	v_cmp_ne_u16_sdwa vcc, v13, s69 src0_sel:BYTE_0 src1_sel:DWORD
	v_bfrev_b32_e32 v11, 1
	s_and_saveexec_b64 s[56:57], vcc
	s_cbranch_execz .LBB4_3761
; %bb.3758:                             ;   in Loop: Header=BB4_2615 Depth=2
	v_and_b32_e32 v4, 0x7f, v13
	v_cmp_ne_u32_e32 vcc, s71, v4
	v_mov_b32_e32 v11, 0x7f800001
	s_and_saveexec_b64 s[58:59], vcc
	s_cbranch_execz .LBB4_3760
; %bb.3759:                             ;   in Loop: Header=BB4_2615 Depth=2
	v_and_b32_e32 v6, 7, v13
	v_ffbh_u32_e32 v6, v6
	v_min_u32_e32 v6, 32, v6
	v_lshrrev_b32_e32 v7, 3, v4
	v_subrev_u32_e32 v8, 28, v6
	v_sub_u32_e32 v6, 29, v6
	v_cmp_gt_u32_e32 vcc, 8, v4
	v_cndmask_b32_e32 v4, v7, v6, vcc
	v_cndmask_b32_e32 v6, 0, v8, vcc
	v_lshlrev_b64 v[6:7], v6, v[2:3]
	v_lshlrev_b32_e32 v3, 20, v6
	v_lshlrev_b32_e32 v6, 24, v2
	v_and_b32_e32 v3, 0x700000, v3
	v_and_b32_e32 v6, 0x80000000, v6
	v_lshl_add_u32 v4, v4, 23, v51
	v_or3_b32 v11, v6, v4, v3
.LBB4_3760:                             ;   in Loop: Header=BB4_2615 Depth=2
	s_or_b64 exec, exec, s[58:59]
.LBB4_3761:                             ;   in Loop: Header=BB4_2615 Depth=2
	s_or_b64 exec, exec, s[56:57]
.LBB4_3762:                             ;   in Loop: Header=BB4_2615 Depth=2
	s_or_b64 exec, exec, s[20:21]
	v_max_f32_e32 v3, v11, v11
	v_max_f32_e32 v4, v10, v10
	v_min_f32_e32 v14, v4, v3
.LBB4_3763:                             ;   in Loop: Header=BB4_2615 Depth=2
	v_and_b32_sdwa v3, v14, s69 dst_sel:DWORD dst_unused:UNUSED_PAD src0_sel:BYTE_3 src1_sel:DWORD
	v_and_b32_e32 v6, 0x7f800000, v14
	v_mov_b32_e32 v7, v53
	v_and_b32_e32 v10, 0x7fffff, v14
	v_mov_b32_e32 v11, v53
	v_or_b32_e32 v49, 0x7e, v3
	v_cmp_ne_u64_e32 vcc, s[40:41], v[6:7]
	s_and_saveexec_b64 s[20:21], vcc
	s_xor_b64 s[56:57], exec, s[20:21]
	s_cbranch_execz .LBB4_3773
; %bb.3764:                             ;   in Loop: Header=BB4_2615 Depth=2
	v_and_b32_e32 v6, 0x7fffffff, v14
	v_mov_b32_e32 v7, v53
	v_cmp_gt_u64_e32 vcc, s[42:43], v[6:7]
	s_and_saveexec_b64 s[58:59], vcc
	s_cbranch_execz .LBB4_3772
; %bb.3765:                             ;   in Loop: Header=BB4_2615 Depth=2
	v_cmp_ne_u32_e32 vcc, 0, v14
	v_mov_b32_e32 v49, 0
	s_and_saveexec_b64 s[60:61], vcc
	s_cbranch_execz .LBB4_3771
; %bb.3766:                             ;   in Loop: Header=BB4_2615 Depth=2
	v_bfe_u32 v4, v14, 23, 8
	v_sub_u32_e32 v7, 0x79, v4
	v_cmp_gt_u32_e32 vcc, s73, v4
	v_add_u32_e32 v6, 0xffffff81, v4
	v_cndmask_b32_e32 v7, 0, v7, vcc
	v_cmp_eq_u32_e32 vcc, 0, v4
	v_mov_b32_e32 v4, 0xffffff82
	v_cndmask_b32_e32 v4, v6, v4, vcc
	v_mov_b32_e32 v6, 0x78
	v_cndmask_b32_e32 v14, v7, v6, vcc
	v_add_u32_e32 v6, 20, v14
	v_or_b32_e32 v8, 0x800000, v10
	v_lshlrev_b64 v[6:7], v6, -1
	v_cndmask_b32_e32 v10, v8, v10, vcc
	v_not_b32_e32 v6, v6
	v_and_b32_e32 v6, v10, v6
	v_lshrrev_b64 v[10:11], v14, v[10:11]
	v_not_b32_e32 v7, v7
	v_add_u32_e32 v8, 19, v14
	v_lshrrev_b32_e32 v38, 23, v10
	v_and_b32_e32 v7, 0, v7
	v_lshlrev_b64 v[8:9], v8, 1
	v_add3_u32 v4, v14, v4, v38
	v_bfe_u32 v14, v10, 20, 1
	v_add_u32_e32 v14, -1, v14
	v_cmp_eq_u64_e32 vcc, v[6:7], v[8:9]
	v_cndmask_b32_e32 v6, 0, v14, vcc
	v_add_u32_e32 v6, v6, v10
	v_and_b32_e32 v6, 0xfffff, v6
	v_add_co_u32_e32 v10, vcc, v6, v10
	v_add_u32_e32 v49, 6, v4
	v_addc_co_u32_e32 v11, vcc, 0, v11, vcc
	v_cmp_ne_u32_e32 vcc, 0, v49
                                        ; implicit-def: $vgpr14
	s_and_saveexec_b64 s[20:21], vcc
	s_xor_b64 s[20:21], exec, s[20:21]
; %bb.3767:                             ;   in Loop: Header=BB4_2615 Depth=2
	v_add_u32_e32 v4, 7, v4
	v_cmp_lt_u64_e32 vcc, s[46:47], v[10:11]
	v_cndmask_b32_e32 v14, v49, v4, vcc
	v_cndmask_b32_e64 v4, 0, 1, vcc
	v_lshrrev_b64 v[10:11], v4, v[10:11]
; %bb.3768:                             ;   in Loop: Header=BB4_2615 Depth=2
	s_andn2_saveexec_b64 s[20:21], s[20:21]
; %bb.3769:                             ;   in Loop: Header=BB4_2615 Depth=2
	v_bfe_u32 v14, v10, 23, 1
; %bb.3770:                             ;   in Loop: Header=BB4_2615 Depth=2
	s_or_b64 exec, exec, s[20:21]
	v_lshrrev_b64 v[6:7], 20, v[10:11]
	v_cmp_gt_i32_e32 vcc, 16, v14
	v_cndmask_b32_e32 v7, 0, v7, vcc
	v_cndmask_b32_e32 v6, 7, v6, vcc
	v_min_i32_e32 v4, 15, v14
	v_cmp_eq_u32_e32 vcc, 0, v14
	v_cmp_eq_u64_e64 s[20:21], 0, v[6:7]
	v_lshlrev_b32_e32 v4, 3, v4
	v_and_or_b32 v4, v6, 7, v4
	s_and_b64 s[20:21], vcc, s[20:21]
	v_cndmask_b32_e64 v4, v4, 0, s[20:21]
	v_or_b32_e32 v49, v4, v3
.LBB4_3771:                             ;   in Loop: Header=BB4_2615 Depth=2
	s_or_b64 exec, exec, s[60:61]
.LBB4_3772:                             ;   in Loop: Header=BB4_2615 Depth=2
	s_or_b64 exec, exec, s[58:59]
                                        ; implicit-def: $vgpr14
                                        ; implicit-def: $vgpr10_vgpr11
.LBB4_3773:                             ;   in Loop: Header=BB4_2615 Depth=2
	s_andn2_saveexec_b64 s[20:21], s[56:57]
; %bb.3774:                             ;   in Loop: Header=BB4_2615 Depth=2
	v_or_b32_sdwa v3, v14, s71 dst_sel:DWORD dst_unused:UNUSED_PAD src0_sel:BYTE_3 src1_sel:DWORD
	v_cmp_eq_u64_e32 vcc, 0, v[10:11]
	v_cndmask_b32_e32 v49, v3, v49, vcc
; %bb.3775:                             ;   in Loop: Header=BB4_2615 Depth=2
	s_or_b64 exec, exec, s[20:21]
	v_lshrrev_b16_e32 v14, 8, v52
	v_lshrrev_b16_e32 v10, 8, v2
	s_and_b64 vcc, exec, s[18:19]
	v_cmp_ne_u16_e64 s[20:21], 0, v14
	s_cbranch_vccnz .LBB4_3789
; %bb.3776:                             ;   in Loop: Header=BB4_2615 Depth=2
	v_mov_b32_e32 v11, 0
	v_mov_b32_e32 v3, 0
	s_and_saveexec_b64 s[56:57], s[20:21]
	s_cbranch_execz .LBB4_3782
; %bb.3777:                             ;   in Loop: Header=BB4_2615 Depth=2
	v_cmp_ne_u16_e32 vcc, s69, v14
	v_bfrev_b32_e32 v3, 1
	s_and_saveexec_b64 s[58:59], vcc
	s_cbranch_execz .LBB4_3781
; %bb.3778:                             ;   in Loop: Header=BB4_2615 Depth=2
	v_and_b32_e32 v4, 0x7f, v14
	v_cmp_ne_u32_e32 vcc, s71, v4
	v_mov_b32_e32 v3, 0x7f800001
	s_and_saveexec_b64 s[60:61], vcc
	s_cbranch_execz .LBB4_3780
; %bb.3779:                             ;   in Loop: Header=BB4_2615 Depth=2
	v_and_b32_e32 v3, 7, v14
	v_ffbh_u32_e32 v6, v3
	v_min_u32_e32 v9, 32, v6
	v_subrev_u32_e32 v6, 28, v9
	v_lshlrev_b64 v[6:7], v6, v[14:15]
	v_lshrrev_b32_e32 v8, 3, v4
	v_sub_u32_e32 v7, 29, v9
	v_and_b32_e32 v6, 7, v6
	v_cmp_gt_u32_e32 vcc, 8, v4
	v_cndmask_b32_e32 v4, v8, v7, vcc
	v_cndmask_b32_e32 v3, v3, v6, vcc
	v_lshlrev_b32_e32 v6, 16, v52
	v_lshlrev_b32_e32 v3, 20, v3
	v_and_b32_e32 v6, 0x80000000, v6
	v_lshl_add_u32 v4, v4, 23, v51
	v_or3_b32 v3, v6, v4, v3
.LBB4_3780:                             ;   in Loop: Header=BB4_2615 Depth=2
	s_or_b64 exec, exec, s[60:61]
.LBB4_3781:                             ;   in Loop: Header=BB4_2615 Depth=2
	s_or_b64 exec, exec, s[58:59]
.LBB4_3782:                             ;   in Loop: Header=BB4_2615 Depth=2
	s_or_b64 exec, exec, s[56:57]
	v_cmp_ne_u16_e32 vcc, 0, v10
	s_and_saveexec_b64 s[56:57], vcc
	s_cbranch_execz .LBB4_3788
; %bb.3783:                             ;   in Loop: Header=BB4_2615 Depth=2
	v_cmp_ne_u16_e32 vcc, s69, v10
	v_bfrev_b32_e32 v11, 1
	s_and_saveexec_b64 s[58:59], vcc
	s_cbranch_execz .LBB4_3787
; %bb.3784:                             ;   in Loop: Header=BB4_2615 Depth=2
	v_and_b32_e32 v4, 0x7f, v10
	v_cmp_ne_u32_e32 vcc, s71, v4
	v_mov_b32_e32 v11, 0x7f800001
	s_and_saveexec_b64 s[60:61], vcc
	s_cbranch_execz .LBB4_3786
; %bb.3785:                             ;   in Loop: Header=BB4_2615 Depth=2
	v_and_b32_e32 v8, 7, v10
	v_ffbh_u32_e32 v6, v8
	v_min_u32_e32 v11, 32, v6
	v_subrev_u32_e32 v6, 28, v11
	v_lshlrev_b64 v[6:7], v6, v[10:11]
	v_lshrrev_b32_e32 v9, 3, v4
	v_sub_u32_e32 v7, 29, v11
	v_and_b32_e32 v6, 7, v6
	v_cmp_gt_u32_e32 vcc, 8, v4
	v_cndmask_b32_e32 v4, v9, v7, vcc
	v_cndmask_b32_e32 v6, v8, v6, vcc
	v_lshlrev_b32_e32 v7, 16, v2
	v_lshlrev_b32_e32 v6, 20, v6
	v_and_b32_e32 v7, 0x80000000, v7
	v_lshl_add_u32 v4, v4, 23, v51
	v_or3_b32 v11, v7, v4, v6
.LBB4_3786:                             ;   in Loop: Header=BB4_2615 Depth=2
	s_or_b64 exec, exec, s[60:61]
.LBB4_3787:                             ;   in Loop: Header=BB4_2615 Depth=2
	s_or_b64 exec, exec, s[58:59]
.LBB4_3788:                             ;   in Loop: Header=BB4_2615 Depth=2
	s_or_b64 exec, exec, s[56:57]
	v_max_f32_e32 v4, v11, v11
	v_max_f32_e32 v3, v3, v3
	;; [unrolled: 1-line block ×3, first 2 shown]
	s_branch .LBB4_3803
.LBB4_3789:                             ;   in Loop: Header=BB4_2615 Depth=2
                                        ; implicit-def: $vgpr3
	s_cbranch_execz .LBB4_3803
; %bb.3790:                             ;   in Loop: Header=BB4_2615 Depth=2
	v_mov_b32_e32 v11, 0
	v_mov_b32_e32 v3, 0
	s_and_saveexec_b64 s[56:57], s[20:21]
	s_cbranch_execz .LBB4_3796
; %bb.3791:                             ;   in Loop: Header=BB4_2615 Depth=2
	v_cmp_ne_u16_e32 vcc, s69, v14
	v_bfrev_b32_e32 v3, 1
	s_and_saveexec_b64 s[20:21], vcc
	s_cbranch_execz .LBB4_3795
; %bb.3792:                             ;   in Loop: Header=BB4_2615 Depth=2
	v_and_b32_e32 v4, 0x7f, v14
	v_cmp_ne_u32_e32 vcc, s71, v4
	v_mov_b32_e32 v3, 0x7f800001
	s_and_saveexec_b64 s[58:59], vcc
	s_cbranch_execz .LBB4_3794
; %bb.3793:                             ;   in Loop: Header=BB4_2615 Depth=2
	v_and_b32_e32 v3, 7, v14
	v_ffbh_u32_e32 v6, v3
	v_min_u32_e32 v9, 32, v6
	v_subrev_u32_e32 v6, 28, v9
	v_lshlrev_b64 v[6:7], v6, v[14:15]
	v_lshrrev_b32_e32 v8, 3, v4
	v_sub_u32_e32 v7, 29, v9
	v_and_b32_e32 v6, 7, v6
	v_cmp_gt_u32_e32 vcc, 8, v4
	v_cndmask_b32_e32 v4, v8, v7, vcc
	v_cndmask_b32_e32 v3, v3, v6, vcc
	v_lshlrev_b32_e32 v6, 16, v52
	v_lshlrev_b32_e32 v3, 20, v3
	v_and_b32_e32 v6, 0x80000000, v6
	v_lshl_add_u32 v4, v4, 23, v51
	v_or3_b32 v3, v6, v4, v3
.LBB4_3794:                             ;   in Loop: Header=BB4_2615 Depth=2
	s_or_b64 exec, exec, s[58:59]
.LBB4_3795:                             ;   in Loop: Header=BB4_2615 Depth=2
	s_or_b64 exec, exec, s[20:21]
.LBB4_3796:                             ;   in Loop: Header=BB4_2615 Depth=2
	s_or_b64 exec, exec, s[56:57]
	v_cmp_ne_u16_e32 vcc, 0, v10
	s_and_saveexec_b64 s[20:21], vcc
	s_cbranch_execz .LBB4_3802
; %bb.3797:                             ;   in Loop: Header=BB4_2615 Depth=2
	v_cmp_ne_u16_e32 vcc, s69, v10
	v_bfrev_b32_e32 v11, 1
	s_and_saveexec_b64 s[56:57], vcc
	s_cbranch_execz .LBB4_3801
; %bb.3798:                             ;   in Loop: Header=BB4_2615 Depth=2
	v_and_b32_e32 v4, 0x7f, v10
	v_cmp_ne_u32_e32 vcc, s71, v4
	v_mov_b32_e32 v11, 0x7f800001
	s_and_saveexec_b64 s[58:59], vcc
	s_cbranch_execz .LBB4_3800
; %bb.3799:                             ;   in Loop: Header=BB4_2615 Depth=2
	v_and_b32_e32 v8, 7, v10
	v_ffbh_u32_e32 v6, v8
	v_min_u32_e32 v11, 32, v6
	v_subrev_u32_e32 v6, 28, v11
	v_lshlrev_b64 v[6:7], v6, v[10:11]
	v_lshrrev_b32_e32 v9, 3, v4
	v_sub_u32_e32 v7, 29, v11
	v_and_b32_e32 v6, 7, v6
	v_cmp_gt_u32_e32 vcc, 8, v4
	v_cndmask_b32_e32 v4, v9, v7, vcc
	v_cndmask_b32_e32 v6, v8, v6, vcc
	v_lshlrev_b32_e32 v2, 16, v2
	v_lshlrev_b32_e32 v6, 20, v6
	v_and_b32_e32 v2, 0x80000000, v2
	v_lshl_add_u32 v4, v4, 23, v51
	v_or3_b32 v11, v2, v4, v6
.LBB4_3800:                             ;   in Loop: Header=BB4_2615 Depth=2
	s_or_b64 exec, exec, s[58:59]
.LBB4_3801:                             ;   in Loop: Header=BB4_2615 Depth=2
	s_or_b64 exec, exec, s[56:57]
.LBB4_3802:                             ;   in Loop: Header=BB4_2615 Depth=2
	s_or_b64 exec, exec, s[20:21]
	v_max_f32_e32 v2, v11, v11
	v_max_f32_e32 v3, v3, v3
	v_min_f32_e32 v3, v3, v2
.LBB4_3803:                             ;   in Loop: Header=BB4_2615 Depth=2
	v_and_b32_sdwa v10, v3, s69 dst_sel:DWORD dst_unused:UNUSED_PAD src0_sel:BYTE_3 src1_sel:DWORD
	v_and_b32_e32 v6, 0x7f800000, v3
	v_mov_b32_e32 v7, v53
	v_and_b32_e32 v52, 0x7fffff, v3
	v_or_b32_e32 v11, 0x7e, v10
	v_cmp_ne_u64_e32 vcc, s[40:41], v[6:7]
	s_and_saveexec_b64 s[20:21], vcc
	s_xor_b64 s[56:57], exec, s[20:21]
	s_cbranch_execz .LBB4_3813
; %bb.3804:                             ;   in Loop: Header=BB4_2615 Depth=2
	v_and_b32_e32 v6, 0x7fffffff, v3
	v_mov_b32_e32 v7, v53
	v_cmp_gt_u64_e32 vcc, s[42:43], v[6:7]
	s_and_saveexec_b64 s[58:59], vcc
	s_cbranch_execz .LBB4_3812
; %bb.3805:                             ;   in Loop: Header=BB4_2615 Depth=2
	v_cmp_ne_u32_e32 vcc, 0, v3
	v_mov_b32_e32 v11, 0
	s_and_saveexec_b64 s[60:61], vcc
	s_cbranch_execz .LBB4_3811
; %bb.3806:                             ;   in Loop: Header=BB4_2615 Depth=2
	v_bfe_u32 v2, v3, 23, 8
	v_sub_u32_e32 v4, 0x79, v2
	v_cmp_gt_u32_e32 vcc, s73, v2
	v_add_u32_e32 v3, 0xffffff81, v2
	v_cndmask_b32_e32 v4, 0, v4, vcc
	v_cmp_eq_u32_e32 vcc, 0, v2
	v_mov_b32_e32 v2, 0xffffff82
	v_cndmask_b32_e32 v11, v3, v2, vcc
	v_mov_b32_e32 v2, 0x78
	v_or_b32_e32 v6, 0x800000, v52
	v_cndmask_b32_e32 v4, v4, v2, vcc
	v_cndmask_b32_e32 v52, v6, v52, vcc
	v_add_u32_e32 v2, 20, v4
	v_lshlrev_b64 v[2:3], v2, -1
	v_lshrrev_b64 v[8:9], v4, v[52:53]
	v_not_b32_e32 v3, v3
	v_not_b32_e32 v2, v2
	v_add_u32_e32 v6, 19, v4
	v_lshrrev_b32_e32 v14, 23, v8
	v_and_b32_e32 v3, 0, v3
	v_and_b32_e32 v2, v52, v2
	v_lshlrev_b64 v[6:7], v6, 1
	v_add3_u32 v4, v4, v11, v14
	v_bfe_u32 v11, v8, 20, 1
	v_add_u32_e32 v11, -1, v11
	v_cmp_eq_u64_e32 vcc, v[2:3], v[6:7]
	v_cndmask_b32_e32 v2, 0, v11, vcc
	v_add_u32_e32 v2, v2, v8
	v_and_b32_e32 v2, 0xfffff, v2
	v_add_co_u32_e32 v2, vcc, v2, v8
	v_add_u32_e32 v14, 6, v4
	v_addc_co_u32_e32 v3, vcc, 0, v9, vcc
	v_cmp_ne_u32_e32 vcc, 0, v14
                                        ; implicit-def: $vgpr11
	s_and_saveexec_b64 s[20:21], vcc
	s_xor_b64 s[20:21], exec, s[20:21]
; %bb.3807:                             ;   in Loop: Header=BB4_2615 Depth=2
	v_add_u32_e32 v4, 7, v4
	v_cmp_lt_u64_e32 vcc, s[46:47], v[2:3]
	v_cndmask_b32_e32 v11, v14, v4, vcc
	v_cndmask_b32_e64 v4, 0, 1, vcc
	v_lshrrev_b64 v[2:3], v4, v[2:3]
; %bb.3808:                             ;   in Loop: Header=BB4_2615 Depth=2
	s_andn2_saveexec_b64 s[20:21], s[20:21]
; %bb.3809:                             ;   in Loop: Header=BB4_2615 Depth=2
	v_bfe_u32 v11, v2, 23, 1
; %bb.3810:                             ;   in Loop: Header=BB4_2615 Depth=2
	s_or_b64 exec, exec, s[20:21]
	v_lshrrev_b64 v[2:3], 20, v[2:3]
	v_cmp_gt_i32_e32 vcc, 16, v11
	v_cndmask_b32_e32 v3, 0, v3, vcc
	v_cndmask_b32_e32 v2, 7, v2, vcc
	v_cmp_eq_u64_e64 s[20:21], 0, v[2:3]
	v_min_i32_e32 v3, 15, v11
	v_cmp_eq_u32_e32 vcc, 0, v11
	v_lshlrev_b32_e32 v3, 3, v3
	v_and_or_b32 v2, v2, 7, v3
	s_and_b64 s[20:21], vcc, s[20:21]
	v_cndmask_b32_e64 v2, v2, 0, s[20:21]
	v_or_b32_e32 v11, v2, v10
.LBB4_3811:                             ;   in Loop: Header=BB4_2615 Depth=2
	s_or_b64 exec, exec, s[60:61]
.LBB4_3812:                             ;   in Loop: Header=BB4_2615 Depth=2
	s_or_b64 exec, exec, s[58:59]
                                        ; implicit-def: $vgpr3
.LBB4_3813:                             ;   in Loop: Header=BB4_2615 Depth=2
	s_andn2_saveexec_b64 s[20:21], s[56:57]
; %bb.3814:                             ;   in Loop: Header=BB4_2615 Depth=2
	v_or_b32_sdwa v2, v3, s71 dst_sel:DWORD dst_unused:UNUSED_PAD src0_sel:BYTE_3 src1_sel:DWORD
	v_cmp_eq_u64_e32 vcc, 0, v[52:53]
	v_cndmask_b32_e32 v11, v2, v11, vcc
; %bb.3815:                             ;   in Loop: Header=BB4_2615 Depth=2
	s_or_b64 exec, exec, s[20:21]
	v_lshrrev_b32_e32 v10, 16, v17
	v_lshrrev_b32_e32 v2, 16, v13
	s_and_b64 vcc, exec, s[18:19]
	v_cmp_ne_u16_sdwa s[20:21], v10, v53 src0_sel:BYTE_0 src1_sel:DWORD
	s_cbranch_vccnz .LBB4_3829
; %bb.3816:                             ;   in Loop: Header=BB4_2615 Depth=2
	v_mov_b32_e32 v14, 0
	v_mov_b32_e32 v3, 0
	s_and_saveexec_b64 s[56:57], s[20:21]
	s_cbranch_execz .LBB4_3822
; %bb.3817:                             ;   in Loop: Header=BB4_2615 Depth=2
	v_cmp_ne_u16_sdwa vcc, v10, s69 src0_sel:BYTE_0 src1_sel:DWORD
	v_bfrev_b32_e32 v3, 1
	s_and_saveexec_b64 s[58:59], vcc
	s_cbranch_execz .LBB4_3821
; %bb.3818:                             ;   in Loop: Header=BB4_2615 Depth=2
	v_bfe_u32 v4, v17, 16, 7
	v_cmp_ne_u32_e32 vcc, s71, v4
	v_mov_b32_e32 v3, 0x7f800001
	s_and_saveexec_b64 s[60:61], vcc
	s_cbranch_execz .LBB4_3820
; %bb.3819:                             ;   in Loop: Header=BB4_2615 Depth=2
	v_and_b32_e32 v3, 7, v10
	v_ffbh_u32_e32 v6, v3
	v_min_u32_e32 v9, 32, v6
	v_subrev_u32_e32 v6, 28, v9
	v_lshlrev_b64 v[6:7], v6, v[10:11]
	v_lshrrev_b32_e32 v8, 3, v4
	v_sub_u32_e32 v7, 29, v9
	v_and_b32_e32 v6, 7, v6
	v_cmp_gt_u32_e32 vcc, 8, v4
	v_cndmask_b32_e32 v4, v8, v7, vcc
	v_cndmask_b32_e32 v3, v3, v6, vcc
	v_lshlrev_b32_e32 v6, 24, v10
	v_lshlrev_b32_e32 v3, 20, v3
	v_and_b32_e32 v6, 0x80000000, v6
	v_lshl_add_u32 v4, v4, 23, v51
	v_or3_b32 v3, v6, v4, v3
.LBB4_3820:                             ;   in Loop: Header=BB4_2615 Depth=2
	s_or_b64 exec, exec, s[60:61]
.LBB4_3821:                             ;   in Loop: Header=BB4_2615 Depth=2
	s_or_b64 exec, exec, s[58:59]
.LBB4_3822:                             ;   in Loop: Header=BB4_2615 Depth=2
	s_or_b64 exec, exec, s[56:57]
	v_cmp_ne_u16_sdwa vcc, v2, v53 src0_sel:BYTE_0 src1_sel:DWORD
	s_and_saveexec_b64 s[56:57], vcc
	s_cbranch_execz .LBB4_3828
; %bb.3823:                             ;   in Loop: Header=BB4_2615 Depth=2
	v_cmp_ne_u16_sdwa vcc, v2, s69 src0_sel:BYTE_0 src1_sel:DWORD
	v_bfrev_b32_e32 v14, 1
	s_and_saveexec_b64 s[58:59], vcc
	s_cbranch_execz .LBB4_3827
; %bb.3824:                             ;   in Loop: Header=BB4_2615 Depth=2
	v_bfe_u32 v4, v13, 16, 7
	v_cmp_ne_u32_e32 vcc, s71, v4
	v_mov_b32_e32 v14, 0x7f800001
	s_and_saveexec_b64 s[60:61], vcc
	s_cbranch_execz .LBB4_3826
; %bb.3825:                             ;   in Loop: Header=BB4_2615 Depth=2
	v_and_b32_e32 v8, 7, v2
	v_ffbh_u32_e32 v6, v8
	v_min_u32_e32 v14, 32, v6
	v_subrev_u32_e32 v6, 28, v14
	v_lshlrev_b64 v[6:7], v6, v[2:3]
	v_lshrrev_b32_e32 v9, 3, v4
	v_sub_u32_e32 v7, 29, v14
	v_and_b32_e32 v6, 7, v6
	v_cmp_gt_u32_e32 vcc, 8, v4
	v_cndmask_b32_e32 v4, v9, v7, vcc
	v_cndmask_b32_e32 v6, v8, v6, vcc
	v_lshlrev_b32_e32 v7, 24, v2
	v_lshlrev_b32_e32 v6, 20, v6
	v_and_b32_e32 v7, 0x80000000, v7
	v_lshl_add_u32 v4, v4, 23, v51
	v_or3_b32 v14, v7, v4, v6
.LBB4_3826:                             ;   in Loop: Header=BB4_2615 Depth=2
	s_or_b64 exec, exec, s[60:61]
.LBB4_3827:                             ;   in Loop: Header=BB4_2615 Depth=2
	s_or_b64 exec, exec, s[58:59]
.LBB4_3828:                             ;   in Loop: Header=BB4_2615 Depth=2
	s_or_b64 exec, exec, s[56:57]
	v_max_f32_e32 v4, v14, v14
	v_max_f32_e32 v3, v3, v3
	;; [unrolled: 1-line block ×3, first 2 shown]
	s_branch .LBB4_3843
.LBB4_3829:                             ;   in Loop: Header=BB4_2615 Depth=2
                                        ; implicit-def: $vgpr3
	s_cbranch_execz .LBB4_3843
; %bb.3830:                             ;   in Loop: Header=BB4_2615 Depth=2
	v_mov_b32_e32 v14, 0
	v_mov_b32_e32 v3, 0
	s_and_saveexec_b64 s[56:57], s[20:21]
	s_cbranch_execz .LBB4_3836
; %bb.3831:                             ;   in Loop: Header=BB4_2615 Depth=2
	v_cmp_ne_u16_sdwa vcc, v10, s69 src0_sel:BYTE_0 src1_sel:DWORD
	v_bfrev_b32_e32 v3, 1
	s_and_saveexec_b64 s[20:21], vcc
	s_cbranch_execz .LBB4_3835
; %bb.3832:                             ;   in Loop: Header=BB4_2615 Depth=2
	v_bfe_u32 v4, v17, 16, 7
	v_cmp_ne_u32_e32 vcc, s71, v4
	v_mov_b32_e32 v3, 0x7f800001
	s_and_saveexec_b64 s[58:59], vcc
	s_cbranch_execz .LBB4_3834
; %bb.3833:                             ;   in Loop: Header=BB4_2615 Depth=2
	v_and_b32_e32 v3, 7, v10
	v_ffbh_u32_e32 v6, v3
	v_min_u32_e32 v9, 32, v6
	v_subrev_u32_e32 v6, 28, v9
	v_lshlrev_b64 v[6:7], v6, v[10:11]
	v_lshrrev_b32_e32 v8, 3, v4
	v_sub_u32_e32 v7, 29, v9
	v_and_b32_e32 v6, 7, v6
	v_cmp_gt_u32_e32 vcc, 8, v4
	v_cndmask_b32_e32 v4, v8, v7, vcc
	v_cndmask_b32_e32 v3, v3, v6, vcc
	v_lshlrev_b32_e32 v6, 24, v10
	v_lshlrev_b32_e32 v3, 20, v3
	v_and_b32_e32 v6, 0x80000000, v6
	v_lshl_add_u32 v4, v4, 23, v51
	v_or3_b32 v3, v6, v4, v3
.LBB4_3834:                             ;   in Loop: Header=BB4_2615 Depth=2
	s_or_b64 exec, exec, s[58:59]
.LBB4_3835:                             ;   in Loop: Header=BB4_2615 Depth=2
	s_or_b64 exec, exec, s[20:21]
.LBB4_3836:                             ;   in Loop: Header=BB4_2615 Depth=2
	s_or_b64 exec, exec, s[56:57]
	v_cmp_ne_u16_sdwa vcc, v2, v53 src0_sel:BYTE_0 src1_sel:DWORD
	s_and_saveexec_b64 s[20:21], vcc
	s_cbranch_execz .LBB4_3842
; %bb.3837:                             ;   in Loop: Header=BB4_2615 Depth=2
	v_cmp_ne_u16_sdwa vcc, v2, s69 src0_sel:BYTE_0 src1_sel:DWORD
	v_bfrev_b32_e32 v14, 1
	s_and_saveexec_b64 s[56:57], vcc
	s_cbranch_execz .LBB4_3841
; %bb.3838:                             ;   in Loop: Header=BB4_2615 Depth=2
	v_bfe_u32 v4, v13, 16, 7
	v_cmp_ne_u32_e32 vcc, s71, v4
	v_mov_b32_e32 v14, 0x7f800001
	s_and_saveexec_b64 s[58:59], vcc
	s_cbranch_execz .LBB4_3840
; %bb.3839:                             ;   in Loop: Header=BB4_2615 Depth=2
	v_and_b32_e32 v8, 7, v2
	v_ffbh_u32_e32 v6, v8
	v_min_u32_e32 v10, 32, v6
	v_subrev_u32_e32 v6, 28, v10
	v_lshlrev_b64 v[6:7], v6, v[2:3]
	v_lshrrev_b32_e32 v9, 3, v4
	v_sub_u32_e32 v7, 29, v10
	v_and_b32_e32 v6, 7, v6
	v_cmp_gt_u32_e32 vcc, 8, v4
	v_cndmask_b32_e32 v4, v9, v7, vcc
	v_cndmask_b32_e32 v6, v8, v6, vcc
	v_lshlrev_b32_e32 v2, 24, v2
	v_lshlrev_b32_e32 v6, 20, v6
	v_and_b32_e32 v2, 0x80000000, v2
	v_lshl_add_u32 v4, v4, 23, v51
	v_or3_b32 v14, v2, v4, v6
.LBB4_3840:                             ;   in Loop: Header=BB4_2615 Depth=2
	s_or_b64 exec, exec, s[58:59]
.LBB4_3841:                             ;   in Loop: Header=BB4_2615 Depth=2
	s_or_b64 exec, exec, s[56:57]
.LBB4_3842:                             ;   in Loop: Header=BB4_2615 Depth=2
	s_or_b64 exec, exec, s[20:21]
	v_max_f32_e32 v2, v14, v14
	v_max_f32_e32 v3, v3, v3
	v_min_f32_e32 v3, v3, v2
.LBB4_3843:                             ;   in Loop: Header=BB4_2615 Depth=2
	v_and_b32_sdwa v10, v3, s69 dst_sel:DWORD dst_unused:UNUSED_PAD src0_sel:BYTE_3 src1_sel:DWORD
	v_and_b32_e32 v6, 0x7f800000, v3
	v_mov_b32_e32 v7, v53
	v_and_b32_e32 v52, 0x7fffff, v3
	v_or_b32_e32 v14, 0x7e, v10
	v_cmp_ne_u64_e32 vcc, s[40:41], v[6:7]
	s_and_saveexec_b64 s[20:21], vcc
	s_xor_b64 s[56:57], exec, s[20:21]
	s_cbranch_execz .LBB4_3853
; %bb.3844:                             ;   in Loop: Header=BB4_2615 Depth=2
	v_and_b32_e32 v6, 0x7fffffff, v3
	v_mov_b32_e32 v7, v53
	v_cmp_gt_u64_e32 vcc, s[42:43], v[6:7]
	s_and_saveexec_b64 s[58:59], vcc
	s_cbranch_execz .LBB4_3852
; %bb.3845:                             ;   in Loop: Header=BB4_2615 Depth=2
	v_cmp_ne_u32_e32 vcc, 0, v3
	v_mov_b32_e32 v14, 0
	s_and_saveexec_b64 s[60:61], vcc
	s_cbranch_execz .LBB4_3851
; %bb.3846:                             ;   in Loop: Header=BB4_2615 Depth=2
	v_bfe_u32 v2, v3, 23, 8
	v_sub_u32_e32 v4, 0x79, v2
	v_cmp_gt_u32_e32 vcc, s73, v2
	v_add_u32_e32 v3, 0xffffff81, v2
	v_cndmask_b32_e32 v4, 0, v4, vcc
	v_cmp_eq_u32_e32 vcc, 0, v2
	v_mov_b32_e32 v2, 0xffffff82
	v_cndmask_b32_e32 v14, v3, v2, vcc
	v_mov_b32_e32 v2, 0x78
	v_or_b32_e32 v6, 0x800000, v52
	v_cndmask_b32_e32 v4, v4, v2, vcc
	v_cndmask_b32_e32 v52, v6, v52, vcc
	v_add_u32_e32 v2, 20, v4
	v_lshlrev_b64 v[2:3], v2, -1
	v_lshrrev_b64 v[8:9], v4, v[52:53]
	v_not_b32_e32 v3, v3
	v_not_b32_e32 v2, v2
	v_add_u32_e32 v6, 19, v4
	v_lshrrev_b32_e32 v38, 23, v8
	v_and_b32_e32 v3, 0, v3
	v_and_b32_e32 v2, v52, v2
	v_lshlrev_b64 v[6:7], v6, 1
	v_add3_u32 v4, v4, v14, v38
	v_bfe_u32 v14, v8, 20, 1
	v_add_u32_e32 v14, -1, v14
	v_cmp_eq_u64_e32 vcc, v[2:3], v[6:7]
	v_cndmask_b32_e32 v2, 0, v14, vcc
	v_add_u32_e32 v2, v2, v8
	v_and_b32_e32 v2, 0xfffff, v2
	v_add_co_u32_e32 v2, vcc, v2, v8
	v_add_u32_e32 v52, 6, v4
	v_addc_co_u32_e32 v3, vcc, 0, v9, vcc
	v_cmp_ne_u32_e32 vcc, 0, v52
                                        ; implicit-def: $vgpr14
	s_and_saveexec_b64 s[20:21], vcc
	s_xor_b64 s[20:21], exec, s[20:21]
; %bb.3847:                             ;   in Loop: Header=BB4_2615 Depth=2
	v_add_u32_e32 v4, 7, v4
	v_cmp_lt_u64_e32 vcc, s[46:47], v[2:3]
	v_cndmask_b32_e32 v14, v52, v4, vcc
	v_cndmask_b32_e64 v4, 0, 1, vcc
	v_lshrrev_b64 v[2:3], v4, v[2:3]
; %bb.3848:                             ;   in Loop: Header=BB4_2615 Depth=2
	s_andn2_saveexec_b64 s[20:21], s[20:21]
; %bb.3849:                             ;   in Loop: Header=BB4_2615 Depth=2
	v_bfe_u32 v14, v2, 23, 1
; %bb.3850:                             ;   in Loop: Header=BB4_2615 Depth=2
	s_or_b64 exec, exec, s[20:21]
	v_lshrrev_b64 v[2:3], 20, v[2:3]
	v_cmp_gt_i32_e32 vcc, 16, v14
	v_cndmask_b32_e32 v3, 0, v3, vcc
	v_cndmask_b32_e32 v2, 7, v2, vcc
	v_cmp_eq_u64_e64 s[20:21], 0, v[2:3]
	v_min_i32_e32 v3, 15, v14
	v_lshlrev_b32_e32 v3, 3, v3
	v_cmp_eq_u32_e32 vcc, 0, v14
	v_and_b32_e32 v3, 0xf8, v3
	v_and_or_b32 v2, v2, 7, v3
	s_and_b64 s[20:21], vcc, s[20:21]
	v_cndmask_b32_e64 v2, v2, 0, s[20:21]
	v_or_b32_e32 v14, v2, v10
.LBB4_3851:                             ;   in Loop: Header=BB4_2615 Depth=2
	s_or_b64 exec, exec, s[60:61]
.LBB4_3852:                             ;   in Loop: Header=BB4_2615 Depth=2
	s_or_b64 exec, exec, s[58:59]
                                        ; implicit-def: $vgpr3
.LBB4_3853:                             ;   in Loop: Header=BB4_2615 Depth=2
	s_andn2_saveexec_b64 s[20:21], s[56:57]
; %bb.3854:                             ;   in Loop: Header=BB4_2615 Depth=2
	v_or_b32_sdwa v2, v3, s71 dst_sel:DWORD dst_unused:UNUSED_PAD src0_sel:BYTE_3 src1_sel:DWORD
	v_cmp_eq_u64_e32 vcc, 0, v[52:53]
	v_cndmask_b32_e32 v14, v2, v14, vcc
; %bb.3855:                             ;   in Loop: Header=BB4_2615 Depth=2
	s_or_b64 exec, exec, s[20:21]
	v_lshrrev_b32_e32 v10, 24, v17
	v_lshrrev_b32_e32 v2, 24, v13
	s_and_b64 vcc, exec, s[18:19]
	v_cmp_lt_u64_e64 s[18:19], s[44:45], v[16:17]
	s_cbranch_vccnz .LBB4_3869
; %bb.3856:                             ;   in Loop: Header=BB4_2615 Depth=2
	v_mov_b32_e32 v16, 0
	v_mov_b32_e32 v3, 0
	s_and_saveexec_b64 s[20:21], s[18:19]
	s_cbranch_execz .LBB4_3862
; %bb.3857:                             ;   in Loop: Header=BB4_2615 Depth=2
	v_cmp_ne_u32_e32 vcc, s69, v10
	v_bfrev_b32_e32 v3, 1
	s_and_saveexec_b64 s[56:57], vcc
	s_cbranch_execz .LBB4_3861
; %bb.3858:                             ;   in Loop: Header=BB4_2615 Depth=2
	v_bfe_u32 v4, v17, 24, 7
	v_cmp_ne_u32_e32 vcc, s71, v4
	v_mov_b32_e32 v3, 0x7f800001
	s_and_saveexec_b64 s[58:59], vcc
	s_cbranch_execz .LBB4_3860
; %bb.3859:                             ;   in Loop: Header=BB4_2615 Depth=2
	v_and_b32_e32 v3, 7, v10
	v_ffbh_u32_e32 v6, v3
	v_min_u32_e32 v9, 32, v6
	v_subrev_u32_e32 v6, 28, v9
	v_lshlrev_b64 v[6:7], v6, v[10:11]
	v_lshrrev_b32_e32 v8, 3, v4
	v_sub_u32_e32 v7, 29, v9
	v_and_b32_e32 v6, 7, v6
	v_cmp_gt_u32_e32 vcc, 8, v4
	v_cndmask_b32_e32 v4, v8, v7, vcc
	v_cndmask_b32_e32 v3, v3, v6, vcc
	v_lshlrev_b32_e32 v6, 24, v10
	v_lshlrev_b32_e32 v3, 20, v3
	v_and_b32_e32 v6, 0x80000000, v6
	v_lshl_add_u32 v4, v4, 23, v51
	v_or3_b32 v3, v6, v4, v3
.LBB4_3860:                             ;   in Loop: Header=BB4_2615 Depth=2
	s_or_b64 exec, exec, s[58:59]
.LBB4_3861:                             ;   in Loop: Header=BB4_2615 Depth=2
	s_or_b64 exec, exec, s[56:57]
.LBB4_3862:                             ;   in Loop: Header=BB4_2615 Depth=2
	s_or_b64 exec, exec, s[20:21]
	v_cmp_lt_u64_e32 vcc, s[44:45], v[12:13]
	s_and_saveexec_b64 s[20:21], vcc
	s_cbranch_execz .LBB4_3868
; %bb.3863:                             ;   in Loop: Header=BB4_2615 Depth=2
	v_cmp_ne_u32_e32 vcc, s69, v2
	v_bfrev_b32_e32 v16, 1
	s_and_saveexec_b64 s[56:57], vcc
	s_cbranch_execz .LBB4_3867
; %bb.3864:                             ;   in Loop: Header=BB4_2615 Depth=2
	v_bfe_u32 v4, v13, 24, 7
	v_cmp_ne_u32_e32 vcc, s71, v4
	v_mov_b32_e32 v16, 0x7f800001
	s_and_saveexec_b64 s[58:59], vcc
	s_cbranch_execz .LBB4_3866
; %bb.3865:                             ;   in Loop: Header=BB4_2615 Depth=2
	v_and_b32_e32 v8, 7, v2
	v_ffbh_u32_e32 v6, v8
	v_min_u32_e32 v16, 32, v6
	v_subrev_u32_e32 v6, 28, v16
	v_lshlrev_b64 v[6:7], v6, v[2:3]
	v_lshrrev_b32_e32 v9, 3, v4
	v_sub_u32_e32 v7, 29, v16
	v_and_b32_e32 v6, 7, v6
	v_cmp_gt_u32_e32 vcc, 8, v4
	v_cndmask_b32_e32 v4, v9, v7, vcc
	v_cndmask_b32_e32 v6, v8, v6, vcc
	v_lshlrev_b32_e32 v7, 24, v2
	v_lshlrev_b32_e32 v6, 20, v6
	v_and_b32_e32 v7, 0x80000000, v7
	v_lshl_add_u32 v4, v4, 23, v51
	v_or3_b32 v16, v7, v4, v6
.LBB4_3866:                             ;   in Loop: Header=BB4_2615 Depth=2
	s_or_b64 exec, exec, s[58:59]
.LBB4_3867:                             ;   in Loop: Header=BB4_2615 Depth=2
	s_or_b64 exec, exec, s[56:57]
.LBB4_3868:                             ;   in Loop: Header=BB4_2615 Depth=2
	s_or_b64 exec, exec, s[20:21]
	v_max_f32_e32 v4, v16, v16
	v_max_f32_e32 v3, v3, v3
	v_max_f32_e32 v3, v3, v4
	s_branch .LBB4_3883
.LBB4_3869:                             ;   in Loop: Header=BB4_2615 Depth=2
                                        ; implicit-def: $vgpr3
	s_cbranch_execz .LBB4_3883
; %bb.3870:                             ;   in Loop: Header=BB4_2615 Depth=2
	v_mov_b32_e32 v16, 0
	v_mov_b32_e32 v3, 0
	s_and_saveexec_b64 s[20:21], s[18:19]
	s_cbranch_execz .LBB4_3876
; %bb.3871:                             ;   in Loop: Header=BB4_2615 Depth=2
	v_cmp_ne_u32_e32 vcc, s69, v10
	v_bfrev_b32_e32 v3, 1
	s_and_saveexec_b64 s[18:19], vcc
	s_cbranch_execz .LBB4_3875
; %bb.3872:                             ;   in Loop: Header=BB4_2615 Depth=2
	v_bfe_u32 v4, v17, 24, 7
	v_cmp_ne_u32_e32 vcc, s71, v4
	v_mov_b32_e32 v3, 0x7f800001
	s_and_saveexec_b64 s[56:57], vcc
	s_cbranch_execz .LBB4_3874
; %bb.3873:                             ;   in Loop: Header=BB4_2615 Depth=2
	v_and_b32_e32 v3, 7, v10
	v_ffbh_u32_e32 v6, v3
	v_min_u32_e32 v9, 32, v6
	v_subrev_u32_e32 v6, 28, v9
	v_lshlrev_b64 v[6:7], v6, v[10:11]
	v_lshrrev_b32_e32 v8, 3, v4
	v_sub_u32_e32 v7, 29, v9
	v_and_b32_e32 v6, 7, v6
	v_cmp_gt_u32_e32 vcc, 8, v4
	v_cndmask_b32_e32 v4, v8, v7, vcc
	v_cndmask_b32_e32 v3, v3, v6, vcc
	v_lshlrev_b32_e32 v6, 24, v10
	v_lshlrev_b32_e32 v3, 20, v3
	v_and_b32_e32 v6, 0x80000000, v6
	v_lshl_add_u32 v4, v4, 23, v51
	v_or3_b32 v3, v6, v4, v3
.LBB4_3874:                             ;   in Loop: Header=BB4_2615 Depth=2
	s_or_b64 exec, exec, s[56:57]
.LBB4_3875:                             ;   in Loop: Header=BB4_2615 Depth=2
	s_or_b64 exec, exec, s[18:19]
.LBB4_3876:                             ;   in Loop: Header=BB4_2615 Depth=2
	s_or_b64 exec, exec, s[20:21]
	v_cmp_lt_u64_e32 vcc, s[44:45], v[12:13]
	s_and_saveexec_b64 s[18:19], vcc
	s_cbranch_execz .LBB4_3882
; %bb.3877:                             ;   in Loop: Header=BB4_2615 Depth=2
	v_cmp_ne_u32_e32 vcc, s69, v2
	v_bfrev_b32_e32 v16, 1
	s_and_saveexec_b64 s[20:21], vcc
	s_cbranch_execz .LBB4_3881
; %bb.3878:                             ;   in Loop: Header=BB4_2615 Depth=2
	v_bfe_u32 v4, v13, 24, 7
	v_cmp_ne_u32_e32 vcc, s71, v4
	v_mov_b32_e32 v16, 0x7f800001
	s_and_saveexec_b64 s[56:57], vcc
	s_cbranch_execz .LBB4_3880
; %bb.3879:                             ;   in Loop: Header=BB4_2615 Depth=2
	v_and_b32_e32 v8, 7, v2
	v_ffbh_u32_e32 v6, v8
	v_min_u32_e32 v10, 32, v6
	v_subrev_u32_e32 v6, 28, v10
	v_lshlrev_b64 v[6:7], v6, v[2:3]
	v_lshrrev_b32_e32 v9, 3, v4
	v_sub_u32_e32 v7, 29, v10
	v_and_b32_e32 v6, 7, v6
	v_cmp_gt_u32_e32 vcc, 8, v4
	v_cndmask_b32_e32 v4, v9, v7, vcc
	v_cndmask_b32_e32 v6, v8, v6, vcc
	v_lshlrev_b32_e32 v2, 24, v2
	v_lshlrev_b32_e32 v6, 20, v6
	v_and_b32_e32 v2, 0x80000000, v2
	v_lshl_add_u32 v4, v4, 23, v51
	v_or3_b32 v16, v2, v4, v6
.LBB4_3880:                             ;   in Loop: Header=BB4_2615 Depth=2
	s_or_b64 exec, exec, s[56:57]
.LBB4_3881:                             ;   in Loop: Header=BB4_2615 Depth=2
	s_or_b64 exec, exec, s[20:21]
.LBB4_3882:                             ;   in Loop: Header=BB4_2615 Depth=2
	s_or_b64 exec, exec, s[18:19]
	v_max_f32_e32 v2, v16, v16
	v_max_f32_e32 v3, v3, v3
	v_min_f32_e32 v3, v3, v2
.LBB4_3883:                             ;   in Loop: Header=BB4_2615 Depth=2
	v_and_b32_sdwa v10, v3, s69 dst_sel:DWORD dst_unused:UNUSED_PAD src0_sel:BYTE_3 src1_sel:DWORD
	v_and_b32_e32 v6, 0x7f800000, v3
	v_mov_b32_e32 v7, v53
	v_and_b32_e32 v52, 0x7fffff, v3
	v_or_b32_e32 v2, 0x7e, v10
	v_cmp_ne_u64_e32 vcc, s[40:41], v[6:7]
	s_and_saveexec_b64 s[18:19], vcc
	s_xor_b64 s[20:21], exec, s[18:19]
	s_cbranch_execz .LBB4_3893
; %bb.3884:                             ;   in Loop: Header=BB4_2615 Depth=2
	v_and_b32_e32 v6, 0x7fffffff, v3
	v_mov_b32_e32 v7, v53
	v_cmp_gt_u64_e32 vcc, s[42:43], v[6:7]
	s_and_saveexec_b64 s[56:57], vcc
	s_cbranch_execz .LBB4_3892
; %bb.3885:                             ;   in Loop: Header=BB4_2615 Depth=2
	v_cmp_ne_u32_e32 vcc, 0, v3
	v_mov_b32_e32 v2, 0
	s_and_saveexec_b64 s[58:59], vcc
	s_cbranch_execz .LBB4_3891
; %bb.3886:                             ;   in Loop: Header=BB4_2615 Depth=2
	v_bfe_u32 v2, v3, 23, 8
	v_sub_u32_e32 v4, 0x79, v2
	v_cmp_gt_u32_e32 vcc, s73, v2
	v_add_u32_e32 v3, 0xffffff81, v2
	v_cndmask_b32_e32 v4, 0, v4, vcc
	v_cmp_eq_u32_e32 vcc, 0, v2
	v_mov_b32_e32 v2, 0xffffff82
	v_cndmask_b32_e32 v12, v3, v2, vcc
	v_mov_b32_e32 v2, 0x78
	v_or_b32_e32 v6, 0x800000, v52
	v_cndmask_b32_e32 v4, v4, v2, vcc
	v_cndmask_b32_e32 v52, v6, v52, vcc
	v_add_u32_e32 v2, 20, v4
	v_lshlrev_b64 v[2:3], v2, -1
	v_lshrrev_b64 v[8:9], v4, v[52:53]
	v_not_b32_e32 v3, v3
	v_not_b32_e32 v2, v2
	v_add_u32_e32 v6, 19, v4
	v_lshrrev_b32_e32 v13, 23, v8
	v_and_b32_e32 v3, 0, v3
	v_and_b32_e32 v2, v52, v2
	v_lshlrev_b64 v[6:7], v6, 1
	v_add3_u32 v4, v4, v12, v13
	v_bfe_u32 v12, v8, 20, 1
	v_add_u32_e32 v12, -1, v12
	v_cmp_eq_u64_e32 vcc, v[2:3], v[6:7]
	v_cndmask_b32_e32 v2, 0, v12, vcc
	v_add_u32_e32 v2, v2, v8
	v_and_b32_e32 v2, 0xfffff, v2
	v_add_co_u32_e32 v2, vcc, v2, v8
	v_add_u32_e32 v13, 6, v4
	v_addc_co_u32_e32 v3, vcc, 0, v9, vcc
	v_cmp_ne_u32_e32 vcc, 0, v13
                                        ; implicit-def: $vgpr12
	s_and_saveexec_b64 s[18:19], vcc
	s_xor_b64 s[18:19], exec, s[18:19]
; %bb.3887:                             ;   in Loop: Header=BB4_2615 Depth=2
	v_add_u32_e32 v4, 7, v4
	v_cmp_lt_u64_e32 vcc, s[46:47], v[2:3]
	v_cndmask_b32_e32 v12, v13, v4, vcc
	v_cndmask_b32_e64 v4, 0, 1, vcc
	v_lshrrev_b64 v[2:3], v4, v[2:3]
; %bb.3888:                             ;   in Loop: Header=BB4_2615 Depth=2
	s_andn2_saveexec_b64 s[18:19], s[18:19]
; %bb.3889:                             ;   in Loop: Header=BB4_2615 Depth=2
	v_bfe_u32 v12, v2, 23, 1
; %bb.3890:                             ;   in Loop: Header=BB4_2615 Depth=2
	s_or_b64 exec, exec, s[18:19]
	v_lshrrev_b64 v[2:3], 20, v[2:3]
	v_cmp_gt_i32_e32 vcc, 16, v12
	v_cndmask_b32_e32 v3, 0, v3, vcc
	v_cndmask_b32_e32 v2, 7, v2, vcc
	v_cmp_eq_u64_e64 s[18:19], 0, v[2:3]
	v_min_i32_e32 v3, 15, v12
	v_lshlrev_b32_e32 v3, 3, v3
	v_cmp_eq_u32_e32 vcc, 0, v12
	v_and_b32_e32 v3, 0xf8, v3
	v_and_or_b32 v2, v2, 7, v3
	s_and_b64 s[18:19], vcc, s[18:19]
	v_cndmask_b32_e64 v2, v2, 0, s[18:19]
	v_or_b32_e32 v2, v2, v10
.LBB4_3891:                             ;   in Loop: Header=BB4_2615 Depth=2
	s_or_b64 exec, exec, s[58:59]
.LBB4_3892:                             ;   in Loop: Header=BB4_2615 Depth=2
	s_or_b64 exec, exec, s[56:57]
                                        ; implicit-def: $vgpr3
.LBB4_3893:                             ;   in Loop: Header=BB4_2615 Depth=2
	s_andn2_saveexec_b64 s[18:19], s[20:21]
	s_cbranch_execz .LBB4_2614
; %bb.3894:                             ;   in Loop: Header=BB4_2615 Depth=2
	v_or_b32_sdwa v3, v3, s71 dst_sel:DWORD dst_unused:UNUSED_PAD src0_sel:BYTE_3 src1_sel:DWORD
	v_cmp_eq_u64_e32 vcc, 0, v[52:53]
	v_cndmask_b32_e32 v2, v3, v2, vcc
	s_branch .LBB4_2614
.LBB4_3895:                             ;   in Loop: Header=BB4_2542 Depth=1
	s_or_b64 exec, exec, s[52:53]
	v_accvgpr_read_b32 v46, a0
	v_accvgpr_read_b32 v47, a1
	;; [unrolled: 1-line block ×7, first 2 shown]
.LBB4_3896:                             ;   in Loop: Header=BB4_2542 Depth=1
	s_or_b64 exec, exec, s[22:23]
	v_accvgpr_read_b32 v0, a39
	v_and_b32_e32 v2, 0x3ffff800, v0
	v_cmp_ne_u32_e32 vcc, v2, v0
	s_mov_b64 s[18:19], 0
	v_mov_b32_e32 v0, 0
                                        ; implicit-def: $vgpr17
                                        ; implicit-def: $vgpr18
                                        ; implicit-def: $vgpr1
	s_and_saveexec_b64 s[22:23], vcc
	s_cbranch_execz .LBB4_4544
; %bb.3897:                             ;   in Loop: Header=BB4_2542 Depth=1
	v_lshlrev_b32_e32 v0, 6, v45
	v_accvgpr_read_b32 v3, a25
	v_sub_u32_e32 v0, v3, v0
	v_ashrrev_i32_e32 v3, 31, v0
	v_lshrrev_b32_e32 v3, 26, v3
	v_add_u32_e32 v3, v0, v3
	v_accvgpr_read_b32 v5, a39
	v_ashrrev_i32_e32 v4, 6, v3
	v_and_b32_e32 v3, 0xffffffc0, v3
	v_and_b32_e32 v1, 0x7ff, v5
	v_sub_u32_e32 v26, v0, v3
	v_bfe_u32 v3, v5, 10, 1
	v_and_b32_e32 v5, 0x400, v5
	v_lshlrev_b32_e32 v0, 4, v26
	v_sub_u32_e32 v30, v1, v5
	v_lshl_add_u32 v0, v4, 10, v0
	v_cmp_lt_i32_e64 s[18:19], 15, v30
	v_sub_u32_e32 v31, v1, v0
	v_addc_co_u32_e64 v1, vcc, 0, v3, s[18:19]
	v_sub_u32_e32 v29, v1, v4
	v_cmp_lt_i32_e32 vcc, 15, v31
	s_mov_b64 s[52:53], exec
	s_and_b64 s[20:21], s[52:53], vcc
	v_accvgpr_read_b32 v44, a32
	s_mov_b64 exec, s[20:21]
	s_cbranch_execz .LBB4_4541
; %bb.3898:                             ;   in Loop: Header=BB4_2542 Depth=1
	s_trap 2
	ds_read_b128 v[10:13], v0
	v_add_u32_e32 v2, v0, v2
	ds_read_b64 v[0:1], v0
	v_ashrrev_i32_e32 v3, 31, v2
	s_bitcmp1_b32 s64, 0
	s_waitcnt lgkmcnt(0)
	v_add_co_u32_e32 v18, vcc, v10, v2
	v_addc_co_u32_e32 v19, vcc, v11, v3, vcc
	v_add_co_u32_e32 v20, vcc, v12, v2
	v_addc_co_u32_e32 v21, vcc, v13, v3, vcc
	;; [unrolled: 2-line block ×3, first 2 shown]
	s_mov_b64 s[54:55], 0
	s_cselect_b64 s[56:57], -1, 0
	s_branch .LBB4_3900
.LBB4_3899:                             ;   in Loop: Header=BB4_3900 Depth=2
	s_or_b64 exec, exec, s[20:21]
	v_lshlrev_b32_e32 v3, 8, v25
	v_perm_b32 v0, v3, v0, s74
	v_lshl_or_b32 v0, v28, 16, v0
	v_lshl_or_b32 v39, v15, 24, v0
	v_and_b32_e32 v0, 0xff, v27
	v_lshlrev_b32_e32 v4, 8, v35
	v_lshlrev_b32_e32 v3, 24, v50
	;; [unrolled: 1-line block ×3, first 2 shown]
	v_perm_b32 v4, v4, v34, s74
	v_or3_b32 v38, v3, v0, v4
	v_and_b32_e32 v0, 0xff, v1
	v_lshlrev_b32_e32 v3, 8, v54
	v_lshlrev_b32_e32 v1, 24, v48
	;; [unrolled: 1-line block ×3, first 2 shown]
	v_perm_b32 v3, v3, v24, s74
	v_or3_b32 v40, v1, v0, v3
	v_lshlrev_b32_e32 v0, 8, v11
	v_add_co_u32_e32 v18, vcc, v18, v59
	v_perm_b32 v0, v0, v49, s74
	v_addc_co_u32_e32 v19, vcc, v19, v44, vcc
	v_lshl_or_b32 v0, v14, 16, v0
	v_add_co_u32_e32 v20, vcc, v20, v59
	v_lshl_or_b32 v41, v2, 24, v0
	v_addc_co_u32_e32 v21, vcc, v21, v44, vcc
	global_store_dwordx4 v[22:23], v[38:41], off glc slc
	v_add_co_u32_e32 v22, vcc, v22, v59
	v_addc_co_u32_e32 v23, vcc, v23, v44, vcc
	v_sub_u32_e32 v31, v31, v57
	v_cmp_gt_i32_e32 vcc, 16, v31
	s_or_b64 s[54:55], vcc, s[54:55]
	v_sub_u32_e32 v29, v29, v60
	s_andn2_b64 exec, exec, s[54:55]
	s_cbranch_execz .LBB4_4540
.LBB4_3900:                             ;   Parent Loop BB4_2542 Depth=1
                                        ; =>  This Inner Loop Header: Depth=2
	global_load_dwordx4 v[14:17], v[18:19], off glc slc
	global_load_dwordx4 v[10:13], v[20:21], off glc slc
	s_and_b64 vcc, exec, s[56:57]
	s_waitcnt vmcnt(0)
	v_cmp_ne_u16_sdwa s[20:21], v14, v53 src0_sel:BYTE_0 src1_sel:DWORD
	s_cbranch_vccz .LBB4_3914
; %bb.3901:                             ;   in Loop: Header=BB4_3900 Depth=2
	v_mov_b32_e32 v1, 0
	v_mov_b32_e32 v0, 0
	s_and_saveexec_b64 s[58:59], s[20:21]
	s_cbranch_execz .LBB4_3907
; %bb.3902:                             ;   in Loop: Header=BB4_3900 Depth=2
	v_cmp_ne_u16_sdwa vcc, v14, s69 src0_sel:BYTE_0 src1_sel:DWORD
	v_bfrev_b32_e32 v0, 1
	s_and_saveexec_b64 s[60:61], vcc
	s_cbranch_execz .LBB4_3906
; %bb.3903:                             ;   in Loop: Header=BB4_3900 Depth=2
	v_and_b32_e32 v2, 0x7f, v14
	v_cmp_ne_u32_e32 vcc, s71, v2
	v_mov_b32_e32 v0, 0x7f800001
	s_and_saveexec_b64 s[62:63], vcc
	s_cbranch_execz .LBB4_3905
; %bb.3904:                             ;   in Loop: Header=BB4_3900 Depth=2
	v_and_b32_e32 v0, 7, v14
	v_ffbh_u32_e32 v0, v0
	v_min_u32_e32 v0, 32, v0
	v_subrev_u32_e32 v4, 28, v0
	v_cmp_gt_u32_e32 vcc, 8, v2
	v_lshrrev_b32_e32 v3, 3, v2
	v_sub_u32_e32 v0, 29, v0
	v_cndmask_b32_e32 v2, 0, v4, vcc
	v_cndmask_b32_e32 v0, v3, v0, vcc
	v_lshlrev_b64 v[2:3], v2, v[14:15]
	v_lshlrev_b32_e32 v2, 20, v2
	v_lshlrev_b32_e32 v3, 24, v14
	v_and_b32_e32 v2, 0x700000, v2
	v_and_b32_e32 v3, 0x80000000, v3
	v_lshl_add_u32 v0, v0, 23, v51
	v_or3_b32 v0, v3, v0, v2
.LBB4_3905:                             ;   in Loop: Header=BB4_3900 Depth=2
	s_or_b64 exec, exec, s[62:63]
.LBB4_3906:                             ;   in Loop: Header=BB4_3900 Depth=2
	s_or_b64 exec, exec, s[60:61]
.LBB4_3907:                             ;   in Loop: Header=BB4_3900 Depth=2
	s_or_b64 exec, exec, s[58:59]
	v_cmp_ne_u16_sdwa vcc, v10, v53 src0_sel:BYTE_0 src1_sel:DWORD
	s_and_saveexec_b64 s[58:59], vcc
	s_cbranch_execz .LBB4_3913
; %bb.3908:                             ;   in Loop: Header=BB4_3900 Depth=2
	v_cmp_ne_u16_sdwa vcc, v10, s69 src0_sel:BYTE_0 src1_sel:DWORD
	v_bfrev_b32_e32 v1, 1
	s_and_saveexec_b64 s[60:61], vcc
	s_cbranch_execz .LBB4_3912
; %bb.3909:                             ;   in Loop: Header=BB4_3900 Depth=2
	v_and_b32_e32 v2, 0x7f, v10
	v_cmp_ne_u32_e32 vcc, s71, v2
	v_mov_b32_e32 v1, 0x7f800001
	s_and_saveexec_b64 s[62:63], vcc
	s_cbranch_execz .LBB4_3911
; %bb.3910:                             ;   in Loop: Header=BB4_3900 Depth=2
	v_and_b32_e32 v1, 7, v10
	v_ffbh_u32_e32 v1, v1
	v_min_u32_e32 v1, 32, v1
	v_subrev_u32_e32 v4, 28, v1
	v_cmp_gt_u32_e32 vcc, 8, v2
	v_lshrrev_b32_e32 v3, 3, v2
	v_sub_u32_e32 v1, 29, v1
	v_cndmask_b32_e32 v2, 0, v4, vcc
	v_cndmask_b32_e32 v1, v3, v1, vcc
	v_lshlrev_b64 v[2:3], v2, v[10:11]
	v_lshlrev_b32_e32 v2, 20, v2
	v_lshlrev_b32_e32 v3, 24, v10
	v_and_b32_e32 v2, 0x700000, v2
	v_and_b32_e32 v3, 0x80000000, v3
	v_lshl_add_u32 v1, v1, 23, v51
	v_or3_b32 v1, v3, v1, v2
.LBB4_3911:                             ;   in Loop: Header=BB4_3900 Depth=2
	s_or_b64 exec, exec, s[62:63]
.LBB4_3912:                             ;   in Loop: Header=BB4_3900 Depth=2
	s_or_b64 exec, exec, s[60:61]
.LBB4_3913:                             ;   in Loop: Header=BB4_3900 Depth=2
	s_or_b64 exec, exec, s[58:59]
	v_max_f32_e32 v1, v1, v1
	v_max_f32_e32 v0, v0, v0
	v_max_f32_e32 v1, v0, v1
	s_branch .LBB4_3928
.LBB4_3914:                             ;   in Loop: Header=BB4_3900 Depth=2
                                        ; implicit-def: $vgpr1
	s_cbranch_execz .LBB4_3928
; %bb.3915:                             ;   in Loop: Header=BB4_3900 Depth=2
	v_mov_b32_e32 v1, 0
	v_mov_b32_e32 v0, 0
	s_and_saveexec_b64 s[58:59], s[20:21]
	s_cbranch_execz .LBB4_3921
; %bb.3916:                             ;   in Loop: Header=BB4_3900 Depth=2
	v_cmp_ne_u16_sdwa vcc, v14, s69 src0_sel:BYTE_0 src1_sel:DWORD
	v_bfrev_b32_e32 v0, 1
	s_and_saveexec_b64 s[20:21], vcc
	s_cbranch_execz .LBB4_3920
; %bb.3917:                             ;   in Loop: Header=BB4_3900 Depth=2
	v_and_b32_e32 v2, 0x7f, v14
	v_cmp_ne_u32_e32 vcc, s71, v2
	v_mov_b32_e32 v0, 0x7f800001
	s_and_saveexec_b64 s[60:61], vcc
	s_cbranch_execz .LBB4_3919
; %bb.3918:                             ;   in Loop: Header=BB4_3900 Depth=2
	v_and_b32_e32 v0, 7, v14
	v_ffbh_u32_e32 v0, v0
	v_min_u32_e32 v0, 32, v0
	v_subrev_u32_e32 v4, 28, v0
	v_cmp_gt_u32_e32 vcc, 8, v2
	v_lshrrev_b32_e32 v3, 3, v2
	v_sub_u32_e32 v0, 29, v0
	v_cndmask_b32_e32 v2, 0, v4, vcc
	v_cndmask_b32_e32 v0, v3, v0, vcc
	v_lshlrev_b64 v[2:3], v2, v[14:15]
	v_lshlrev_b32_e32 v2, 20, v2
	v_lshlrev_b32_e32 v3, 24, v14
	v_and_b32_e32 v2, 0x700000, v2
	v_and_b32_e32 v3, 0x80000000, v3
	v_lshl_add_u32 v0, v0, 23, v51
	v_or3_b32 v0, v3, v0, v2
.LBB4_3919:                             ;   in Loop: Header=BB4_3900 Depth=2
	s_or_b64 exec, exec, s[60:61]
.LBB4_3920:                             ;   in Loop: Header=BB4_3900 Depth=2
	s_or_b64 exec, exec, s[20:21]
.LBB4_3921:                             ;   in Loop: Header=BB4_3900 Depth=2
	s_or_b64 exec, exec, s[58:59]
	v_cmp_ne_u16_sdwa vcc, v10, v53 src0_sel:BYTE_0 src1_sel:DWORD
	s_and_saveexec_b64 s[20:21], vcc
	s_cbranch_execz .LBB4_3927
; %bb.3922:                             ;   in Loop: Header=BB4_3900 Depth=2
	v_cmp_ne_u16_sdwa vcc, v10, s69 src0_sel:BYTE_0 src1_sel:DWORD
	v_bfrev_b32_e32 v1, 1
	s_and_saveexec_b64 s[58:59], vcc
	s_cbranch_execz .LBB4_3926
; %bb.3923:                             ;   in Loop: Header=BB4_3900 Depth=2
	v_and_b32_e32 v2, 0x7f, v10
	v_cmp_ne_u32_e32 vcc, s71, v2
	v_mov_b32_e32 v1, 0x7f800001
	s_and_saveexec_b64 s[60:61], vcc
	s_cbranch_execz .LBB4_3925
; %bb.3924:                             ;   in Loop: Header=BB4_3900 Depth=2
	v_and_b32_e32 v1, 7, v10
	v_ffbh_u32_e32 v1, v1
	v_min_u32_e32 v1, 32, v1
	v_subrev_u32_e32 v4, 28, v1
	v_cmp_gt_u32_e32 vcc, 8, v2
	v_lshrrev_b32_e32 v3, 3, v2
	v_sub_u32_e32 v1, 29, v1
	v_cndmask_b32_e32 v2, 0, v4, vcc
	v_cndmask_b32_e32 v1, v3, v1, vcc
	v_lshlrev_b64 v[2:3], v2, v[10:11]
	v_lshlrev_b32_e32 v2, 20, v2
	v_lshlrev_b32_e32 v3, 24, v10
	v_and_b32_e32 v2, 0x700000, v2
	v_and_b32_e32 v3, 0x80000000, v3
	v_lshl_add_u32 v1, v1, 23, v51
	v_or3_b32 v1, v3, v1, v2
.LBB4_3925:                             ;   in Loop: Header=BB4_3900 Depth=2
	s_or_b64 exec, exec, s[60:61]
.LBB4_3926:                             ;   in Loop: Header=BB4_3900 Depth=2
	s_or_b64 exec, exec, s[58:59]
.LBB4_3927:                             ;   in Loop: Header=BB4_3900 Depth=2
	s_or_b64 exec, exec, s[20:21]
	v_max_f32_e32 v1, v1, v1
	v_max_f32_e32 v0, v0, v0
	v_min_f32_e32 v1, v0, v1
.LBB4_3928:                             ;   in Loop: Header=BB4_3900 Depth=2
	v_and_b32_sdwa v0, v1, s69 dst_sel:DWORD dst_unused:UNUSED_PAD src0_sel:BYTE_3 src1_sel:DWORD
	v_and_b32_e32 v2, 0x7f800000, v1
	v_mov_b32_e32 v3, v53
	v_and_b32_e32 v52, 0x7fffff, v1
	v_or_b32_e32 v34, 0x7e, v0
	v_cmp_ne_u64_e32 vcc, s[40:41], v[2:3]
	s_and_saveexec_b64 s[20:21], vcc
	s_xor_b64 s[58:59], exec, s[20:21]
	s_cbranch_execz .LBB4_3938
; %bb.3929:                             ;   in Loop: Header=BB4_3900 Depth=2
	v_and_b32_e32 v2, 0x7fffffff, v1
	v_mov_b32_e32 v3, v53
	v_cmp_gt_u64_e32 vcc, s[42:43], v[2:3]
	s_and_saveexec_b64 s[60:61], vcc
	s_cbranch_execz .LBB4_3937
; %bb.3930:                             ;   in Loop: Header=BB4_3900 Depth=2
	v_cmp_ne_u32_e32 vcc, 0, v1
	v_mov_b32_e32 v34, 0
	s_and_saveexec_b64 s[62:63], vcc
	s_cbranch_execz .LBB4_3936
; %bb.3931:                             ;   in Loop: Header=BB4_3900 Depth=2
	v_bfe_u32 v1, v1, 23, 8
	v_sub_u32_e32 v3, 0x79, v1
	v_cmp_gt_u32_e32 vcc, s73, v1
	v_add_u32_e32 v2, 0xffffff81, v1
	v_cndmask_b32_e32 v3, 0, v3, vcc
	v_cmp_eq_u32_e32 vcc, 0, v1
	v_mov_b32_e32 v1, 0xffffff82
	v_cndmask_b32_e32 v1, v2, v1, vcc
	v_mov_b32_e32 v2, 0x78
	v_or_b32_e32 v4, 0x800000, v52
	v_cndmask_b32_e32 v5, v3, v2, vcc
	v_cndmask_b32_e32 v52, v4, v52, vcc
	v_add_u32_e32 v2, 20, v5
	v_lshlrev_b64 v[2:3], v2, -1
	v_add_u32_e32 v4, 19, v5
	v_lshrrev_b64 v[8:9], v5, v[52:53]
	v_not_b32_e32 v3, v3
	v_not_b32_e32 v2, v2
	v_lshlrev_b64 v[6:7], v4, 1
	v_lshrrev_b32_e32 v4, 23, v8
	v_and_b32_e32 v3, 0, v3
	v_and_b32_e32 v2, v52, v2
	v_add3_u32 v4, v5, v1, v4
	v_bfe_u32 v1, v8, 20, 1
	v_add_u32_e32 v1, -1, v1
	v_cmp_eq_u64_e32 vcc, v[2:3], v[6:7]
	v_cndmask_b32_e32 v1, 0, v1, vcc
	v_add_u32_e32 v1, v1, v8
	v_and_b32_e32 v1, 0xfffff, v1
	v_add_co_u32_e32 v2, vcc, v1, v8
	v_add_u32_e32 v24, 6, v4
	v_addc_co_u32_e32 v3, vcc, 0, v9, vcc
	v_cmp_ne_u32_e32 vcc, 0, v24
                                        ; implicit-def: $vgpr1
	s_and_saveexec_b64 s[20:21], vcc
	s_xor_b64 s[20:21], exec, s[20:21]
; %bb.3932:                             ;   in Loop: Header=BB4_3900 Depth=2
	v_cmp_lt_u64_e32 vcc, s[46:47], v[2:3]
	v_add_u32_e32 v1, 7, v4
	v_cndmask_b32_e64 v4, 0, 1, vcc
	v_cndmask_b32_e32 v1, v24, v1, vcc
	v_lshrrev_b64 v[2:3], v4, v[2:3]
; %bb.3933:                             ;   in Loop: Header=BB4_3900 Depth=2
	s_andn2_saveexec_b64 s[20:21], s[20:21]
; %bb.3934:                             ;   in Loop: Header=BB4_3900 Depth=2
	v_bfe_u32 v1, v2, 23, 1
; %bb.3935:                             ;   in Loop: Header=BB4_3900 Depth=2
	s_or_b64 exec, exec, s[20:21]
	v_lshrrev_b64 v[2:3], 20, v[2:3]
	v_cmp_gt_i32_e32 vcc, 16, v1
	v_cndmask_b32_e32 v3, 0, v3, vcc
	v_cndmask_b32_e32 v2, 7, v2, vcc
	v_cmp_eq_u32_e32 vcc, 0, v1
	v_min_i32_e32 v1, 15, v1
	v_cmp_eq_u64_e64 s[20:21], 0, v[2:3]
	v_lshlrev_b32_e32 v1, 3, v1
	v_and_or_b32 v1, v2, 7, v1
	s_and_b64 s[20:21], vcc, s[20:21]
	v_cndmask_b32_e64 v1, v1, 0, s[20:21]
	v_or_b32_e32 v34, v1, v0
.LBB4_3936:                             ;   in Loop: Header=BB4_3900 Depth=2
	s_or_b64 exec, exec, s[62:63]
.LBB4_3937:                             ;   in Loop: Header=BB4_3900 Depth=2
	s_or_b64 exec, exec, s[60:61]
                                        ; implicit-def: $vgpr1
.LBB4_3938:                             ;   in Loop: Header=BB4_3900 Depth=2
	s_andn2_saveexec_b64 s[20:21], s[58:59]
; %bb.3939:                             ;   in Loop: Header=BB4_3900 Depth=2
	v_or_b32_sdwa v0, v1, s71 dst_sel:DWORD dst_unused:UNUSED_PAD src0_sel:BYTE_3 src1_sel:DWORD
	v_cmp_eq_u64_e32 vcc, 0, v[52:53]
	v_cndmask_b32_e32 v34, v0, v34, vcc
; %bb.3940:                             ;   in Loop: Header=BB4_3900 Depth=2
	s_or_b64 exec, exec, s[20:21]
	v_lshrrev_b16_e32 v24, 8, v14
	v_lshrrev_b16_e32 v2, 8, v10
	v_cmp_ne_u16_e64 s[20:21], 0, v24
	s_and_b64 vcc, exec, s[56:57]
	s_cbranch_vccz .LBB4_3954
; %bb.3941:                             ;   in Loop: Header=BB4_3900 Depth=2
	v_mov_b32_e32 v1, 0
	v_mov_b32_e32 v0, 0
	s_and_saveexec_b64 s[58:59], s[20:21]
	s_cbranch_execz .LBB4_3947
; %bb.3942:                             ;   in Loop: Header=BB4_3900 Depth=2
	v_cmp_ne_u16_e32 vcc, s69, v24
	v_bfrev_b32_e32 v0, 1
	s_and_saveexec_b64 s[60:61], vcc
	s_cbranch_execz .LBB4_3946
; %bb.3943:                             ;   in Loop: Header=BB4_3900 Depth=2
	v_and_b32_e32 v3, 0x7f, v24
	v_cmp_ne_u32_e32 vcc, s71, v3
	v_mov_b32_e32 v0, 0x7f800001
	s_and_saveexec_b64 s[62:63], vcc
	s_cbranch_execz .LBB4_3945
; %bb.3944:                             ;   in Loop: Header=BB4_3900 Depth=2
	v_and_b32_e32 v0, 7, v24
	v_ffbh_u32_e32 v4, v0
	v_min_u32_e32 v7, 32, v4
	v_subrev_u32_e32 v4, 28, v7
	v_lshlrev_b64 v[4:5], v4, v[24:25]
	v_lshrrev_b32_e32 v6, 3, v3
	v_sub_u32_e32 v5, 29, v7
	v_and_b32_e32 v4, 7, v4
	v_cmp_gt_u32_e32 vcc, 8, v3
	v_cndmask_b32_e32 v3, v6, v5, vcc
	v_cndmask_b32_e32 v0, v0, v4, vcc
	v_lshlrev_b32_e32 v4, 16, v14
	v_lshlrev_b32_e32 v0, 20, v0
	v_and_b32_e32 v4, 0x80000000, v4
	v_lshl_add_u32 v3, v3, 23, v51
	v_or3_b32 v0, v4, v3, v0
.LBB4_3945:                             ;   in Loop: Header=BB4_3900 Depth=2
	s_or_b64 exec, exec, s[62:63]
.LBB4_3946:                             ;   in Loop: Header=BB4_3900 Depth=2
	s_or_b64 exec, exec, s[60:61]
.LBB4_3947:                             ;   in Loop: Header=BB4_3900 Depth=2
	s_or_b64 exec, exec, s[58:59]
	v_cmp_ne_u16_e32 vcc, 0, v2
	s_and_saveexec_b64 s[58:59], vcc
	s_cbranch_execz .LBB4_3953
; %bb.3948:                             ;   in Loop: Header=BB4_3900 Depth=2
	v_cmp_ne_u16_e32 vcc, s69, v2
	v_bfrev_b32_e32 v1, 1
	s_and_saveexec_b64 s[60:61], vcc
	s_cbranch_execz .LBB4_3952
; %bb.3949:                             ;   in Loop: Header=BB4_3900 Depth=2
	v_and_b32_e32 v3, 0x7f, v2
	v_cmp_ne_u32_e32 vcc, s71, v3
	v_mov_b32_e32 v1, 0x7f800001
	s_and_saveexec_b64 s[62:63], vcc
	s_cbranch_execz .LBB4_3951
; %bb.3950:                             ;   in Loop: Header=BB4_3900 Depth=2
	v_and_b32_e32 v1, 7, v2
	v_ffbh_u32_e32 v4, v1
	v_min_u32_e32 v7, 32, v4
	v_subrev_u32_e32 v4, 28, v7
	v_lshlrev_b64 v[4:5], v4, v[2:3]
	v_lshrrev_b32_e32 v6, 3, v3
	v_sub_u32_e32 v5, 29, v7
	v_and_b32_e32 v4, 7, v4
	v_cmp_gt_u32_e32 vcc, 8, v3
	v_cndmask_b32_e32 v3, v6, v5, vcc
	v_cndmask_b32_e32 v1, v1, v4, vcc
	v_lshlrev_b32_e32 v4, 16, v10
	v_lshlrev_b32_e32 v1, 20, v1
	v_and_b32_e32 v4, 0x80000000, v4
	v_lshl_add_u32 v3, v3, 23, v51
	v_or3_b32 v1, v4, v3, v1
.LBB4_3951:                             ;   in Loop: Header=BB4_3900 Depth=2
	s_or_b64 exec, exec, s[62:63]
.LBB4_3952:                             ;   in Loop: Header=BB4_3900 Depth=2
	s_or_b64 exec, exec, s[60:61]
.LBB4_3953:                             ;   in Loop: Header=BB4_3900 Depth=2
	s_or_b64 exec, exec, s[58:59]
	v_max_f32_e32 v1, v1, v1
	v_max_f32_e32 v0, v0, v0
	;; [unrolled: 1-line block ×3, first 2 shown]
	s_branch .LBB4_3968
.LBB4_3954:                             ;   in Loop: Header=BB4_3900 Depth=2
                                        ; implicit-def: $vgpr1
	s_cbranch_execz .LBB4_3968
; %bb.3955:                             ;   in Loop: Header=BB4_3900 Depth=2
	v_mov_b32_e32 v1, 0
	v_mov_b32_e32 v0, 0
	s_and_saveexec_b64 s[58:59], s[20:21]
	s_cbranch_execz .LBB4_3961
; %bb.3956:                             ;   in Loop: Header=BB4_3900 Depth=2
	v_cmp_ne_u16_e32 vcc, s69, v24
	v_bfrev_b32_e32 v0, 1
	s_and_saveexec_b64 s[20:21], vcc
	s_cbranch_execz .LBB4_3960
; %bb.3957:                             ;   in Loop: Header=BB4_3900 Depth=2
	v_and_b32_e32 v3, 0x7f, v24
	v_cmp_ne_u32_e32 vcc, s71, v3
	v_mov_b32_e32 v0, 0x7f800001
	s_and_saveexec_b64 s[60:61], vcc
	s_cbranch_execz .LBB4_3959
; %bb.3958:                             ;   in Loop: Header=BB4_3900 Depth=2
	v_and_b32_e32 v0, 7, v24
	v_ffbh_u32_e32 v4, v0
	v_min_u32_e32 v7, 32, v4
	v_subrev_u32_e32 v4, 28, v7
	v_lshlrev_b64 v[4:5], v4, v[24:25]
	v_lshrrev_b32_e32 v6, 3, v3
	v_sub_u32_e32 v5, 29, v7
	v_and_b32_e32 v4, 7, v4
	v_cmp_gt_u32_e32 vcc, 8, v3
	v_cndmask_b32_e32 v3, v6, v5, vcc
	v_cndmask_b32_e32 v0, v0, v4, vcc
	v_lshlrev_b32_e32 v4, 16, v14
	v_lshlrev_b32_e32 v0, 20, v0
	v_and_b32_e32 v4, 0x80000000, v4
	v_lshl_add_u32 v3, v3, 23, v51
	v_or3_b32 v0, v4, v3, v0
.LBB4_3959:                             ;   in Loop: Header=BB4_3900 Depth=2
	s_or_b64 exec, exec, s[60:61]
.LBB4_3960:                             ;   in Loop: Header=BB4_3900 Depth=2
	s_or_b64 exec, exec, s[20:21]
.LBB4_3961:                             ;   in Loop: Header=BB4_3900 Depth=2
	s_or_b64 exec, exec, s[58:59]
	v_cmp_ne_u16_e32 vcc, 0, v2
	s_and_saveexec_b64 s[20:21], vcc
	s_cbranch_execz .LBB4_3967
; %bb.3962:                             ;   in Loop: Header=BB4_3900 Depth=2
	v_cmp_ne_u16_e32 vcc, s69, v2
	v_bfrev_b32_e32 v1, 1
	s_and_saveexec_b64 s[58:59], vcc
	s_cbranch_execz .LBB4_3966
; %bb.3963:                             ;   in Loop: Header=BB4_3900 Depth=2
	v_and_b32_e32 v3, 0x7f, v2
	v_cmp_ne_u32_e32 vcc, s71, v3
	v_mov_b32_e32 v1, 0x7f800001
	s_and_saveexec_b64 s[60:61], vcc
	s_cbranch_execz .LBB4_3965
; %bb.3964:                             ;   in Loop: Header=BB4_3900 Depth=2
	v_and_b32_e32 v1, 7, v2
	v_ffbh_u32_e32 v4, v1
	v_min_u32_e32 v7, 32, v4
	v_subrev_u32_e32 v4, 28, v7
	v_lshlrev_b64 v[4:5], v4, v[2:3]
	v_lshrrev_b32_e32 v6, 3, v3
	v_sub_u32_e32 v2, 29, v7
	v_and_b32_e32 v4, 7, v4
	v_cmp_gt_u32_e32 vcc, 8, v3
	v_cndmask_b32_e32 v2, v6, v2, vcc
	v_cndmask_b32_e32 v1, v1, v4, vcc
	v_lshlrev_b32_e32 v3, 16, v10
	v_lshlrev_b32_e32 v1, 20, v1
	v_and_b32_e32 v3, 0x80000000, v3
	v_lshl_add_u32 v2, v2, 23, v51
	v_or3_b32 v1, v3, v2, v1
.LBB4_3965:                             ;   in Loop: Header=BB4_3900 Depth=2
	s_or_b64 exec, exec, s[60:61]
.LBB4_3966:                             ;   in Loop: Header=BB4_3900 Depth=2
	s_or_b64 exec, exec, s[58:59]
.LBB4_3967:                             ;   in Loop: Header=BB4_3900 Depth=2
	s_or_b64 exec, exec, s[20:21]
	v_max_f32_e32 v1, v1, v1
	v_max_f32_e32 v0, v0, v0
	v_min_f32_e32 v1, v0, v1
.LBB4_3968:                             ;   in Loop: Header=BB4_3900 Depth=2
	v_and_b32_sdwa v0, v1, s69 dst_sel:DWORD dst_unused:UNUSED_PAD src0_sel:BYTE_3 src1_sel:DWORD
	v_and_b32_e32 v2, 0x7f800000, v1
	v_mov_b32_e32 v3, v53
	v_and_b32_e32 v52, 0x7fffff, v1
	v_or_b32_e32 v35, 0x7e, v0
	v_cmp_ne_u64_e32 vcc, s[40:41], v[2:3]
	s_and_saveexec_b64 s[20:21], vcc
	s_xor_b64 s[58:59], exec, s[20:21]
	s_cbranch_execz .LBB4_3978
; %bb.3969:                             ;   in Loop: Header=BB4_3900 Depth=2
	v_and_b32_e32 v2, 0x7fffffff, v1
	v_mov_b32_e32 v3, v53
	v_cmp_gt_u64_e32 vcc, s[42:43], v[2:3]
	s_and_saveexec_b64 s[60:61], vcc
	s_cbranch_execz .LBB4_3977
; %bb.3970:                             ;   in Loop: Header=BB4_3900 Depth=2
	v_cmp_ne_u32_e32 vcc, 0, v1
	v_mov_b32_e32 v35, 0
	s_and_saveexec_b64 s[62:63], vcc
	s_cbranch_execz .LBB4_3976
; %bb.3971:                             ;   in Loop: Header=BB4_3900 Depth=2
	v_bfe_u32 v1, v1, 23, 8
	v_sub_u32_e32 v3, 0x79, v1
	v_cmp_gt_u32_e32 vcc, s73, v1
	v_add_u32_e32 v2, 0xffffff81, v1
	v_cndmask_b32_e32 v3, 0, v3, vcc
	v_cmp_eq_u32_e32 vcc, 0, v1
	v_mov_b32_e32 v1, 0xffffff82
	v_cndmask_b32_e32 v1, v2, v1, vcc
	v_mov_b32_e32 v2, 0x78
	v_or_b32_e32 v4, 0x800000, v52
	v_cndmask_b32_e32 v5, v3, v2, vcc
	v_cndmask_b32_e32 v52, v4, v52, vcc
	v_add_u32_e32 v2, 20, v5
	v_lshlrev_b64 v[2:3], v2, -1
	v_add_u32_e32 v4, 19, v5
	v_lshrrev_b64 v[8:9], v5, v[52:53]
	v_not_b32_e32 v3, v3
	v_not_b32_e32 v2, v2
	v_lshlrev_b64 v[6:7], v4, 1
	v_lshrrev_b32_e32 v4, 23, v8
	v_and_b32_e32 v3, 0, v3
	v_and_b32_e32 v2, v52, v2
	v_add3_u32 v4, v5, v1, v4
	v_bfe_u32 v1, v8, 20, 1
	v_add_u32_e32 v1, -1, v1
	v_cmp_eq_u64_e32 vcc, v[2:3], v[6:7]
	v_cndmask_b32_e32 v1, 0, v1, vcc
	v_add_u32_e32 v1, v1, v8
	v_and_b32_e32 v1, 0xfffff, v1
	v_add_co_u32_e32 v2, vcc, v1, v8
	v_add_u32_e32 v24, 6, v4
	v_addc_co_u32_e32 v3, vcc, 0, v9, vcc
	v_cmp_ne_u32_e32 vcc, 0, v24
                                        ; implicit-def: $vgpr1
	s_and_saveexec_b64 s[20:21], vcc
	s_xor_b64 s[20:21], exec, s[20:21]
; %bb.3972:                             ;   in Loop: Header=BB4_3900 Depth=2
	v_cmp_lt_u64_e32 vcc, s[46:47], v[2:3]
	v_add_u32_e32 v1, 7, v4
	v_cndmask_b32_e64 v4, 0, 1, vcc
	v_cndmask_b32_e32 v1, v24, v1, vcc
	v_lshrrev_b64 v[2:3], v4, v[2:3]
; %bb.3973:                             ;   in Loop: Header=BB4_3900 Depth=2
	s_andn2_saveexec_b64 s[20:21], s[20:21]
; %bb.3974:                             ;   in Loop: Header=BB4_3900 Depth=2
	v_bfe_u32 v1, v2, 23, 1
; %bb.3975:                             ;   in Loop: Header=BB4_3900 Depth=2
	s_or_b64 exec, exec, s[20:21]
	v_lshrrev_b64 v[2:3], 20, v[2:3]
	v_cmp_gt_i32_e32 vcc, 16, v1
	v_cndmask_b32_e32 v3, 0, v3, vcc
	v_cndmask_b32_e32 v2, 7, v2, vcc
	v_cmp_eq_u32_e32 vcc, 0, v1
	v_min_i32_e32 v1, 15, v1
	v_cmp_eq_u64_e64 s[20:21], 0, v[2:3]
	v_lshlrev_b32_e32 v1, 3, v1
	v_and_or_b32 v1, v2, 7, v1
	s_and_b64 s[20:21], vcc, s[20:21]
	v_cndmask_b32_e64 v1, v1, 0, s[20:21]
	v_or_b32_e32 v35, v1, v0
.LBB4_3976:                             ;   in Loop: Header=BB4_3900 Depth=2
	s_or_b64 exec, exec, s[62:63]
.LBB4_3977:                             ;   in Loop: Header=BB4_3900 Depth=2
	s_or_b64 exec, exec, s[60:61]
                                        ; implicit-def: $vgpr1
.LBB4_3978:                             ;   in Loop: Header=BB4_3900 Depth=2
	s_andn2_saveexec_b64 s[20:21], s[58:59]
; %bb.3979:                             ;   in Loop: Header=BB4_3900 Depth=2
	v_or_b32_sdwa v0, v1, s71 dst_sel:DWORD dst_unused:UNUSED_PAD src0_sel:BYTE_3 src1_sel:DWORD
	v_cmp_eq_u64_e32 vcc, 0, v[52:53]
	v_cndmask_b32_e32 v35, v0, v35, vcc
; %bb.3980:                             ;   in Loop: Header=BB4_3900 Depth=2
	s_or_b64 exec, exec, s[20:21]
	v_lshrrev_b32_e32 v24, 16, v14
	v_lshrrev_b32_e32 v2, 16, v10
	v_cmp_ne_u16_sdwa s[20:21], v24, v53 src0_sel:BYTE_0 src1_sel:DWORD
	s_and_b64 vcc, exec, s[56:57]
	s_cbranch_vccz .LBB4_3994
; %bb.3981:                             ;   in Loop: Header=BB4_3900 Depth=2
	v_mov_b32_e32 v1, 0
	v_mov_b32_e32 v0, 0
	s_and_saveexec_b64 s[58:59], s[20:21]
	s_cbranch_execz .LBB4_3987
; %bb.3982:                             ;   in Loop: Header=BB4_3900 Depth=2
	v_cmp_ne_u16_sdwa vcc, v24, s69 src0_sel:BYTE_0 src1_sel:DWORD
	v_bfrev_b32_e32 v0, 1
	s_and_saveexec_b64 s[60:61], vcc
	s_cbranch_execz .LBB4_3986
; %bb.3983:                             ;   in Loop: Header=BB4_3900 Depth=2
	v_bfe_u32 v3, v14, 16, 7
	v_cmp_ne_u32_e32 vcc, s71, v3
	v_mov_b32_e32 v0, 0x7f800001
	s_and_saveexec_b64 s[62:63], vcc
	s_cbranch_execz .LBB4_3985
; %bb.3984:                             ;   in Loop: Header=BB4_3900 Depth=2
	v_and_b32_e32 v0, 7, v24
	v_ffbh_u32_e32 v4, v0
	v_min_u32_e32 v7, 32, v4
	v_subrev_u32_e32 v4, 28, v7
	v_lshlrev_b64 v[4:5], v4, v[24:25]
	v_lshrrev_b32_e32 v6, 3, v3
	v_sub_u32_e32 v5, 29, v7
	v_and_b32_e32 v4, 7, v4
	v_cmp_gt_u32_e32 vcc, 8, v3
	v_cndmask_b32_e32 v3, v6, v5, vcc
	v_cndmask_b32_e32 v0, v0, v4, vcc
	v_lshlrev_b32_e32 v4, 24, v24
	v_lshlrev_b32_e32 v0, 20, v0
	v_and_b32_e32 v4, 0x80000000, v4
	v_lshl_add_u32 v3, v3, 23, v51
	v_or3_b32 v0, v4, v3, v0
.LBB4_3985:                             ;   in Loop: Header=BB4_3900 Depth=2
	s_or_b64 exec, exec, s[62:63]
.LBB4_3986:                             ;   in Loop: Header=BB4_3900 Depth=2
	s_or_b64 exec, exec, s[60:61]
.LBB4_3987:                             ;   in Loop: Header=BB4_3900 Depth=2
	s_or_b64 exec, exec, s[58:59]
	v_cmp_ne_u16_sdwa vcc, v2, v53 src0_sel:BYTE_0 src1_sel:DWORD
	s_and_saveexec_b64 s[58:59], vcc
	s_cbranch_execz .LBB4_3993
; %bb.3988:                             ;   in Loop: Header=BB4_3900 Depth=2
	v_cmp_ne_u16_sdwa vcc, v2, s69 src0_sel:BYTE_0 src1_sel:DWORD
	v_bfrev_b32_e32 v1, 1
	s_and_saveexec_b64 s[60:61], vcc
	s_cbranch_execz .LBB4_3992
; %bb.3989:                             ;   in Loop: Header=BB4_3900 Depth=2
	v_bfe_u32 v3, v10, 16, 7
	v_cmp_ne_u32_e32 vcc, s71, v3
	v_mov_b32_e32 v1, 0x7f800001
	s_and_saveexec_b64 s[62:63], vcc
	s_cbranch_execz .LBB4_3991
; %bb.3990:                             ;   in Loop: Header=BB4_3900 Depth=2
	v_and_b32_e32 v1, 7, v2
	v_ffbh_u32_e32 v4, v1
	v_min_u32_e32 v7, 32, v4
	v_subrev_u32_e32 v4, 28, v7
	v_lshlrev_b64 v[4:5], v4, v[2:3]
	v_lshrrev_b32_e32 v6, 3, v3
	v_sub_u32_e32 v5, 29, v7
	v_and_b32_e32 v4, 7, v4
	v_cmp_gt_u32_e32 vcc, 8, v3
	v_cndmask_b32_e32 v3, v6, v5, vcc
	v_cndmask_b32_e32 v1, v1, v4, vcc
	v_lshlrev_b32_e32 v4, 24, v2
	v_lshlrev_b32_e32 v1, 20, v1
	v_and_b32_e32 v4, 0x80000000, v4
	v_lshl_add_u32 v3, v3, 23, v51
	v_or3_b32 v1, v4, v3, v1
.LBB4_3991:                             ;   in Loop: Header=BB4_3900 Depth=2
	s_or_b64 exec, exec, s[62:63]
.LBB4_3992:                             ;   in Loop: Header=BB4_3900 Depth=2
	s_or_b64 exec, exec, s[60:61]
.LBB4_3993:                             ;   in Loop: Header=BB4_3900 Depth=2
	s_or_b64 exec, exec, s[58:59]
	v_max_f32_e32 v1, v1, v1
	v_max_f32_e32 v0, v0, v0
	;; [unrolled: 1-line block ×3, first 2 shown]
	s_branch .LBB4_4008
.LBB4_3994:                             ;   in Loop: Header=BB4_3900 Depth=2
                                        ; implicit-def: $vgpr1
	s_cbranch_execz .LBB4_4008
; %bb.3995:                             ;   in Loop: Header=BB4_3900 Depth=2
	v_mov_b32_e32 v1, 0
	v_mov_b32_e32 v0, 0
	s_and_saveexec_b64 s[58:59], s[20:21]
	s_cbranch_execz .LBB4_4001
; %bb.3996:                             ;   in Loop: Header=BB4_3900 Depth=2
	v_cmp_ne_u16_sdwa vcc, v24, s69 src0_sel:BYTE_0 src1_sel:DWORD
	v_bfrev_b32_e32 v0, 1
	s_and_saveexec_b64 s[20:21], vcc
	s_cbranch_execz .LBB4_4000
; %bb.3997:                             ;   in Loop: Header=BB4_3900 Depth=2
	v_bfe_u32 v3, v14, 16, 7
	v_cmp_ne_u32_e32 vcc, s71, v3
	v_mov_b32_e32 v0, 0x7f800001
	s_and_saveexec_b64 s[60:61], vcc
	s_cbranch_execz .LBB4_3999
; %bb.3998:                             ;   in Loop: Header=BB4_3900 Depth=2
	v_and_b32_e32 v0, 7, v24
	v_ffbh_u32_e32 v4, v0
	v_min_u32_e32 v7, 32, v4
	v_subrev_u32_e32 v4, 28, v7
	v_lshlrev_b64 v[4:5], v4, v[24:25]
	v_lshrrev_b32_e32 v6, 3, v3
	v_sub_u32_e32 v5, 29, v7
	v_and_b32_e32 v4, 7, v4
	v_cmp_gt_u32_e32 vcc, 8, v3
	v_cndmask_b32_e32 v3, v6, v5, vcc
	v_cndmask_b32_e32 v0, v0, v4, vcc
	v_lshlrev_b32_e32 v4, 24, v24
	v_lshlrev_b32_e32 v0, 20, v0
	v_and_b32_e32 v4, 0x80000000, v4
	v_lshl_add_u32 v3, v3, 23, v51
	v_or3_b32 v0, v4, v3, v0
.LBB4_3999:                             ;   in Loop: Header=BB4_3900 Depth=2
	s_or_b64 exec, exec, s[60:61]
.LBB4_4000:                             ;   in Loop: Header=BB4_3900 Depth=2
	s_or_b64 exec, exec, s[20:21]
.LBB4_4001:                             ;   in Loop: Header=BB4_3900 Depth=2
	s_or_b64 exec, exec, s[58:59]
	v_cmp_ne_u16_sdwa vcc, v2, v53 src0_sel:BYTE_0 src1_sel:DWORD
	s_and_saveexec_b64 s[20:21], vcc
	s_cbranch_execz .LBB4_4007
; %bb.4002:                             ;   in Loop: Header=BB4_3900 Depth=2
	v_cmp_ne_u16_sdwa vcc, v2, s69 src0_sel:BYTE_0 src1_sel:DWORD
	v_bfrev_b32_e32 v1, 1
	s_and_saveexec_b64 s[58:59], vcc
	s_cbranch_execz .LBB4_4006
; %bb.4003:                             ;   in Loop: Header=BB4_3900 Depth=2
	v_bfe_u32 v3, v10, 16, 7
	v_cmp_ne_u32_e32 vcc, s71, v3
	v_mov_b32_e32 v1, 0x7f800001
	s_and_saveexec_b64 s[60:61], vcc
	s_cbranch_execz .LBB4_4005
; %bb.4004:                             ;   in Loop: Header=BB4_3900 Depth=2
	v_and_b32_e32 v1, 7, v2
	v_ffbh_u32_e32 v4, v1
	v_min_u32_e32 v7, 32, v4
	v_subrev_u32_e32 v4, 28, v7
	v_lshlrev_b64 v[4:5], v4, v[2:3]
	v_lshrrev_b32_e32 v6, 3, v3
	v_sub_u32_e32 v5, 29, v7
	v_and_b32_e32 v4, 7, v4
	v_cmp_gt_u32_e32 vcc, 8, v3
	v_cndmask_b32_e32 v3, v6, v5, vcc
	v_cndmask_b32_e32 v1, v1, v4, vcc
	v_lshlrev_b32_e32 v2, 24, v2
	v_lshlrev_b32_e32 v1, 20, v1
	v_and_b32_e32 v2, 0x80000000, v2
	v_lshl_add_u32 v3, v3, 23, v51
	v_or3_b32 v1, v2, v3, v1
.LBB4_4005:                             ;   in Loop: Header=BB4_3900 Depth=2
	s_or_b64 exec, exec, s[60:61]
.LBB4_4006:                             ;   in Loop: Header=BB4_3900 Depth=2
	s_or_b64 exec, exec, s[58:59]
.LBB4_4007:                             ;   in Loop: Header=BB4_3900 Depth=2
	s_or_b64 exec, exec, s[20:21]
	v_max_f32_e32 v1, v1, v1
	v_max_f32_e32 v0, v0, v0
	v_min_f32_e32 v1, v0, v1
.LBB4_4008:                             ;   in Loop: Header=BB4_3900 Depth=2
	v_and_b32_sdwa v0, v1, s69 dst_sel:DWORD dst_unused:UNUSED_PAD src0_sel:BYTE_3 src1_sel:DWORD
	v_and_b32_e32 v2, 0x7f800000, v1
	v_mov_b32_e32 v3, v53
	v_and_b32_e32 v52, 0x7fffff, v1
	v_or_b32_e32 v27, 0x7e, v0
	v_cmp_ne_u64_e32 vcc, s[40:41], v[2:3]
	s_and_saveexec_b64 s[20:21], vcc
	s_xor_b64 s[58:59], exec, s[20:21]
	s_cbranch_execz .LBB4_4018
; %bb.4009:                             ;   in Loop: Header=BB4_3900 Depth=2
	v_and_b32_e32 v2, 0x7fffffff, v1
	v_mov_b32_e32 v3, v53
	v_cmp_gt_u64_e32 vcc, s[42:43], v[2:3]
	s_and_saveexec_b64 s[60:61], vcc
	s_cbranch_execz .LBB4_4017
; %bb.4010:                             ;   in Loop: Header=BB4_3900 Depth=2
	v_cmp_ne_u32_e32 vcc, 0, v1
	v_mov_b32_e32 v27, 0
	s_and_saveexec_b64 s[62:63], vcc
	s_cbranch_execz .LBB4_4016
; %bb.4011:                             ;   in Loop: Header=BB4_3900 Depth=2
	v_bfe_u32 v1, v1, 23, 8
	v_sub_u32_e32 v3, 0x79, v1
	v_cmp_gt_u32_e32 vcc, s73, v1
	v_add_u32_e32 v2, 0xffffff81, v1
	v_cndmask_b32_e32 v3, 0, v3, vcc
	v_cmp_eq_u32_e32 vcc, 0, v1
	v_mov_b32_e32 v1, 0xffffff82
	v_cndmask_b32_e32 v1, v2, v1, vcc
	v_mov_b32_e32 v2, 0x78
	v_or_b32_e32 v4, 0x800000, v52
	v_cndmask_b32_e32 v5, v3, v2, vcc
	v_cndmask_b32_e32 v52, v4, v52, vcc
	v_add_u32_e32 v2, 20, v5
	v_lshlrev_b64 v[2:3], v2, -1
	v_add_u32_e32 v4, 19, v5
	v_lshrrev_b64 v[8:9], v5, v[52:53]
	v_not_b32_e32 v3, v3
	v_not_b32_e32 v2, v2
	v_lshlrev_b64 v[6:7], v4, 1
	v_lshrrev_b32_e32 v4, 23, v8
	v_and_b32_e32 v3, 0, v3
	v_and_b32_e32 v2, v52, v2
	v_add3_u32 v4, v5, v1, v4
	v_bfe_u32 v1, v8, 20, 1
	v_add_u32_e32 v1, -1, v1
	v_cmp_eq_u64_e32 vcc, v[2:3], v[6:7]
	v_cndmask_b32_e32 v1, 0, v1, vcc
	v_add_u32_e32 v1, v1, v8
	v_and_b32_e32 v1, 0xfffff, v1
	v_add_co_u32_e32 v2, vcc, v1, v8
	v_add_u32_e32 v24, 6, v4
	v_addc_co_u32_e32 v3, vcc, 0, v9, vcc
	v_cmp_ne_u32_e32 vcc, 0, v24
                                        ; implicit-def: $vgpr1
	s_and_saveexec_b64 s[20:21], vcc
	s_xor_b64 s[20:21], exec, s[20:21]
; %bb.4012:                             ;   in Loop: Header=BB4_3900 Depth=2
	v_cmp_lt_u64_e32 vcc, s[46:47], v[2:3]
	v_add_u32_e32 v1, 7, v4
	v_cndmask_b32_e64 v4, 0, 1, vcc
	v_cndmask_b32_e32 v1, v24, v1, vcc
	v_lshrrev_b64 v[2:3], v4, v[2:3]
; %bb.4013:                             ;   in Loop: Header=BB4_3900 Depth=2
	s_andn2_saveexec_b64 s[20:21], s[20:21]
; %bb.4014:                             ;   in Loop: Header=BB4_3900 Depth=2
	v_bfe_u32 v1, v2, 23, 1
; %bb.4015:                             ;   in Loop: Header=BB4_3900 Depth=2
	s_or_b64 exec, exec, s[20:21]
	v_lshrrev_b64 v[2:3], 20, v[2:3]
	v_cmp_gt_i32_e32 vcc, 16, v1
	v_cndmask_b32_e32 v3, 0, v3, vcc
	v_cndmask_b32_e32 v2, 7, v2, vcc
	v_cmp_eq_u32_e32 vcc, 0, v1
	v_min_i32_e32 v1, 15, v1
	v_cmp_eq_u64_e64 s[20:21], 0, v[2:3]
	v_lshlrev_b32_e32 v1, 3, v1
	v_and_or_b32 v1, v2, 7, v1
	s_and_b64 s[20:21], vcc, s[20:21]
	v_cndmask_b32_e64 v1, v1, 0, s[20:21]
	v_or_b32_e32 v27, v1, v0
.LBB4_4016:                             ;   in Loop: Header=BB4_3900 Depth=2
	s_or_b64 exec, exec, s[62:63]
.LBB4_4017:                             ;   in Loop: Header=BB4_3900 Depth=2
	s_or_b64 exec, exec, s[60:61]
                                        ; implicit-def: $vgpr1
.LBB4_4018:                             ;   in Loop: Header=BB4_3900 Depth=2
	s_andn2_saveexec_b64 s[20:21], s[58:59]
; %bb.4019:                             ;   in Loop: Header=BB4_3900 Depth=2
	v_or_b32_sdwa v0, v1, s71 dst_sel:DWORD dst_unused:UNUSED_PAD src0_sel:BYTE_3 src1_sel:DWORD
	v_cmp_eq_u64_e32 vcc, 0, v[52:53]
	v_cndmask_b32_e32 v27, v0, v27, vcc
; %bb.4020:                             ;   in Loop: Header=BB4_3900 Depth=2
	s_or_b64 exec, exec, s[20:21]
	v_lshrrev_b32_e32 v24, 24, v14
	v_lshrrev_b32_e32 v2, 24, v10
	v_cmp_lt_u32_e64 s[20:21], s45, v14
	s_and_b64 vcc, exec, s[56:57]
	s_cbranch_vccz .LBB4_4034
; %bb.4021:                             ;   in Loop: Header=BB4_3900 Depth=2
	v_mov_b32_e32 v1, 0
	v_mov_b32_e32 v0, 0
	s_and_saveexec_b64 s[58:59], s[20:21]
	s_cbranch_execz .LBB4_4027
; %bb.4022:                             ;   in Loop: Header=BB4_3900 Depth=2
	v_cmp_ne_u32_e32 vcc, s69, v24
	v_bfrev_b32_e32 v0, 1
	s_and_saveexec_b64 s[60:61], vcc
	s_cbranch_execz .LBB4_4026
; %bb.4023:                             ;   in Loop: Header=BB4_3900 Depth=2
	v_bfe_u32 v3, v14, 24, 7
	v_cmp_ne_u32_e32 vcc, s71, v3
	v_mov_b32_e32 v0, 0x7f800001
	s_and_saveexec_b64 s[62:63], vcc
	s_cbranch_execz .LBB4_4025
; %bb.4024:                             ;   in Loop: Header=BB4_3900 Depth=2
	v_and_b32_e32 v0, 7, v24
	v_ffbh_u32_e32 v4, v0
	v_min_u32_e32 v7, 32, v4
	v_subrev_u32_e32 v4, 28, v7
	v_lshlrev_b64 v[4:5], v4, v[24:25]
	v_lshrrev_b32_e32 v6, 3, v3
	v_sub_u32_e32 v5, 29, v7
	v_and_b32_e32 v4, 7, v4
	v_cmp_gt_u32_e32 vcc, 8, v3
	v_cndmask_b32_e32 v3, v6, v5, vcc
	v_cndmask_b32_e32 v0, v0, v4, vcc
	v_lshlrev_b32_e32 v4, 24, v24
	v_lshlrev_b32_e32 v0, 20, v0
	v_and_b32_e32 v4, 0x80000000, v4
	v_lshl_add_u32 v3, v3, 23, v51
	v_or3_b32 v0, v4, v3, v0
.LBB4_4025:                             ;   in Loop: Header=BB4_3900 Depth=2
	s_or_b64 exec, exec, s[62:63]
.LBB4_4026:                             ;   in Loop: Header=BB4_3900 Depth=2
	s_or_b64 exec, exec, s[60:61]
.LBB4_4027:                             ;   in Loop: Header=BB4_3900 Depth=2
	s_or_b64 exec, exec, s[58:59]
	v_cmp_lt_u32_e32 vcc, s45, v10
	s_and_saveexec_b64 s[58:59], vcc
	s_cbranch_execz .LBB4_4033
; %bb.4028:                             ;   in Loop: Header=BB4_3900 Depth=2
	v_cmp_ne_u32_e32 vcc, s69, v2
	v_bfrev_b32_e32 v1, 1
	s_and_saveexec_b64 s[60:61], vcc
	s_cbranch_execz .LBB4_4032
; %bb.4029:                             ;   in Loop: Header=BB4_3900 Depth=2
	v_bfe_u32 v3, v10, 24, 7
	v_cmp_ne_u32_e32 vcc, s71, v3
	v_mov_b32_e32 v1, 0x7f800001
	s_and_saveexec_b64 s[62:63], vcc
	s_cbranch_execz .LBB4_4031
; %bb.4030:                             ;   in Loop: Header=BB4_3900 Depth=2
	v_and_b32_e32 v1, 7, v2
	v_ffbh_u32_e32 v4, v1
	v_min_u32_e32 v7, 32, v4
	v_subrev_u32_e32 v4, 28, v7
	v_lshlrev_b64 v[4:5], v4, v[2:3]
	v_lshrrev_b32_e32 v6, 3, v3
	v_sub_u32_e32 v5, 29, v7
	v_and_b32_e32 v4, 7, v4
	v_cmp_gt_u32_e32 vcc, 8, v3
	v_cndmask_b32_e32 v3, v6, v5, vcc
	v_cndmask_b32_e32 v1, v1, v4, vcc
	v_lshlrev_b32_e32 v4, 24, v2
	v_lshlrev_b32_e32 v1, 20, v1
	v_and_b32_e32 v4, 0x80000000, v4
	v_lshl_add_u32 v3, v3, 23, v51
	v_or3_b32 v1, v4, v3, v1
.LBB4_4031:                             ;   in Loop: Header=BB4_3900 Depth=2
	s_or_b64 exec, exec, s[62:63]
.LBB4_4032:                             ;   in Loop: Header=BB4_3900 Depth=2
	s_or_b64 exec, exec, s[60:61]
.LBB4_4033:                             ;   in Loop: Header=BB4_3900 Depth=2
	s_or_b64 exec, exec, s[58:59]
	v_max_f32_e32 v1, v1, v1
	v_max_f32_e32 v0, v0, v0
	;; [unrolled: 1-line block ×3, first 2 shown]
	s_branch .LBB4_4048
.LBB4_4034:                             ;   in Loop: Header=BB4_3900 Depth=2
                                        ; implicit-def: $vgpr1
	s_cbranch_execz .LBB4_4048
; %bb.4035:                             ;   in Loop: Header=BB4_3900 Depth=2
	v_mov_b32_e32 v1, 0
	v_mov_b32_e32 v0, 0
	s_and_saveexec_b64 s[58:59], s[20:21]
	s_cbranch_execz .LBB4_4041
; %bb.4036:                             ;   in Loop: Header=BB4_3900 Depth=2
	v_cmp_ne_u32_e32 vcc, s69, v24
	v_bfrev_b32_e32 v0, 1
	s_and_saveexec_b64 s[20:21], vcc
	s_cbranch_execz .LBB4_4040
; %bb.4037:                             ;   in Loop: Header=BB4_3900 Depth=2
	v_bfe_u32 v3, v14, 24, 7
	v_cmp_ne_u32_e32 vcc, s71, v3
	v_mov_b32_e32 v0, 0x7f800001
	s_and_saveexec_b64 s[60:61], vcc
	s_cbranch_execz .LBB4_4039
; %bb.4038:                             ;   in Loop: Header=BB4_3900 Depth=2
	v_and_b32_e32 v0, 7, v24
	v_ffbh_u32_e32 v4, v0
	v_min_u32_e32 v7, 32, v4
	v_subrev_u32_e32 v4, 28, v7
	v_lshlrev_b64 v[4:5], v4, v[24:25]
	v_lshrrev_b32_e32 v6, 3, v3
	v_sub_u32_e32 v5, 29, v7
	v_and_b32_e32 v4, 7, v4
	v_cmp_gt_u32_e32 vcc, 8, v3
	v_cndmask_b32_e32 v3, v6, v5, vcc
	v_cndmask_b32_e32 v0, v0, v4, vcc
	v_lshlrev_b32_e32 v4, 24, v24
	v_lshlrev_b32_e32 v0, 20, v0
	v_and_b32_e32 v4, 0x80000000, v4
	v_lshl_add_u32 v3, v3, 23, v51
	v_or3_b32 v0, v4, v3, v0
.LBB4_4039:                             ;   in Loop: Header=BB4_3900 Depth=2
	s_or_b64 exec, exec, s[60:61]
.LBB4_4040:                             ;   in Loop: Header=BB4_3900 Depth=2
	s_or_b64 exec, exec, s[20:21]
.LBB4_4041:                             ;   in Loop: Header=BB4_3900 Depth=2
	s_or_b64 exec, exec, s[58:59]
	v_cmp_lt_u32_e32 vcc, s45, v10
	s_and_saveexec_b64 s[20:21], vcc
	s_cbranch_execz .LBB4_4047
; %bb.4042:                             ;   in Loop: Header=BB4_3900 Depth=2
	v_cmp_ne_u32_e32 vcc, s69, v2
	v_bfrev_b32_e32 v1, 1
	s_and_saveexec_b64 s[58:59], vcc
	s_cbranch_execz .LBB4_4046
; %bb.4043:                             ;   in Loop: Header=BB4_3900 Depth=2
	v_bfe_u32 v3, v10, 24, 7
	v_cmp_ne_u32_e32 vcc, s71, v3
	v_mov_b32_e32 v1, 0x7f800001
	s_and_saveexec_b64 s[60:61], vcc
	s_cbranch_execz .LBB4_4045
; %bb.4044:                             ;   in Loop: Header=BB4_3900 Depth=2
	v_and_b32_e32 v1, 7, v2
	v_ffbh_u32_e32 v4, v1
	v_min_u32_e32 v7, 32, v4
	v_subrev_u32_e32 v4, 28, v7
	v_lshlrev_b64 v[4:5], v4, v[2:3]
	v_lshrrev_b32_e32 v6, 3, v3
	v_sub_u32_e32 v5, 29, v7
	v_and_b32_e32 v4, 7, v4
	v_cmp_gt_u32_e32 vcc, 8, v3
	v_cndmask_b32_e32 v3, v6, v5, vcc
	v_cndmask_b32_e32 v1, v1, v4, vcc
	v_lshlrev_b32_e32 v2, 24, v2
	v_lshlrev_b32_e32 v1, 20, v1
	v_and_b32_e32 v2, 0x80000000, v2
	v_lshl_add_u32 v3, v3, 23, v51
	v_or3_b32 v1, v2, v3, v1
.LBB4_4045:                             ;   in Loop: Header=BB4_3900 Depth=2
	s_or_b64 exec, exec, s[60:61]
.LBB4_4046:                             ;   in Loop: Header=BB4_3900 Depth=2
	s_or_b64 exec, exec, s[58:59]
.LBB4_4047:                             ;   in Loop: Header=BB4_3900 Depth=2
	s_or_b64 exec, exec, s[20:21]
	v_max_f32_e32 v1, v1, v1
	v_max_f32_e32 v0, v0, v0
	v_min_f32_e32 v1, v0, v1
.LBB4_4048:                             ;   in Loop: Header=BB4_3900 Depth=2
	v_and_b32_sdwa v0, v1, s69 dst_sel:DWORD dst_unused:UNUSED_PAD src0_sel:BYTE_3 src1_sel:DWORD
	v_and_b32_e32 v2, 0x7f800000, v1
	v_mov_b32_e32 v3, v53
	v_and_b32_e32 v52, 0x7fffff, v1
	v_or_b32_e32 v50, 0x7e, v0
	v_cmp_ne_u64_e32 vcc, s[40:41], v[2:3]
	s_and_saveexec_b64 s[20:21], vcc
	s_xor_b64 s[58:59], exec, s[20:21]
	s_cbranch_execz .LBB4_4058
; %bb.4049:                             ;   in Loop: Header=BB4_3900 Depth=2
	v_and_b32_e32 v2, 0x7fffffff, v1
	v_mov_b32_e32 v3, v53
	v_cmp_gt_u64_e32 vcc, s[42:43], v[2:3]
	s_and_saveexec_b64 s[60:61], vcc
	s_cbranch_execz .LBB4_4057
; %bb.4050:                             ;   in Loop: Header=BB4_3900 Depth=2
	v_cmp_ne_u32_e32 vcc, 0, v1
	v_mov_b32_e32 v50, 0
	s_and_saveexec_b64 s[62:63], vcc
	s_cbranch_execz .LBB4_4056
; %bb.4051:                             ;   in Loop: Header=BB4_3900 Depth=2
	v_bfe_u32 v1, v1, 23, 8
	v_sub_u32_e32 v3, 0x79, v1
	v_cmp_gt_u32_e32 vcc, s73, v1
	v_add_u32_e32 v2, 0xffffff81, v1
	v_cndmask_b32_e32 v3, 0, v3, vcc
	v_cmp_eq_u32_e32 vcc, 0, v1
	v_mov_b32_e32 v1, 0xffffff82
	v_cndmask_b32_e32 v1, v2, v1, vcc
	v_mov_b32_e32 v2, 0x78
	v_or_b32_e32 v4, 0x800000, v52
	v_cndmask_b32_e32 v5, v3, v2, vcc
	v_cndmask_b32_e32 v52, v4, v52, vcc
	v_add_u32_e32 v2, 20, v5
	v_lshlrev_b64 v[2:3], v2, -1
	v_add_u32_e32 v4, 19, v5
	v_lshrrev_b64 v[8:9], v5, v[52:53]
	v_not_b32_e32 v3, v3
	v_not_b32_e32 v2, v2
	v_lshlrev_b64 v[6:7], v4, 1
	v_lshrrev_b32_e32 v4, 23, v8
	v_and_b32_e32 v3, 0, v3
	v_and_b32_e32 v2, v52, v2
	v_add3_u32 v4, v5, v1, v4
	v_bfe_u32 v1, v8, 20, 1
	v_add_u32_e32 v1, -1, v1
	v_cmp_eq_u64_e32 vcc, v[2:3], v[6:7]
	v_cndmask_b32_e32 v1, 0, v1, vcc
	v_add_u32_e32 v1, v1, v8
	v_and_b32_e32 v1, 0xfffff, v1
	v_add_co_u32_e32 v2, vcc, v1, v8
	v_add_u32_e32 v24, 6, v4
	v_addc_co_u32_e32 v3, vcc, 0, v9, vcc
	v_cmp_ne_u32_e32 vcc, 0, v24
                                        ; implicit-def: $vgpr1
	s_and_saveexec_b64 s[20:21], vcc
	s_xor_b64 s[20:21], exec, s[20:21]
; %bb.4052:                             ;   in Loop: Header=BB4_3900 Depth=2
	v_cmp_lt_u64_e32 vcc, s[46:47], v[2:3]
	v_add_u32_e32 v1, 7, v4
	v_cndmask_b32_e64 v4, 0, 1, vcc
	v_cndmask_b32_e32 v1, v24, v1, vcc
	v_lshrrev_b64 v[2:3], v4, v[2:3]
; %bb.4053:                             ;   in Loop: Header=BB4_3900 Depth=2
	s_andn2_saveexec_b64 s[20:21], s[20:21]
; %bb.4054:                             ;   in Loop: Header=BB4_3900 Depth=2
	v_bfe_u32 v1, v2, 23, 1
; %bb.4055:                             ;   in Loop: Header=BB4_3900 Depth=2
	s_or_b64 exec, exec, s[20:21]
	v_lshrrev_b64 v[2:3], 20, v[2:3]
	v_cmp_gt_i32_e32 vcc, 16, v1
	v_cndmask_b32_e32 v3, 0, v3, vcc
	v_cndmask_b32_e32 v2, 7, v2, vcc
	v_cmp_eq_u32_e32 vcc, 0, v1
	v_min_i32_e32 v1, 15, v1
	v_cmp_eq_u64_e64 s[20:21], 0, v[2:3]
	v_lshlrev_b32_e32 v1, 3, v1
	v_and_or_b32 v1, v2, 7, v1
	s_and_b64 s[20:21], vcc, s[20:21]
	v_cndmask_b32_e64 v1, v1, 0, s[20:21]
	v_or_b32_e32 v50, v1, v0
.LBB4_4056:                             ;   in Loop: Header=BB4_3900 Depth=2
	s_or_b64 exec, exec, s[62:63]
.LBB4_4057:                             ;   in Loop: Header=BB4_3900 Depth=2
	s_or_b64 exec, exec, s[60:61]
                                        ; implicit-def: $vgpr1
.LBB4_4058:                             ;   in Loop: Header=BB4_3900 Depth=2
	s_andn2_saveexec_b64 s[20:21], s[58:59]
; %bb.4059:                             ;   in Loop: Header=BB4_3900 Depth=2
	v_or_b32_sdwa v0, v1, s71 dst_sel:DWORD dst_unused:UNUSED_PAD src0_sel:BYTE_3 src1_sel:DWORD
	v_cmp_eq_u64_e32 vcc, 0, v[52:53]
	v_cndmask_b32_e32 v50, v0, v50, vcc
; %bb.4060:                             ;   in Loop: Header=BB4_3900 Depth=2
	s_or_b64 exec, exec, s[20:21]
	v_mov_b32_e32 v52, v15
	v_mov_b32_e32 v2, v11
	;; [unrolled: 1-line block ×3, first 2 shown]
	v_cmp_ne_u16_sdwa s[20:21], v15, v53 src0_sel:BYTE_0 src1_sel:DWORD
	s_and_b64 vcc, exec, s[56:57]
	s_cbranch_vccz .LBB4_4074
; %bb.4061:                             ;   in Loop: Header=BB4_3900 Depth=2
	v_mov_b32_e32 v1, 0
	v_mov_b32_e32 v0, 0
	s_and_saveexec_b64 s[58:59], s[20:21]
	s_cbranch_execz .LBB4_4067
; %bb.4062:                             ;   in Loop: Header=BB4_3900 Depth=2
	v_cmp_ne_u16_sdwa vcc, v15, s69 src0_sel:BYTE_0 src1_sel:DWORD
	v_bfrev_b32_e32 v0, 1
	s_and_saveexec_b64 s[60:61], vcc
	s_cbranch_execz .LBB4_4066
; %bb.4063:                             ;   in Loop: Header=BB4_3900 Depth=2
	v_and_b32_e32 v4, 0x7f, v15
	v_cmp_ne_u32_e32 vcc, s71, v4
	v_mov_b32_e32 v0, 0x7f800001
	s_and_saveexec_b64 s[62:63], vcc
	s_cbranch_execz .LBB4_4065
; %bb.4064:                             ;   in Loop: Header=BB4_3900 Depth=2
	v_and_b32_e32 v0, 7, v15
	v_ffbh_u32_e32 v0, v0
	v_min_u32_e32 v0, 32, v0
	v_subrev_u32_e32 v6, 28, v0
	v_cmp_gt_u32_e32 vcc, 8, v4
	v_lshrrev_b32_e32 v5, 3, v4
	v_sub_u32_e32 v0, 29, v0
	v_cndmask_b32_e32 v4, 0, v6, vcc
	v_cndmask_b32_e32 v0, v5, v0, vcc
	v_lshlrev_b64 v[4:5], v4, v[52:53]
	v_lshlrev_b32_e32 v4, 20, v4
	v_lshlrev_b32_e32 v5, 24, v52
	v_and_b32_e32 v4, 0x700000, v4
	v_and_b32_e32 v5, 0x80000000, v5
	v_lshl_add_u32 v0, v0, 23, v51
	v_or3_b32 v0, v5, v0, v4
.LBB4_4065:                             ;   in Loop: Header=BB4_3900 Depth=2
	s_or_b64 exec, exec, s[62:63]
.LBB4_4066:                             ;   in Loop: Header=BB4_3900 Depth=2
	s_or_b64 exec, exec, s[60:61]
.LBB4_4067:                             ;   in Loop: Header=BB4_3900 Depth=2
	s_or_b64 exec, exec, s[58:59]
	v_cmp_ne_u16_sdwa vcc, v11, v53 src0_sel:BYTE_0 src1_sel:DWORD
	s_and_saveexec_b64 s[58:59], vcc
	s_cbranch_execz .LBB4_4073
; %bb.4068:                             ;   in Loop: Header=BB4_3900 Depth=2
	v_cmp_ne_u16_sdwa vcc, v11, s69 src0_sel:BYTE_0 src1_sel:DWORD
	v_bfrev_b32_e32 v1, 1
	s_and_saveexec_b64 s[60:61], vcc
	s_cbranch_execz .LBB4_4072
; %bb.4069:                             ;   in Loop: Header=BB4_3900 Depth=2
	v_and_b32_e32 v4, 0x7f, v11
	v_cmp_ne_u32_e32 vcc, s71, v4
	v_mov_b32_e32 v1, 0x7f800001
	s_and_saveexec_b64 s[62:63], vcc
	s_cbranch_execz .LBB4_4071
; %bb.4070:                             ;   in Loop: Header=BB4_3900 Depth=2
	v_and_b32_e32 v1, 7, v11
	v_ffbh_u32_e32 v1, v1
	v_min_u32_e32 v1, 32, v1
	v_subrev_u32_e32 v6, 28, v1
	v_cmp_gt_u32_e32 vcc, 8, v4
	v_lshrrev_b32_e32 v5, 3, v4
	v_sub_u32_e32 v1, 29, v1
	v_cndmask_b32_e32 v4, 0, v6, vcc
	v_cndmask_b32_e32 v1, v5, v1, vcc
	v_lshlrev_b64 v[4:5], v4, v[2:3]
	v_lshlrev_b32_e32 v4, 20, v4
	v_lshlrev_b32_e32 v5, 24, v2
	v_and_b32_e32 v4, 0x700000, v4
	v_and_b32_e32 v5, 0x80000000, v5
	v_lshl_add_u32 v1, v1, 23, v51
	v_or3_b32 v1, v5, v1, v4
.LBB4_4071:                             ;   in Loop: Header=BB4_3900 Depth=2
	s_or_b64 exec, exec, s[62:63]
.LBB4_4072:                             ;   in Loop: Header=BB4_3900 Depth=2
	s_or_b64 exec, exec, s[60:61]
.LBB4_4073:                             ;   in Loop: Header=BB4_3900 Depth=2
	s_or_b64 exec, exec, s[58:59]
	v_max_f32_e32 v1, v1, v1
	v_max_f32_e32 v0, v0, v0
	v_max_f32_e32 v28, v0, v1
	s_branch .LBB4_4088
.LBB4_4074:                             ;   in Loop: Header=BB4_3900 Depth=2
                                        ; implicit-def: $vgpr28
	s_cbranch_execz .LBB4_4088
; %bb.4075:                             ;   in Loop: Header=BB4_3900 Depth=2
	v_mov_b32_e32 v1, 0
	v_mov_b32_e32 v0, 0
	s_and_saveexec_b64 s[58:59], s[20:21]
	s_cbranch_execz .LBB4_4081
; %bb.4076:                             ;   in Loop: Header=BB4_3900 Depth=2
	v_cmp_ne_u16_sdwa vcc, v15, s69 src0_sel:BYTE_0 src1_sel:DWORD
	v_bfrev_b32_e32 v0, 1
	s_and_saveexec_b64 s[20:21], vcc
	s_cbranch_execz .LBB4_4080
; %bb.4077:                             ;   in Loop: Header=BB4_3900 Depth=2
	v_and_b32_e32 v4, 0x7f, v15
	v_cmp_ne_u32_e32 vcc, s71, v4
	v_mov_b32_e32 v0, 0x7f800001
	s_and_saveexec_b64 s[60:61], vcc
	s_cbranch_execz .LBB4_4079
; %bb.4078:                             ;   in Loop: Header=BB4_3900 Depth=2
	v_and_b32_e32 v0, 7, v15
	v_ffbh_u32_e32 v0, v0
	v_min_u32_e32 v0, 32, v0
	v_subrev_u32_e32 v6, 28, v0
	v_cmp_gt_u32_e32 vcc, 8, v4
	v_lshrrev_b32_e32 v5, 3, v4
	v_sub_u32_e32 v0, 29, v0
	v_cndmask_b32_e32 v4, 0, v6, vcc
	v_cndmask_b32_e32 v0, v5, v0, vcc
	v_lshlrev_b64 v[4:5], v4, v[52:53]
	v_lshlrev_b32_e32 v4, 20, v4
	v_lshlrev_b32_e32 v5, 24, v52
	v_and_b32_e32 v4, 0x700000, v4
	v_and_b32_e32 v5, 0x80000000, v5
	v_lshl_add_u32 v0, v0, 23, v51
	v_or3_b32 v0, v5, v0, v4
.LBB4_4079:                             ;   in Loop: Header=BB4_3900 Depth=2
	s_or_b64 exec, exec, s[60:61]
.LBB4_4080:                             ;   in Loop: Header=BB4_3900 Depth=2
	s_or_b64 exec, exec, s[20:21]
.LBB4_4081:                             ;   in Loop: Header=BB4_3900 Depth=2
	s_or_b64 exec, exec, s[58:59]
	v_cmp_ne_u16_sdwa vcc, v11, v53 src0_sel:BYTE_0 src1_sel:DWORD
	s_and_saveexec_b64 s[20:21], vcc
	s_cbranch_execz .LBB4_4087
; %bb.4082:                             ;   in Loop: Header=BB4_3900 Depth=2
	v_cmp_ne_u16_sdwa vcc, v11, s69 src0_sel:BYTE_0 src1_sel:DWORD
	v_bfrev_b32_e32 v1, 1
	s_and_saveexec_b64 s[58:59], vcc
	s_cbranch_execz .LBB4_4086
; %bb.4083:                             ;   in Loop: Header=BB4_3900 Depth=2
	v_and_b32_e32 v4, 0x7f, v11
	v_cmp_ne_u32_e32 vcc, s71, v4
	v_mov_b32_e32 v1, 0x7f800001
	s_and_saveexec_b64 s[60:61], vcc
	s_cbranch_execz .LBB4_4085
; %bb.4084:                             ;   in Loop: Header=BB4_3900 Depth=2
	v_and_b32_e32 v1, 7, v11
	v_ffbh_u32_e32 v1, v1
	v_min_u32_e32 v1, 32, v1
	v_subrev_u32_e32 v6, 28, v1
	v_cmp_gt_u32_e32 vcc, 8, v4
	v_lshrrev_b32_e32 v5, 3, v4
	v_sub_u32_e32 v1, 29, v1
	v_cndmask_b32_e32 v4, 0, v6, vcc
	v_cndmask_b32_e32 v1, v5, v1, vcc
	v_lshlrev_b64 v[4:5], v4, v[2:3]
	v_lshlrev_b32_e32 v3, 20, v4
	v_lshlrev_b32_e32 v4, 24, v2
	v_and_b32_e32 v3, 0x700000, v3
	v_and_b32_e32 v4, 0x80000000, v4
	v_lshl_add_u32 v1, v1, 23, v51
	v_or3_b32 v1, v4, v1, v3
.LBB4_4085:                             ;   in Loop: Header=BB4_3900 Depth=2
	s_or_b64 exec, exec, s[60:61]
.LBB4_4086:                             ;   in Loop: Header=BB4_3900 Depth=2
	s_or_b64 exec, exec, s[58:59]
.LBB4_4087:                             ;   in Loop: Header=BB4_3900 Depth=2
	s_or_b64 exec, exec, s[20:21]
	v_max_f32_e32 v1, v1, v1
	v_max_f32_e32 v0, v0, v0
	v_min_f32_e32 v28, v0, v1
.LBB4_4088:                             ;   in Loop: Header=BB4_3900 Depth=2
	v_and_b32_sdwa v1, v28, s69 dst_sel:DWORD dst_unused:UNUSED_PAD src0_sel:BYTE_3 src1_sel:DWORD
	v_and_b32_e32 v4, 0x7f800000, v28
	v_mov_b32_e32 v5, v53
	v_and_b32_e32 v24, 0x7fffff, v28
	v_mov_b32_e32 v25, v53
	v_or_b32_e32 v0, 0x7e, v1
	v_cmp_ne_u64_e32 vcc, s[40:41], v[4:5]
	s_and_saveexec_b64 s[20:21], vcc
	s_xor_b64 s[58:59], exec, s[20:21]
	s_cbranch_execz .LBB4_4098
; %bb.4089:                             ;   in Loop: Header=BB4_3900 Depth=2
	v_and_b32_e32 v4, 0x7fffffff, v28
	v_mov_b32_e32 v5, v53
	v_cmp_gt_u64_e32 vcc, s[42:43], v[4:5]
	s_and_saveexec_b64 s[60:61], vcc
	s_cbranch_execz .LBB4_4097
; %bb.4090:                             ;   in Loop: Header=BB4_3900 Depth=2
	v_cmp_ne_u32_e32 vcc, 0, v28
	v_mov_b32_e32 v0, 0
	s_and_saveexec_b64 s[62:63], vcc
	s_cbranch_execz .LBB4_4096
; %bb.4091:                             ;   in Loop: Header=BB4_3900 Depth=2
	v_bfe_u32 v0, v28, 23, 8
	v_sub_u32_e32 v4, 0x79, v0
	v_cmp_gt_u32_e32 vcc, s73, v0
	v_add_u32_e32 v3, 0xffffff81, v0
	v_cndmask_b32_e32 v4, 0, v4, vcc
	v_cmp_eq_u32_e32 vcc, 0, v0
	v_mov_b32_e32 v0, 0xffffff82
	v_cndmask_b32_e32 v0, v3, v0, vcc
	v_mov_b32_e32 v3, 0x78
	v_cndmask_b32_e32 v3, v4, v3, vcc
	v_or_b32_e32 v5, 0x800000, v24
	v_add_u32_e32 v4, 20, v3
	v_cndmask_b32_e32 v24, v5, v24, vcc
	v_lshlrev_b64 v[4:5], v4, -1
	v_not_b32_e32 v4, v4
	v_and_b32_e32 v6, v24, v4
	v_add_u32_e32 v4, 19, v3
	v_lshrrev_b64 v[24:25], v3, v[24:25]
	v_not_b32_e32 v5, v5
	v_lshlrev_b64 v[8:9], v4, 1
	v_lshrrev_b32_e32 v4, 23, v24
	v_and_b32_e32 v7, 0, v5
	v_add3_u32 v4, v3, v0, v4
	v_bfe_u32 v0, v24, 20, 1
	v_add_u32_e32 v0, -1, v0
	v_cmp_eq_u64_e32 vcc, v[6:7], v[8:9]
	v_cndmask_b32_e32 v0, 0, v0, vcc
	v_add_u32_e32 v0, v0, v24
	v_and_b32_e32 v0, 0xfffff, v0
	v_add_co_u32_e32 v24, vcc, v0, v24
	v_add_u32_e32 v3, 6, v4
	v_addc_co_u32_e32 v25, vcc, 0, v25, vcc
	v_cmp_ne_u32_e32 vcc, 0, v3
                                        ; implicit-def: $vgpr0
	s_and_saveexec_b64 s[20:21], vcc
	s_xor_b64 s[20:21], exec, s[20:21]
; %bb.4092:                             ;   in Loop: Header=BB4_3900 Depth=2
	v_add_u32_e32 v0, 7, v4
	v_cmp_lt_u64_e32 vcc, s[46:47], v[24:25]
	v_cndmask_b32_e32 v0, v3, v0, vcc
	v_cndmask_b32_e64 v3, 0, 1, vcc
	v_lshrrev_b64 v[24:25], v3, v[24:25]
; %bb.4093:                             ;   in Loop: Header=BB4_3900 Depth=2
	s_andn2_saveexec_b64 s[20:21], s[20:21]
; %bb.4094:                             ;   in Loop: Header=BB4_3900 Depth=2
	v_bfe_u32 v0, v24, 23, 1
; %bb.4095:                             ;   in Loop: Header=BB4_3900 Depth=2
	s_or_b64 exec, exec, s[20:21]
	v_lshrrev_b64 v[4:5], 20, v[24:25]
	v_cmp_gt_i32_e32 vcc, 16, v0
	v_cndmask_b32_e32 v5, 0, v5, vcc
	v_cndmask_b32_e32 v4, 7, v4, vcc
	v_cmp_eq_u32_e32 vcc, 0, v0
	v_min_i32_e32 v0, 15, v0
	v_cmp_eq_u64_e64 s[20:21], 0, v[4:5]
	v_lshlrev_b32_e32 v0, 3, v0
	v_and_or_b32 v0, v4, 7, v0
	s_and_b64 s[20:21], vcc, s[20:21]
	v_cndmask_b32_e64 v0, v0, 0, s[20:21]
	v_or_b32_e32 v0, v0, v1
.LBB4_4096:                             ;   in Loop: Header=BB4_3900 Depth=2
	s_or_b64 exec, exec, s[62:63]
.LBB4_4097:                             ;   in Loop: Header=BB4_3900 Depth=2
	s_or_b64 exec, exec, s[60:61]
                                        ; implicit-def: $vgpr28
                                        ; implicit-def: $vgpr24_vgpr25
.LBB4_4098:                             ;   in Loop: Header=BB4_3900 Depth=2
	s_andn2_saveexec_b64 s[20:21], s[58:59]
; %bb.4099:                             ;   in Loop: Header=BB4_3900 Depth=2
	v_or_b32_sdwa v1, v28, s71 dst_sel:DWORD dst_unused:UNUSED_PAD src0_sel:BYTE_3 src1_sel:DWORD
	v_cmp_eq_u64_e32 vcc, 0, v[24:25]
	v_cndmask_b32_e32 v0, v1, v0, vcc
; %bb.4100:                             ;   in Loop: Header=BB4_3900 Depth=2
	s_or_b64 exec, exec, s[20:21]
	v_lshrrev_b16_e32 v28, 8, v52
	v_lshrrev_b16_e32 v24, 8, v2
	v_cmp_ne_u16_e64 s[20:21], 0, v28
	s_and_b64 vcc, exec, s[56:57]
	s_cbranch_vccz .LBB4_4114
; %bb.4101:                             ;   in Loop: Header=BB4_3900 Depth=2
	v_mov_b32_e32 v3, 0
	v_mov_b32_e32 v1, 0
	s_and_saveexec_b64 s[58:59], s[20:21]
	s_cbranch_execz .LBB4_4107
; %bb.4102:                             ;   in Loop: Header=BB4_3900 Depth=2
	v_cmp_ne_u16_e32 vcc, s69, v28
	v_bfrev_b32_e32 v1, 1
	s_and_saveexec_b64 s[60:61], vcc
	s_cbranch_execz .LBB4_4106
; %bb.4103:                             ;   in Loop: Header=BB4_3900 Depth=2
	v_and_b32_e32 v4, 0x7f, v28
	v_cmp_ne_u32_e32 vcc, s71, v4
	v_mov_b32_e32 v1, 0x7f800001
	s_and_saveexec_b64 s[62:63], vcc
	s_cbranch_execz .LBB4_4105
; %bb.4104:                             ;   in Loop: Header=BB4_3900 Depth=2
	v_and_b32_e32 v1, 7, v28
	v_ffbh_u32_e32 v6, v1
	v_min_u32_e32 v8, 32, v6
	v_subrev_u32_e32 v6, 28, v8
	v_lshlrev_b64 v[6:7], v6, v[28:29]
	v_lshrrev_b32_e32 v5, 3, v4
	v_sub_u32_e32 v7, 29, v8
	v_and_b32_e32 v6, 7, v6
	v_cmp_gt_u32_e32 vcc, 8, v4
	v_cndmask_b32_e32 v4, v5, v7, vcc
	v_cndmask_b32_e32 v1, v1, v6, vcc
	v_lshlrev_b32_e32 v5, 16, v52
	v_lshlrev_b32_e32 v1, 20, v1
	v_and_b32_e32 v5, 0x80000000, v5
	v_lshl_add_u32 v4, v4, 23, v51
	v_or3_b32 v1, v5, v4, v1
.LBB4_4105:                             ;   in Loop: Header=BB4_3900 Depth=2
	s_or_b64 exec, exec, s[62:63]
.LBB4_4106:                             ;   in Loop: Header=BB4_3900 Depth=2
	s_or_b64 exec, exec, s[60:61]
.LBB4_4107:                             ;   in Loop: Header=BB4_3900 Depth=2
	s_or_b64 exec, exec, s[58:59]
	v_cmp_ne_u16_e32 vcc, 0, v24
	s_and_saveexec_b64 s[58:59], vcc
	s_cbranch_execz .LBB4_4113
; %bb.4108:                             ;   in Loop: Header=BB4_3900 Depth=2
	v_cmp_ne_u16_e32 vcc, s69, v24
	v_bfrev_b32_e32 v3, 1
	s_and_saveexec_b64 s[60:61], vcc
	s_cbranch_execz .LBB4_4112
; %bb.4109:                             ;   in Loop: Header=BB4_3900 Depth=2
	v_and_b32_e32 v4, 0x7f, v24
	v_cmp_ne_u32_e32 vcc, s71, v4
	v_mov_b32_e32 v3, 0x7f800001
	s_and_saveexec_b64 s[62:63], vcc
	s_cbranch_execz .LBB4_4111
; %bb.4110:                             ;   in Loop: Header=BB4_3900 Depth=2
	v_and_b32_e32 v3, 7, v24
	v_ffbh_u32_e32 v6, v3
	v_min_u32_e32 v8, 32, v6
	v_subrev_u32_e32 v6, 28, v8
	v_lshlrev_b64 v[6:7], v6, v[24:25]
	v_lshrrev_b32_e32 v5, 3, v4
	v_sub_u32_e32 v7, 29, v8
	v_and_b32_e32 v6, 7, v6
	v_cmp_gt_u32_e32 vcc, 8, v4
	v_cndmask_b32_e32 v4, v5, v7, vcc
	v_cndmask_b32_e32 v3, v3, v6, vcc
	v_lshlrev_b32_e32 v5, 16, v2
	v_lshlrev_b32_e32 v3, 20, v3
	v_and_b32_e32 v5, 0x80000000, v5
	v_lshl_add_u32 v4, v4, 23, v51
	v_or3_b32 v3, v5, v4, v3
.LBB4_4111:                             ;   in Loop: Header=BB4_3900 Depth=2
	s_or_b64 exec, exec, s[62:63]
.LBB4_4112:                             ;   in Loop: Header=BB4_3900 Depth=2
	s_or_b64 exec, exec, s[60:61]
.LBB4_4113:                             ;   in Loop: Header=BB4_3900 Depth=2
	s_or_b64 exec, exec, s[58:59]
	v_max_f32_e32 v3, v3, v3
	v_max_f32_e32 v1, v1, v1
	;; [unrolled: 1-line block ×3, first 2 shown]
	s_branch .LBB4_4128
.LBB4_4114:                             ;   in Loop: Header=BB4_3900 Depth=2
                                        ; implicit-def: $vgpr3
	s_cbranch_execz .LBB4_4128
; %bb.4115:                             ;   in Loop: Header=BB4_3900 Depth=2
	v_mov_b32_e32 v3, 0
	v_mov_b32_e32 v1, 0
	s_and_saveexec_b64 s[58:59], s[20:21]
	s_cbranch_execz .LBB4_4121
; %bb.4116:                             ;   in Loop: Header=BB4_3900 Depth=2
	v_cmp_ne_u16_e32 vcc, s69, v28
	v_bfrev_b32_e32 v1, 1
	s_and_saveexec_b64 s[20:21], vcc
	s_cbranch_execz .LBB4_4120
; %bb.4117:                             ;   in Loop: Header=BB4_3900 Depth=2
	v_and_b32_e32 v4, 0x7f, v28
	v_cmp_ne_u32_e32 vcc, s71, v4
	v_mov_b32_e32 v1, 0x7f800001
	s_and_saveexec_b64 s[60:61], vcc
	s_cbranch_execz .LBB4_4119
; %bb.4118:                             ;   in Loop: Header=BB4_3900 Depth=2
	v_and_b32_e32 v1, 7, v28
	v_ffbh_u32_e32 v6, v1
	v_min_u32_e32 v8, 32, v6
	v_subrev_u32_e32 v6, 28, v8
	v_lshlrev_b64 v[6:7], v6, v[28:29]
	v_lshrrev_b32_e32 v5, 3, v4
	v_sub_u32_e32 v7, 29, v8
	v_and_b32_e32 v6, 7, v6
	v_cmp_gt_u32_e32 vcc, 8, v4
	v_cndmask_b32_e32 v4, v5, v7, vcc
	v_cndmask_b32_e32 v1, v1, v6, vcc
	v_lshlrev_b32_e32 v5, 16, v52
	v_lshlrev_b32_e32 v1, 20, v1
	v_and_b32_e32 v5, 0x80000000, v5
	v_lshl_add_u32 v4, v4, 23, v51
	v_or3_b32 v1, v5, v4, v1
.LBB4_4119:                             ;   in Loop: Header=BB4_3900 Depth=2
	s_or_b64 exec, exec, s[60:61]
.LBB4_4120:                             ;   in Loop: Header=BB4_3900 Depth=2
	s_or_b64 exec, exec, s[20:21]
.LBB4_4121:                             ;   in Loop: Header=BB4_3900 Depth=2
	s_or_b64 exec, exec, s[58:59]
	v_cmp_ne_u16_e32 vcc, 0, v24
	s_and_saveexec_b64 s[20:21], vcc
	s_cbranch_execz .LBB4_4127
; %bb.4122:                             ;   in Loop: Header=BB4_3900 Depth=2
	v_cmp_ne_u16_e32 vcc, s69, v24
	v_bfrev_b32_e32 v3, 1
	s_and_saveexec_b64 s[58:59], vcc
	s_cbranch_execz .LBB4_4126
; %bb.4123:                             ;   in Loop: Header=BB4_3900 Depth=2
	v_and_b32_e32 v4, 0x7f, v24
	v_cmp_ne_u32_e32 vcc, s71, v4
	v_mov_b32_e32 v3, 0x7f800001
	s_and_saveexec_b64 s[60:61], vcc
	s_cbranch_execz .LBB4_4125
; %bb.4124:                             ;   in Loop: Header=BB4_3900 Depth=2
	v_and_b32_e32 v3, 7, v24
	v_ffbh_u32_e32 v6, v3
	v_min_u32_e32 v8, 32, v6
	v_subrev_u32_e32 v6, 28, v8
	v_lshlrev_b64 v[6:7], v6, v[24:25]
	v_lshrrev_b32_e32 v5, 3, v4
	v_sub_u32_e32 v7, 29, v8
	v_and_b32_e32 v6, 7, v6
	v_cmp_gt_u32_e32 vcc, 8, v4
	v_cndmask_b32_e32 v4, v5, v7, vcc
	v_cndmask_b32_e32 v3, v3, v6, vcc
	v_lshlrev_b32_e32 v2, 16, v2
	v_lshlrev_b32_e32 v3, 20, v3
	v_and_b32_e32 v2, 0x80000000, v2
	v_lshl_add_u32 v4, v4, 23, v51
	v_or3_b32 v3, v2, v4, v3
.LBB4_4125:                             ;   in Loop: Header=BB4_3900 Depth=2
	s_or_b64 exec, exec, s[60:61]
.LBB4_4126:                             ;   in Loop: Header=BB4_3900 Depth=2
	s_or_b64 exec, exec, s[58:59]
.LBB4_4127:                             ;   in Loop: Header=BB4_3900 Depth=2
	s_or_b64 exec, exec, s[20:21]
	v_max_f32_e32 v2, v3, v3
	v_max_f32_e32 v1, v1, v1
	v_min_f32_e32 v3, v1, v2
.LBB4_4128:                             ;   in Loop: Header=BB4_3900 Depth=2
	v_and_b32_sdwa v1, v3, s69 dst_sel:DWORD dst_unused:UNUSED_PAD src0_sel:BYTE_3 src1_sel:DWORD
	v_and_b32_e32 v4, 0x7f800000, v3
	v_mov_b32_e32 v5, v53
	v_and_b32_e32 v52, 0x7fffff, v3
	v_or_b32_e32 v25, 0x7e, v1
	v_cmp_ne_u64_e32 vcc, s[40:41], v[4:5]
	s_and_saveexec_b64 s[20:21], vcc
	s_xor_b64 s[58:59], exec, s[20:21]
	s_cbranch_execz .LBB4_4138
; %bb.4129:                             ;   in Loop: Header=BB4_3900 Depth=2
	v_and_b32_e32 v4, 0x7fffffff, v3
	v_mov_b32_e32 v5, v53
	v_cmp_gt_u64_e32 vcc, s[42:43], v[4:5]
	s_and_saveexec_b64 s[60:61], vcc
	s_cbranch_execz .LBB4_4137
; %bb.4130:                             ;   in Loop: Header=BB4_3900 Depth=2
	v_cmp_ne_u32_e32 vcc, 0, v3
	v_mov_b32_e32 v25, 0
	s_and_saveexec_b64 s[62:63], vcc
	s_cbranch_execz .LBB4_4136
; %bb.4131:                             ;   in Loop: Header=BB4_3900 Depth=2
	v_bfe_u32 v2, v3, 23, 8
	v_sub_u32_e32 v4, 0x79, v2
	v_cmp_gt_u32_e32 vcc, s73, v2
	v_add_u32_e32 v3, 0xffffff81, v2
	v_cndmask_b32_e32 v4, 0, v4, vcc
	v_cmp_eq_u32_e32 vcc, 0, v2
	v_mov_b32_e32 v2, 0xffffff82
	v_cndmask_b32_e32 v24, v3, v2, vcc
	v_mov_b32_e32 v2, 0x78
	v_or_b32_e32 v5, 0x800000, v52
	v_cndmask_b32_e32 v4, v4, v2, vcc
	v_cndmask_b32_e32 v52, v5, v52, vcc
	v_add_u32_e32 v2, 20, v4
	v_lshlrev_b64 v[2:3], v2, -1
	v_add_u32_e32 v5, 19, v4
	v_lshrrev_b64 v[8:9], v4, v[52:53]
	v_not_b32_e32 v3, v3
	v_not_b32_e32 v2, v2
	v_lshlrev_b64 v[6:7], v5, 1
	v_lshrrev_b32_e32 v5, 23, v8
	v_and_b32_e32 v3, 0, v3
	v_and_b32_e32 v2, v52, v2
	v_add3_u32 v4, v4, v24, v5
	v_bfe_u32 v5, v8, 20, 1
	v_add_u32_e32 v5, -1, v5
	v_cmp_eq_u64_e32 vcc, v[2:3], v[6:7]
	v_cndmask_b32_e32 v2, 0, v5, vcc
	v_add_u32_e32 v2, v2, v8
	v_and_b32_e32 v2, 0xfffff, v2
	v_add_co_u32_e32 v2, vcc, v2, v8
	v_add_u32_e32 v25, 6, v4
	v_addc_co_u32_e32 v3, vcc, 0, v9, vcc
	v_cmp_ne_u32_e32 vcc, 0, v25
                                        ; implicit-def: $vgpr24
	s_and_saveexec_b64 s[20:21], vcc
	s_xor_b64 s[20:21], exec, s[20:21]
; %bb.4132:                             ;   in Loop: Header=BB4_3900 Depth=2
	v_add_u32_e32 v4, 7, v4
	v_cmp_lt_u64_e32 vcc, s[46:47], v[2:3]
	v_cndmask_b32_e32 v24, v25, v4, vcc
	v_cndmask_b32_e64 v4, 0, 1, vcc
	v_lshrrev_b64 v[2:3], v4, v[2:3]
; %bb.4133:                             ;   in Loop: Header=BB4_3900 Depth=2
	s_andn2_saveexec_b64 s[20:21], s[20:21]
; %bb.4134:                             ;   in Loop: Header=BB4_3900 Depth=2
	v_bfe_u32 v24, v2, 23, 1
; %bb.4135:                             ;   in Loop: Header=BB4_3900 Depth=2
	s_or_b64 exec, exec, s[20:21]
	v_lshrrev_b64 v[2:3], 20, v[2:3]
	v_cmp_gt_i32_e32 vcc, 16, v24
	v_cndmask_b32_e32 v3, 0, v3, vcc
	v_cndmask_b32_e32 v2, 7, v2, vcc
	v_cmp_eq_u64_e64 s[20:21], 0, v[2:3]
	v_min_i32_e32 v3, 15, v24
	v_cmp_eq_u32_e32 vcc, 0, v24
	v_lshlrev_b32_e32 v3, 3, v3
	v_and_or_b32 v2, v2, 7, v3
	s_and_b64 s[20:21], vcc, s[20:21]
	v_cndmask_b32_e64 v2, v2, 0, s[20:21]
	v_or_b32_e32 v25, v2, v1
.LBB4_4136:                             ;   in Loop: Header=BB4_3900 Depth=2
	s_or_b64 exec, exec, s[62:63]
.LBB4_4137:                             ;   in Loop: Header=BB4_3900 Depth=2
	s_or_b64 exec, exec, s[60:61]
                                        ; implicit-def: $vgpr3
.LBB4_4138:                             ;   in Loop: Header=BB4_3900 Depth=2
	s_andn2_saveexec_b64 s[20:21], s[58:59]
; %bb.4139:                             ;   in Loop: Header=BB4_3900 Depth=2
	v_or_b32_sdwa v1, v3, s71 dst_sel:DWORD dst_unused:UNUSED_PAD src0_sel:BYTE_3 src1_sel:DWORD
	v_cmp_eq_u64_e32 vcc, 0, v[52:53]
	v_cndmask_b32_e32 v25, v1, v25, vcc
; %bb.4140:                             ;   in Loop: Header=BB4_3900 Depth=2
	s_or_b64 exec, exec, s[20:21]
	v_lshrrev_b32_e32 v24, 16, v15
	v_lshrrev_b32_e32 v2, 16, v11
	v_cmp_ne_u16_sdwa s[20:21], v24, v53 src0_sel:BYTE_0 src1_sel:DWORD
	s_and_b64 vcc, exec, s[56:57]
	s_cbranch_vccz .LBB4_4154
; %bb.4141:                             ;   in Loop: Header=BB4_3900 Depth=2
	v_mov_b32_e32 v3, 0
	v_mov_b32_e32 v1, 0
	s_and_saveexec_b64 s[58:59], s[20:21]
	s_cbranch_execz .LBB4_4147
; %bb.4142:                             ;   in Loop: Header=BB4_3900 Depth=2
	v_cmp_ne_u16_sdwa vcc, v24, s69 src0_sel:BYTE_0 src1_sel:DWORD
	v_bfrev_b32_e32 v1, 1
	s_and_saveexec_b64 s[60:61], vcc
	s_cbranch_execz .LBB4_4146
; %bb.4143:                             ;   in Loop: Header=BB4_3900 Depth=2
	v_bfe_u32 v4, v15, 16, 7
	v_cmp_ne_u32_e32 vcc, s71, v4
	v_mov_b32_e32 v1, 0x7f800001
	s_and_saveexec_b64 s[62:63], vcc
	s_cbranch_execz .LBB4_4145
; %bb.4144:                             ;   in Loop: Header=BB4_3900 Depth=2
	v_and_b32_e32 v1, 7, v24
	v_ffbh_u32_e32 v6, v1
	v_min_u32_e32 v8, 32, v6
	v_subrev_u32_e32 v6, 28, v8
	v_lshlrev_b64 v[6:7], v6, v[24:25]
	v_lshrrev_b32_e32 v5, 3, v4
	v_sub_u32_e32 v7, 29, v8
	v_and_b32_e32 v6, 7, v6
	v_cmp_gt_u32_e32 vcc, 8, v4
	v_cndmask_b32_e32 v4, v5, v7, vcc
	v_cndmask_b32_e32 v1, v1, v6, vcc
	v_lshlrev_b32_e32 v5, 24, v24
	v_lshlrev_b32_e32 v1, 20, v1
	v_and_b32_e32 v5, 0x80000000, v5
	v_lshl_add_u32 v4, v4, 23, v51
	v_or3_b32 v1, v5, v4, v1
.LBB4_4145:                             ;   in Loop: Header=BB4_3900 Depth=2
	s_or_b64 exec, exec, s[62:63]
.LBB4_4146:                             ;   in Loop: Header=BB4_3900 Depth=2
	s_or_b64 exec, exec, s[60:61]
.LBB4_4147:                             ;   in Loop: Header=BB4_3900 Depth=2
	s_or_b64 exec, exec, s[58:59]
	v_cmp_ne_u16_sdwa vcc, v2, v53 src0_sel:BYTE_0 src1_sel:DWORD
	s_and_saveexec_b64 s[58:59], vcc
	s_cbranch_execz .LBB4_4153
; %bb.4148:                             ;   in Loop: Header=BB4_3900 Depth=2
	v_cmp_ne_u16_sdwa vcc, v2, s69 src0_sel:BYTE_0 src1_sel:DWORD
	v_bfrev_b32_e32 v3, 1
	s_and_saveexec_b64 s[60:61], vcc
	s_cbranch_execz .LBB4_4152
; %bb.4149:                             ;   in Loop: Header=BB4_3900 Depth=2
	v_bfe_u32 v4, v11, 16, 7
	v_cmp_ne_u32_e32 vcc, s71, v4
	v_mov_b32_e32 v3, 0x7f800001
	s_and_saveexec_b64 s[62:63], vcc
	s_cbranch_execz .LBB4_4151
; %bb.4150:                             ;   in Loop: Header=BB4_3900 Depth=2
	v_and_b32_e32 v3, 7, v2
	v_ffbh_u32_e32 v6, v3
	v_min_u32_e32 v8, 32, v6
	v_subrev_u32_e32 v6, 28, v8
	v_lshlrev_b64 v[6:7], v6, v[2:3]
	v_lshrrev_b32_e32 v5, 3, v4
	v_sub_u32_e32 v7, 29, v8
	v_and_b32_e32 v6, 7, v6
	v_cmp_gt_u32_e32 vcc, 8, v4
	v_cndmask_b32_e32 v4, v5, v7, vcc
	v_cndmask_b32_e32 v3, v3, v6, vcc
	v_lshlrev_b32_e32 v5, 24, v2
	v_lshlrev_b32_e32 v3, 20, v3
	v_and_b32_e32 v5, 0x80000000, v5
	v_lshl_add_u32 v4, v4, 23, v51
	v_or3_b32 v3, v5, v4, v3
.LBB4_4151:                             ;   in Loop: Header=BB4_3900 Depth=2
	s_or_b64 exec, exec, s[62:63]
.LBB4_4152:                             ;   in Loop: Header=BB4_3900 Depth=2
	s_or_b64 exec, exec, s[60:61]
.LBB4_4153:                             ;   in Loop: Header=BB4_3900 Depth=2
	s_or_b64 exec, exec, s[58:59]
	v_max_f32_e32 v3, v3, v3
	v_max_f32_e32 v1, v1, v1
	;; [unrolled: 1-line block ×3, first 2 shown]
	s_branch .LBB4_4168
.LBB4_4154:                             ;   in Loop: Header=BB4_3900 Depth=2
                                        ; implicit-def: $vgpr3
	s_cbranch_execz .LBB4_4168
; %bb.4155:                             ;   in Loop: Header=BB4_3900 Depth=2
	v_mov_b32_e32 v3, 0
	v_mov_b32_e32 v1, 0
	s_and_saveexec_b64 s[58:59], s[20:21]
	s_cbranch_execz .LBB4_4161
; %bb.4156:                             ;   in Loop: Header=BB4_3900 Depth=2
	v_cmp_ne_u16_sdwa vcc, v24, s69 src0_sel:BYTE_0 src1_sel:DWORD
	v_bfrev_b32_e32 v1, 1
	s_and_saveexec_b64 s[20:21], vcc
	s_cbranch_execz .LBB4_4160
; %bb.4157:                             ;   in Loop: Header=BB4_3900 Depth=2
	v_bfe_u32 v4, v15, 16, 7
	v_cmp_ne_u32_e32 vcc, s71, v4
	v_mov_b32_e32 v1, 0x7f800001
	s_and_saveexec_b64 s[60:61], vcc
	s_cbranch_execz .LBB4_4159
; %bb.4158:                             ;   in Loop: Header=BB4_3900 Depth=2
	v_and_b32_e32 v1, 7, v24
	v_ffbh_u32_e32 v6, v1
	v_min_u32_e32 v8, 32, v6
	v_subrev_u32_e32 v6, 28, v8
	v_lshlrev_b64 v[6:7], v6, v[24:25]
	v_lshrrev_b32_e32 v5, 3, v4
	v_sub_u32_e32 v7, 29, v8
	v_and_b32_e32 v6, 7, v6
	v_cmp_gt_u32_e32 vcc, 8, v4
	v_cndmask_b32_e32 v4, v5, v7, vcc
	v_cndmask_b32_e32 v1, v1, v6, vcc
	v_lshlrev_b32_e32 v5, 24, v24
	v_lshlrev_b32_e32 v1, 20, v1
	v_and_b32_e32 v5, 0x80000000, v5
	v_lshl_add_u32 v4, v4, 23, v51
	v_or3_b32 v1, v5, v4, v1
.LBB4_4159:                             ;   in Loop: Header=BB4_3900 Depth=2
	s_or_b64 exec, exec, s[60:61]
.LBB4_4160:                             ;   in Loop: Header=BB4_3900 Depth=2
	s_or_b64 exec, exec, s[20:21]
.LBB4_4161:                             ;   in Loop: Header=BB4_3900 Depth=2
	s_or_b64 exec, exec, s[58:59]
	v_cmp_ne_u16_sdwa vcc, v2, v53 src0_sel:BYTE_0 src1_sel:DWORD
	s_and_saveexec_b64 s[20:21], vcc
	s_cbranch_execz .LBB4_4167
; %bb.4162:                             ;   in Loop: Header=BB4_3900 Depth=2
	v_cmp_ne_u16_sdwa vcc, v2, s69 src0_sel:BYTE_0 src1_sel:DWORD
	v_bfrev_b32_e32 v3, 1
	s_and_saveexec_b64 s[58:59], vcc
	s_cbranch_execz .LBB4_4166
; %bb.4163:                             ;   in Loop: Header=BB4_3900 Depth=2
	v_bfe_u32 v4, v11, 16, 7
	v_cmp_ne_u32_e32 vcc, s71, v4
	v_mov_b32_e32 v3, 0x7f800001
	s_and_saveexec_b64 s[60:61], vcc
	s_cbranch_execz .LBB4_4165
; %bb.4164:                             ;   in Loop: Header=BB4_3900 Depth=2
	v_and_b32_e32 v3, 7, v2
	v_ffbh_u32_e32 v6, v3
	v_min_u32_e32 v8, 32, v6
	v_subrev_u32_e32 v6, 28, v8
	v_lshlrev_b64 v[6:7], v6, v[2:3]
	v_lshrrev_b32_e32 v5, 3, v4
	v_sub_u32_e32 v7, 29, v8
	v_and_b32_e32 v6, 7, v6
	v_cmp_gt_u32_e32 vcc, 8, v4
	v_cndmask_b32_e32 v4, v5, v7, vcc
	v_cndmask_b32_e32 v3, v3, v6, vcc
	v_lshlrev_b32_e32 v2, 24, v2
	v_lshlrev_b32_e32 v3, 20, v3
	v_and_b32_e32 v2, 0x80000000, v2
	v_lshl_add_u32 v4, v4, 23, v51
	v_or3_b32 v3, v2, v4, v3
.LBB4_4165:                             ;   in Loop: Header=BB4_3900 Depth=2
	s_or_b64 exec, exec, s[60:61]
.LBB4_4166:                             ;   in Loop: Header=BB4_3900 Depth=2
	s_or_b64 exec, exec, s[58:59]
.LBB4_4167:                             ;   in Loop: Header=BB4_3900 Depth=2
	s_or_b64 exec, exec, s[20:21]
	v_max_f32_e32 v2, v3, v3
	v_max_f32_e32 v1, v1, v1
	v_min_f32_e32 v3, v1, v2
.LBB4_4168:                             ;   in Loop: Header=BB4_3900 Depth=2
	v_and_b32_sdwa v1, v3, s69 dst_sel:DWORD dst_unused:UNUSED_PAD src0_sel:BYTE_3 src1_sel:DWORD
	v_and_b32_e32 v4, 0x7f800000, v3
	v_mov_b32_e32 v5, v53
	v_and_b32_e32 v52, 0x7fffff, v3
	v_or_b32_e32 v28, 0x7e, v1
	v_cmp_ne_u64_e32 vcc, s[40:41], v[4:5]
	s_and_saveexec_b64 s[20:21], vcc
	s_xor_b64 s[58:59], exec, s[20:21]
	s_cbranch_execz .LBB4_4178
; %bb.4169:                             ;   in Loop: Header=BB4_3900 Depth=2
	v_and_b32_e32 v4, 0x7fffffff, v3
	v_mov_b32_e32 v5, v53
	v_cmp_gt_u64_e32 vcc, s[42:43], v[4:5]
	s_and_saveexec_b64 s[60:61], vcc
	s_cbranch_execz .LBB4_4177
; %bb.4170:                             ;   in Loop: Header=BB4_3900 Depth=2
	v_cmp_ne_u32_e32 vcc, 0, v3
	v_mov_b32_e32 v28, 0
	s_and_saveexec_b64 s[62:63], vcc
	s_cbranch_execz .LBB4_4176
; %bb.4171:                             ;   in Loop: Header=BB4_3900 Depth=2
	v_bfe_u32 v2, v3, 23, 8
	v_sub_u32_e32 v4, 0x79, v2
	v_cmp_gt_u32_e32 vcc, s73, v2
	v_add_u32_e32 v3, 0xffffff81, v2
	v_cndmask_b32_e32 v4, 0, v4, vcc
	v_cmp_eq_u32_e32 vcc, 0, v2
	v_mov_b32_e32 v2, 0xffffff82
	v_cndmask_b32_e32 v24, v3, v2, vcc
	v_mov_b32_e32 v2, 0x78
	v_or_b32_e32 v5, 0x800000, v52
	v_cndmask_b32_e32 v4, v4, v2, vcc
	v_cndmask_b32_e32 v52, v5, v52, vcc
	v_add_u32_e32 v2, 20, v4
	v_lshlrev_b64 v[2:3], v2, -1
	v_add_u32_e32 v5, 19, v4
	v_lshrrev_b64 v[8:9], v4, v[52:53]
	v_not_b32_e32 v3, v3
	v_not_b32_e32 v2, v2
	v_lshlrev_b64 v[6:7], v5, 1
	v_lshrrev_b32_e32 v5, 23, v8
	v_and_b32_e32 v3, 0, v3
	v_and_b32_e32 v2, v52, v2
	v_add3_u32 v4, v4, v24, v5
	v_bfe_u32 v5, v8, 20, 1
	v_add_u32_e32 v5, -1, v5
	v_cmp_eq_u64_e32 vcc, v[2:3], v[6:7]
	v_cndmask_b32_e32 v2, 0, v5, vcc
	v_add_u32_e32 v2, v2, v8
	v_and_b32_e32 v2, 0xfffff, v2
	v_add_co_u32_e32 v2, vcc, v2, v8
	v_add_u32_e32 v28, 6, v4
	v_addc_co_u32_e32 v3, vcc, 0, v9, vcc
	v_cmp_ne_u32_e32 vcc, 0, v28
                                        ; implicit-def: $vgpr24
	s_and_saveexec_b64 s[20:21], vcc
	s_xor_b64 s[20:21], exec, s[20:21]
; %bb.4172:                             ;   in Loop: Header=BB4_3900 Depth=2
	v_add_u32_e32 v4, 7, v4
	v_cmp_lt_u64_e32 vcc, s[46:47], v[2:3]
	v_cndmask_b32_e32 v24, v28, v4, vcc
	v_cndmask_b32_e64 v4, 0, 1, vcc
	v_lshrrev_b64 v[2:3], v4, v[2:3]
; %bb.4173:                             ;   in Loop: Header=BB4_3900 Depth=2
	s_andn2_saveexec_b64 s[20:21], s[20:21]
; %bb.4174:                             ;   in Loop: Header=BB4_3900 Depth=2
	v_bfe_u32 v24, v2, 23, 1
; %bb.4175:                             ;   in Loop: Header=BB4_3900 Depth=2
	s_or_b64 exec, exec, s[20:21]
	v_lshrrev_b64 v[2:3], 20, v[2:3]
	v_cmp_gt_i32_e32 vcc, 16, v24
	v_cndmask_b32_e32 v3, 0, v3, vcc
	v_cndmask_b32_e32 v2, 7, v2, vcc
	v_cmp_eq_u64_e64 s[20:21], 0, v[2:3]
	v_min_i32_e32 v3, 15, v24
	v_lshlrev_b32_e32 v3, 3, v3
	v_cmp_eq_u32_e32 vcc, 0, v24
	v_and_b32_e32 v3, 0xf8, v3
	v_and_or_b32 v2, v2, 7, v3
	s_and_b64 s[20:21], vcc, s[20:21]
	v_cndmask_b32_e64 v2, v2, 0, s[20:21]
	v_or_b32_e32 v28, v2, v1
.LBB4_4176:                             ;   in Loop: Header=BB4_3900 Depth=2
	s_or_b64 exec, exec, s[62:63]
.LBB4_4177:                             ;   in Loop: Header=BB4_3900 Depth=2
	s_or_b64 exec, exec, s[60:61]
                                        ; implicit-def: $vgpr3
.LBB4_4178:                             ;   in Loop: Header=BB4_3900 Depth=2
	s_andn2_saveexec_b64 s[20:21], s[58:59]
; %bb.4179:                             ;   in Loop: Header=BB4_3900 Depth=2
	v_or_b32_sdwa v1, v3, s71 dst_sel:DWORD dst_unused:UNUSED_PAD src0_sel:BYTE_3 src1_sel:DWORD
	v_cmp_eq_u64_e32 vcc, 0, v[52:53]
	v_cndmask_b32_e32 v28, v1, v28, vcc
; %bb.4180:                             ;   in Loop: Header=BB4_3900 Depth=2
	s_or_b64 exec, exec, s[20:21]
	v_lshrrev_b32_e32 v24, 24, v15
	v_lshrrev_b32_e32 v2, 24, v11
	v_cmp_lt_u64_e64 s[20:21], s[44:45], v[14:15]
	s_and_b64 vcc, exec, s[56:57]
	s_cbranch_vccz .LBB4_4194
; %bb.4181:                             ;   in Loop: Header=BB4_3900 Depth=2
	v_mov_b32_e32 v3, 0
	v_mov_b32_e32 v1, 0
	s_and_saveexec_b64 s[58:59], s[20:21]
	s_cbranch_execz .LBB4_4187
; %bb.4182:                             ;   in Loop: Header=BB4_3900 Depth=2
	v_cmp_ne_u32_e32 vcc, s69, v24
	v_bfrev_b32_e32 v1, 1
	s_and_saveexec_b64 s[60:61], vcc
	s_cbranch_execz .LBB4_4186
; %bb.4183:                             ;   in Loop: Header=BB4_3900 Depth=2
	v_bfe_u32 v4, v15, 24, 7
	v_cmp_ne_u32_e32 vcc, s71, v4
	v_mov_b32_e32 v1, 0x7f800001
	s_and_saveexec_b64 s[62:63], vcc
	s_cbranch_execz .LBB4_4185
; %bb.4184:                             ;   in Loop: Header=BB4_3900 Depth=2
	v_and_b32_e32 v1, 7, v24
	v_ffbh_u32_e32 v6, v1
	v_min_u32_e32 v8, 32, v6
	v_subrev_u32_e32 v6, 28, v8
	v_lshlrev_b64 v[6:7], v6, v[24:25]
	v_lshrrev_b32_e32 v5, 3, v4
	v_sub_u32_e32 v7, 29, v8
	v_and_b32_e32 v6, 7, v6
	v_cmp_gt_u32_e32 vcc, 8, v4
	v_cndmask_b32_e32 v4, v5, v7, vcc
	v_cndmask_b32_e32 v1, v1, v6, vcc
	v_lshlrev_b32_e32 v5, 24, v24
	v_lshlrev_b32_e32 v1, 20, v1
	v_and_b32_e32 v5, 0x80000000, v5
	v_lshl_add_u32 v4, v4, 23, v51
	v_or3_b32 v1, v5, v4, v1
.LBB4_4185:                             ;   in Loop: Header=BB4_3900 Depth=2
	s_or_b64 exec, exec, s[62:63]
.LBB4_4186:                             ;   in Loop: Header=BB4_3900 Depth=2
	s_or_b64 exec, exec, s[60:61]
.LBB4_4187:                             ;   in Loop: Header=BB4_3900 Depth=2
	s_or_b64 exec, exec, s[58:59]
	v_cmp_lt_u64_e32 vcc, s[44:45], v[10:11]
	s_and_saveexec_b64 s[58:59], vcc
	s_cbranch_execz .LBB4_4193
; %bb.4188:                             ;   in Loop: Header=BB4_3900 Depth=2
	v_cmp_ne_u32_e32 vcc, s69, v2
	v_bfrev_b32_e32 v3, 1
	s_and_saveexec_b64 s[60:61], vcc
	s_cbranch_execz .LBB4_4192
; %bb.4189:                             ;   in Loop: Header=BB4_3900 Depth=2
	v_bfe_u32 v4, v11, 24, 7
	v_cmp_ne_u32_e32 vcc, s71, v4
	v_mov_b32_e32 v3, 0x7f800001
	s_and_saveexec_b64 s[62:63], vcc
	s_cbranch_execz .LBB4_4191
; %bb.4190:                             ;   in Loop: Header=BB4_3900 Depth=2
	v_and_b32_e32 v3, 7, v2
	v_ffbh_u32_e32 v6, v3
	v_min_u32_e32 v8, 32, v6
	v_subrev_u32_e32 v6, 28, v8
	v_lshlrev_b64 v[6:7], v6, v[2:3]
	v_lshrrev_b32_e32 v5, 3, v4
	v_sub_u32_e32 v7, 29, v8
	v_and_b32_e32 v6, 7, v6
	v_cmp_gt_u32_e32 vcc, 8, v4
	v_cndmask_b32_e32 v4, v5, v7, vcc
	v_cndmask_b32_e32 v3, v3, v6, vcc
	v_lshlrev_b32_e32 v5, 24, v2
	v_lshlrev_b32_e32 v3, 20, v3
	v_and_b32_e32 v5, 0x80000000, v5
	v_lshl_add_u32 v4, v4, 23, v51
	v_or3_b32 v3, v5, v4, v3
.LBB4_4191:                             ;   in Loop: Header=BB4_3900 Depth=2
	s_or_b64 exec, exec, s[62:63]
.LBB4_4192:                             ;   in Loop: Header=BB4_3900 Depth=2
	s_or_b64 exec, exec, s[60:61]
.LBB4_4193:                             ;   in Loop: Header=BB4_3900 Depth=2
	s_or_b64 exec, exec, s[58:59]
	v_max_f32_e32 v3, v3, v3
	v_max_f32_e32 v1, v1, v1
	v_max_f32_e32 v3, v1, v3
	s_branch .LBB4_4208
.LBB4_4194:                             ;   in Loop: Header=BB4_3900 Depth=2
                                        ; implicit-def: $vgpr3
	s_cbranch_execz .LBB4_4208
; %bb.4195:                             ;   in Loop: Header=BB4_3900 Depth=2
	v_mov_b32_e32 v3, 0
	v_mov_b32_e32 v1, 0
	s_and_saveexec_b64 s[58:59], s[20:21]
	s_cbranch_execz .LBB4_4201
; %bb.4196:                             ;   in Loop: Header=BB4_3900 Depth=2
	v_cmp_ne_u32_e32 vcc, s69, v24
	v_bfrev_b32_e32 v1, 1
	s_and_saveexec_b64 s[20:21], vcc
	s_cbranch_execz .LBB4_4200
; %bb.4197:                             ;   in Loop: Header=BB4_3900 Depth=2
	v_bfe_u32 v4, v15, 24, 7
	v_cmp_ne_u32_e32 vcc, s71, v4
	v_mov_b32_e32 v1, 0x7f800001
	s_and_saveexec_b64 s[60:61], vcc
	s_cbranch_execz .LBB4_4199
; %bb.4198:                             ;   in Loop: Header=BB4_3900 Depth=2
	v_and_b32_e32 v1, 7, v24
	v_ffbh_u32_e32 v6, v1
	v_min_u32_e32 v8, 32, v6
	v_subrev_u32_e32 v6, 28, v8
	v_lshlrev_b64 v[6:7], v6, v[24:25]
	v_lshrrev_b32_e32 v5, 3, v4
	v_sub_u32_e32 v7, 29, v8
	v_and_b32_e32 v6, 7, v6
	v_cmp_gt_u32_e32 vcc, 8, v4
	v_cndmask_b32_e32 v4, v5, v7, vcc
	v_cndmask_b32_e32 v1, v1, v6, vcc
	v_lshlrev_b32_e32 v5, 24, v24
	v_lshlrev_b32_e32 v1, 20, v1
	v_and_b32_e32 v5, 0x80000000, v5
	v_lshl_add_u32 v4, v4, 23, v51
	v_or3_b32 v1, v5, v4, v1
.LBB4_4199:                             ;   in Loop: Header=BB4_3900 Depth=2
	s_or_b64 exec, exec, s[60:61]
.LBB4_4200:                             ;   in Loop: Header=BB4_3900 Depth=2
	s_or_b64 exec, exec, s[20:21]
.LBB4_4201:                             ;   in Loop: Header=BB4_3900 Depth=2
	s_or_b64 exec, exec, s[58:59]
	v_cmp_lt_u64_e32 vcc, s[44:45], v[10:11]
	s_and_saveexec_b64 s[20:21], vcc
	s_cbranch_execz .LBB4_4207
; %bb.4202:                             ;   in Loop: Header=BB4_3900 Depth=2
	v_cmp_ne_u32_e32 vcc, s69, v2
	v_bfrev_b32_e32 v3, 1
	s_and_saveexec_b64 s[58:59], vcc
	s_cbranch_execz .LBB4_4206
; %bb.4203:                             ;   in Loop: Header=BB4_3900 Depth=2
	v_bfe_u32 v4, v11, 24, 7
	v_cmp_ne_u32_e32 vcc, s71, v4
	v_mov_b32_e32 v3, 0x7f800001
	s_and_saveexec_b64 s[60:61], vcc
	s_cbranch_execz .LBB4_4205
; %bb.4204:                             ;   in Loop: Header=BB4_3900 Depth=2
	v_and_b32_e32 v3, 7, v2
	v_ffbh_u32_e32 v6, v3
	v_min_u32_e32 v8, 32, v6
	v_subrev_u32_e32 v6, 28, v8
	v_lshlrev_b64 v[6:7], v6, v[2:3]
	v_lshrrev_b32_e32 v5, 3, v4
	v_sub_u32_e32 v7, 29, v8
	v_and_b32_e32 v6, 7, v6
	v_cmp_gt_u32_e32 vcc, 8, v4
	v_cndmask_b32_e32 v4, v5, v7, vcc
	v_cndmask_b32_e32 v3, v3, v6, vcc
	v_lshlrev_b32_e32 v2, 24, v2
	v_lshlrev_b32_e32 v3, 20, v3
	v_and_b32_e32 v2, 0x80000000, v2
	v_lshl_add_u32 v4, v4, 23, v51
	v_or3_b32 v3, v2, v4, v3
.LBB4_4205:                             ;   in Loop: Header=BB4_3900 Depth=2
	s_or_b64 exec, exec, s[60:61]
.LBB4_4206:                             ;   in Loop: Header=BB4_3900 Depth=2
	s_or_b64 exec, exec, s[58:59]
.LBB4_4207:                             ;   in Loop: Header=BB4_3900 Depth=2
	s_or_b64 exec, exec, s[20:21]
	v_max_f32_e32 v2, v3, v3
	v_max_f32_e32 v1, v1, v1
	v_min_f32_e32 v3, v1, v2
.LBB4_4208:                             ;   in Loop: Header=BB4_3900 Depth=2
	v_and_b32_sdwa v1, v3, s69 dst_sel:DWORD dst_unused:UNUSED_PAD src0_sel:BYTE_3 src1_sel:DWORD
	v_and_b32_e32 v4, 0x7f800000, v3
	v_mov_b32_e32 v5, v53
	v_and_b32_e32 v52, 0x7fffff, v3
	v_or_b32_e32 v15, 0x7e, v1
	v_cmp_ne_u64_e32 vcc, s[40:41], v[4:5]
	s_and_saveexec_b64 s[20:21], vcc
	s_xor_b64 s[58:59], exec, s[20:21]
	s_cbranch_execnz .LBB4_4224
; %bb.4209:                             ;   in Loop: Header=BB4_3900 Depth=2
	s_andn2_saveexec_b64 s[20:21], s[58:59]
	s_cbranch_execnz .LBB4_4233
.LBB4_4210:                             ;   in Loop: Header=BB4_3900 Depth=2
	s_or_b64 exec, exec, s[20:21]
	v_cmp_ne_u16_sdwa s[20:21], v16, v53 src0_sel:BYTE_0 src1_sel:DWORD
	s_and_b64 vcc, exec, s[56:57]
	s_cbranch_vccz .LBB4_4234
.LBB4_4211:                             ;   in Loop: Header=BB4_3900 Depth=2
	v_mov_b32_e32 v2, 0
	v_mov_b32_e32 v1, 0
	s_and_saveexec_b64 s[58:59], s[20:21]
	s_cbranch_execz .LBB4_4217
; %bb.4212:                             ;   in Loop: Header=BB4_3900 Depth=2
	v_cmp_ne_u16_sdwa vcc, v16, s69 src0_sel:BYTE_0 src1_sel:DWORD
	v_bfrev_b32_e32 v1, 1
	s_and_saveexec_b64 s[60:61], vcc
	s_cbranch_execz .LBB4_4216
; %bb.4213:                             ;   in Loop: Header=BB4_3900 Depth=2
	v_and_b32_e32 v3, 0x7f, v16
	v_cmp_ne_u32_e32 vcc, s71, v3
	v_mov_b32_e32 v1, 0x7f800001
	s_and_saveexec_b64 s[62:63], vcc
	s_cbranch_execz .LBB4_4215
; %bb.4214:                             ;   in Loop: Header=BB4_3900 Depth=2
	v_and_b32_e32 v1, 7, v16
	v_ffbh_u32_e32 v1, v1
	v_min_u32_e32 v1, 32, v1
	v_subrev_u32_e32 v5, 28, v1
	v_cmp_gt_u32_e32 vcc, 8, v3
	v_lshrrev_b32_e32 v4, 3, v3
	v_sub_u32_e32 v1, 29, v1
	v_cndmask_b32_e32 v3, 0, v5, vcc
	v_cndmask_b32_e32 v1, v4, v1, vcc
	v_lshlrev_b64 v[4:5], v3, v[16:17]
	v_lshlrev_b32_e32 v3, 20, v4
	v_lshlrev_b32_e32 v4, 24, v16
	v_and_b32_e32 v3, 0x700000, v3
	v_and_b32_e32 v4, 0x80000000, v4
	v_lshl_add_u32 v1, v1, 23, v51
	v_or3_b32 v1, v4, v1, v3
.LBB4_4215:                             ;   in Loop: Header=BB4_3900 Depth=2
	s_or_b64 exec, exec, s[62:63]
.LBB4_4216:                             ;   in Loop: Header=BB4_3900 Depth=2
	s_or_b64 exec, exec, s[60:61]
.LBB4_4217:                             ;   in Loop: Header=BB4_3900 Depth=2
	s_or_b64 exec, exec, s[58:59]
	v_cmp_ne_u16_sdwa vcc, v12, v53 src0_sel:BYTE_0 src1_sel:DWORD
	s_and_saveexec_b64 s[58:59], vcc
	s_cbranch_execz .LBB4_4223
; %bb.4218:                             ;   in Loop: Header=BB4_3900 Depth=2
	v_cmp_ne_u16_sdwa vcc, v12, s69 src0_sel:BYTE_0 src1_sel:DWORD
	v_bfrev_b32_e32 v2, 1
	s_and_saveexec_b64 s[60:61], vcc
	s_cbranch_execz .LBB4_4222
; %bb.4219:                             ;   in Loop: Header=BB4_3900 Depth=2
	v_and_b32_e32 v3, 0x7f, v12
	v_cmp_ne_u32_e32 vcc, s71, v3
	v_mov_b32_e32 v2, 0x7f800001
	s_and_saveexec_b64 s[62:63], vcc
	s_cbranch_execz .LBB4_4221
; %bb.4220:                             ;   in Loop: Header=BB4_3900 Depth=2
	v_and_b32_e32 v2, 7, v12
	v_ffbh_u32_e32 v2, v2
	v_min_u32_e32 v2, 32, v2
	v_lshrrev_b32_e32 v4, 3, v3
	v_subrev_u32_e32 v5, 28, v2
	v_sub_u32_e32 v2, 29, v2
	v_cmp_gt_u32_e32 vcc, 8, v3
	v_cndmask_b32_e32 v4, v4, v2, vcc
	v_cndmask_b32_e32 v2, 0, v5, vcc
	v_lshlrev_b64 v[2:3], v2, v[12:13]
	v_lshlrev_b32_e32 v2, 20, v2
	v_lshlrev_b32_e32 v3, 24, v12
	v_and_b32_e32 v2, 0x700000, v2
	v_and_b32_e32 v3, 0x80000000, v3
	v_lshl_add_u32 v4, v4, 23, v51
	v_or3_b32 v2, v3, v4, v2
.LBB4_4221:                             ;   in Loop: Header=BB4_3900 Depth=2
	s_or_b64 exec, exec, s[62:63]
.LBB4_4222:                             ;   in Loop: Header=BB4_3900 Depth=2
	s_or_b64 exec, exec, s[60:61]
.LBB4_4223:                             ;   in Loop: Header=BB4_3900 Depth=2
	s_or_b64 exec, exec, s[58:59]
	v_max_f32_e32 v2, v2, v2
	v_max_f32_e32 v1, v1, v1
	v_max_f32_e32 v2, v1, v2
	s_branch .LBB4_4248
.LBB4_4224:                             ;   in Loop: Header=BB4_3900 Depth=2
	v_and_b32_e32 v4, 0x7fffffff, v3
	v_mov_b32_e32 v5, v53
	v_cmp_gt_u64_e32 vcc, s[42:43], v[4:5]
	s_and_saveexec_b64 s[60:61], vcc
	s_cbranch_execz .LBB4_4232
; %bb.4225:                             ;   in Loop: Header=BB4_3900 Depth=2
	v_cmp_ne_u32_e32 vcc, 0, v3
	v_mov_b32_e32 v15, 0
	s_and_saveexec_b64 s[62:63], vcc
	s_cbranch_execz .LBB4_4231
; %bb.4226:                             ;   in Loop: Header=BB4_3900 Depth=2
	v_bfe_u32 v2, v3, 23, 8
	v_sub_u32_e32 v4, 0x79, v2
	v_cmp_gt_u32_e32 vcc, s73, v2
	v_add_u32_e32 v3, 0xffffff81, v2
	v_cndmask_b32_e32 v4, 0, v4, vcc
	v_cmp_eq_u32_e32 vcc, 0, v2
	v_mov_b32_e32 v2, 0xffffff82
	v_cndmask_b32_e32 v10, v3, v2, vcc
	v_mov_b32_e32 v2, 0x78
	v_or_b32_e32 v5, 0x800000, v52
	v_cndmask_b32_e32 v4, v4, v2, vcc
	v_cndmask_b32_e32 v52, v5, v52, vcc
	v_add_u32_e32 v2, 20, v4
	v_lshlrev_b64 v[2:3], v2, -1
	v_add_u32_e32 v5, 19, v4
	v_lshrrev_b64 v[8:9], v4, v[52:53]
	v_not_b32_e32 v3, v3
	v_not_b32_e32 v2, v2
	v_lshlrev_b64 v[6:7], v5, 1
	v_lshrrev_b32_e32 v5, 23, v8
	v_and_b32_e32 v3, 0, v3
	v_and_b32_e32 v2, v52, v2
	v_add3_u32 v4, v4, v10, v5
	v_bfe_u32 v5, v8, 20, 1
	v_add_u32_e32 v5, -1, v5
	v_cmp_eq_u64_e32 vcc, v[2:3], v[6:7]
	v_cndmask_b32_e32 v2, 0, v5, vcc
	v_add_u32_e32 v2, v2, v8
	v_and_b32_e32 v2, 0xfffff, v2
	v_add_co_u32_e32 v2, vcc, v2, v8
	v_add_u32_e32 v11, 6, v4
	v_addc_co_u32_e32 v3, vcc, 0, v9, vcc
	v_cmp_ne_u32_e32 vcc, 0, v11
                                        ; implicit-def: $vgpr10
	s_and_saveexec_b64 s[20:21], vcc
	s_xor_b64 s[20:21], exec, s[20:21]
; %bb.4227:                             ;   in Loop: Header=BB4_3900 Depth=2
	v_add_u32_e32 v4, 7, v4
	v_cmp_lt_u64_e32 vcc, s[46:47], v[2:3]
	v_cndmask_b32_e32 v10, v11, v4, vcc
	v_cndmask_b32_e64 v4, 0, 1, vcc
	v_lshrrev_b64 v[2:3], v4, v[2:3]
; %bb.4228:                             ;   in Loop: Header=BB4_3900 Depth=2
	s_andn2_saveexec_b64 s[20:21], s[20:21]
; %bb.4229:                             ;   in Loop: Header=BB4_3900 Depth=2
	v_bfe_u32 v10, v2, 23, 1
; %bb.4230:                             ;   in Loop: Header=BB4_3900 Depth=2
	s_or_b64 exec, exec, s[20:21]
	v_lshrrev_b64 v[2:3], 20, v[2:3]
	v_cmp_gt_i32_e32 vcc, 16, v10
	v_cndmask_b32_e32 v3, 0, v3, vcc
	v_cndmask_b32_e32 v2, 7, v2, vcc
	v_cmp_eq_u64_e64 s[20:21], 0, v[2:3]
	v_min_i32_e32 v3, 15, v10
	v_lshlrev_b32_e32 v3, 3, v3
	v_cmp_eq_u32_e32 vcc, 0, v10
	v_and_b32_e32 v3, 0xf8, v3
	v_and_or_b32 v2, v2, 7, v3
	s_and_b64 s[20:21], vcc, s[20:21]
	v_cndmask_b32_e64 v2, v2, 0, s[20:21]
	v_or_b32_e32 v15, v2, v1
.LBB4_4231:                             ;   in Loop: Header=BB4_3900 Depth=2
	s_or_b64 exec, exec, s[62:63]
.LBB4_4232:                             ;   in Loop: Header=BB4_3900 Depth=2
	s_or_b64 exec, exec, s[60:61]
                                        ; implicit-def: $vgpr3
	s_andn2_saveexec_b64 s[20:21], s[58:59]
	s_cbranch_execz .LBB4_4210
.LBB4_4233:                             ;   in Loop: Header=BB4_3900 Depth=2
	v_or_b32_sdwa v1, v3, s71 dst_sel:DWORD dst_unused:UNUSED_PAD src0_sel:BYTE_3 src1_sel:DWORD
	v_cmp_eq_u64_e32 vcc, 0, v[52:53]
	v_cndmask_b32_e32 v15, v1, v15, vcc
	s_or_b64 exec, exec, s[20:21]
	v_cmp_ne_u16_sdwa s[20:21], v16, v53 src0_sel:BYTE_0 src1_sel:DWORD
	s_and_b64 vcc, exec, s[56:57]
	s_cbranch_vccnz .LBB4_4211
.LBB4_4234:                             ;   in Loop: Header=BB4_3900 Depth=2
                                        ; implicit-def: $vgpr2
	s_cbranch_execz .LBB4_4248
; %bb.4235:                             ;   in Loop: Header=BB4_3900 Depth=2
	v_mov_b32_e32 v2, 0
	v_mov_b32_e32 v1, 0
	s_and_saveexec_b64 s[58:59], s[20:21]
	s_cbranch_execz .LBB4_4241
; %bb.4236:                             ;   in Loop: Header=BB4_3900 Depth=2
	v_cmp_ne_u16_sdwa vcc, v16, s69 src0_sel:BYTE_0 src1_sel:DWORD
	v_bfrev_b32_e32 v1, 1
	s_and_saveexec_b64 s[20:21], vcc
	s_cbranch_execz .LBB4_4240
; %bb.4237:                             ;   in Loop: Header=BB4_3900 Depth=2
	v_and_b32_e32 v3, 0x7f, v16
	v_cmp_ne_u32_e32 vcc, s71, v3
	v_mov_b32_e32 v1, 0x7f800001
	s_and_saveexec_b64 s[60:61], vcc
	s_cbranch_execz .LBB4_4239
; %bb.4238:                             ;   in Loop: Header=BB4_3900 Depth=2
	v_and_b32_e32 v1, 7, v16
	v_ffbh_u32_e32 v1, v1
	v_min_u32_e32 v1, 32, v1
	v_subrev_u32_e32 v5, 28, v1
	v_cmp_gt_u32_e32 vcc, 8, v3
	v_lshrrev_b32_e32 v4, 3, v3
	v_sub_u32_e32 v1, 29, v1
	v_cndmask_b32_e32 v3, 0, v5, vcc
	v_cndmask_b32_e32 v1, v4, v1, vcc
	v_lshlrev_b64 v[4:5], v3, v[16:17]
	v_lshlrev_b32_e32 v3, 20, v4
	v_lshlrev_b32_e32 v4, 24, v16
	v_and_b32_e32 v3, 0x700000, v3
	v_and_b32_e32 v4, 0x80000000, v4
	v_lshl_add_u32 v1, v1, 23, v51
	v_or3_b32 v1, v4, v1, v3
.LBB4_4239:                             ;   in Loop: Header=BB4_3900 Depth=2
	s_or_b64 exec, exec, s[60:61]
.LBB4_4240:                             ;   in Loop: Header=BB4_3900 Depth=2
	s_or_b64 exec, exec, s[20:21]
.LBB4_4241:                             ;   in Loop: Header=BB4_3900 Depth=2
	s_or_b64 exec, exec, s[58:59]
	v_cmp_ne_u16_sdwa vcc, v12, v53 src0_sel:BYTE_0 src1_sel:DWORD
	s_and_saveexec_b64 s[20:21], vcc
	s_cbranch_execz .LBB4_4247
; %bb.4242:                             ;   in Loop: Header=BB4_3900 Depth=2
	v_cmp_ne_u16_sdwa vcc, v12, s69 src0_sel:BYTE_0 src1_sel:DWORD
	v_bfrev_b32_e32 v2, 1
	s_and_saveexec_b64 s[58:59], vcc
	s_cbranch_execz .LBB4_4246
; %bb.4243:                             ;   in Loop: Header=BB4_3900 Depth=2
	v_and_b32_e32 v3, 0x7f, v12
	v_cmp_ne_u32_e32 vcc, s71, v3
	v_mov_b32_e32 v2, 0x7f800001
	s_and_saveexec_b64 s[60:61], vcc
	s_cbranch_execz .LBB4_4245
; %bb.4244:                             ;   in Loop: Header=BB4_3900 Depth=2
	v_and_b32_e32 v2, 7, v12
	v_ffbh_u32_e32 v2, v2
	v_min_u32_e32 v2, 32, v2
	v_lshrrev_b32_e32 v4, 3, v3
	v_subrev_u32_e32 v5, 28, v2
	v_sub_u32_e32 v2, 29, v2
	v_cmp_gt_u32_e32 vcc, 8, v3
	v_cndmask_b32_e32 v4, v4, v2, vcc
	v_cndmask_b32_e32 v2, 0, v5, vcc
	v_lshlrev_b64 v[2:3], v2, v[12:13]
	v_lshlrev_b32_e32 v2, 20, v2
	v_lshlrev_b32_e32 v3, 24, v12
	v_and_b32_e32 v2, 0x700000, v2
	v_and_b32_e32 v3, 0x80000000, v3
	v_lshl_add_u32 v4, v4, 23, v51
	v_or3_b32 v2, v3, v4, v2
.LBB4_4245:                             ;   in Loop: Header=BB4_3900 Depth=2
	s_or_b64 exec, exec, s[60:61]
.LBB4_4246:                             ;   in Loop: Header=BB4_3900 Depth=2
	s_or_b64 exec, exec, s[58:59]
.LBB4_4247:                             ;   in Loop: Header=BB4_3900 Depth=2
	s_or_b64 exec, exec, s[20:21]
	v_max_f32_e32 v2, v2, v2
	v_max_f32_e32 v1, v1, v1
	v_min_f32_e32 v2, v1, v2
.LBB4_4248:                             ;   in Loop: Header=BB4_3900 Depth=2
	v_and_b32_sdwa v1, v2, s69 dst_sel:DWORD dst_unused:UNUSED_PAD src0_sel:BYTE_3 src1_sel:DWORD
	v_and_b32_e32 v4, 0x7f800000, v2
	v_mov_b32_e32 v5, v53
	v_and_b32_e32 v52, 0x7fffff, v2
	v_or_b32_e32 v24, 0x7e, v1
	v_cmp_ne_u64_e32 vcc, s[40:41], v[4:5]
	s_and_saveexec_b64 s[20:21], vcc
	s_xor_b64 s[58:59], exec, s[20:21]
	s_cbranch_execz .LBB4_4258
; %bb.4249:                             ;   in Loop: Header=BB4_3900 Depth=2
	v_and_b32_e32 v4, 0x7fffffff, v2
	v_mov_b32_e32 v5, v53
	v_cmp_gt_u64_e32 vcc, s[42:43], v[4:5]
	s_and_saveexec_b64 s[60:61], vcc
	s_cbranch_execz .LBB4_4257
; %bb.4250:                             ;   in Loop: Header=BB4_3900 Depth=2
	v_cmp_ne_u32_e32 vcc, 0, v2
	v_mov_b32_e32 v24, 0
	s_and_saveexec_b64 s[62:63], vcc
	s_cbranch_execz .LBB4_4256
; %bb.4251:                             ;   in Loop: Header=BB4_3900 Depth=2
	v_bfe_u32 v2, v2, 23, 8
	v_sub_u32_e32 v4, 0x79, v2
	v_cmp_gt_u32_e32 vcc, s73, v2
	v_add_u32_e32 v3, 0xffffff81, v2
	v_cndmask_b32_e32 v4, 0, v4, vcc
	v_cmp_eq_u32_e32 vcc, 0, v2
	v_mov_b32_e32 v2, 0xffffff82
	v_cndmask_b32_e32 v10, v3, v2, vcc
	v_mov_b32_e32 v2, 0x78
	v_or_b32_e32 v5, 0x800000, v52
	v_cndmask_b32_e32 v4, v4, v2, vcc
	v_cndmask_b32_e32 v52, v5, v52, vcc
	v_add_u32_e32 v2, 20, v4
	v_lshlrev_b64 v[2:3], v2, -1
	v_add_u32_e32 v5, 19, v4
	v_lshrrev_b64 v[8:9], v4, v[52:53]
	v_not_b32_e32 v3, v3
	v_not_b32_e32 v2, v2
	v_lshlrev_b64 v[6:7], v5, 1
	v_lshrrev_b32_e32 v5, 23, v8
	v_and_b32_e32 v3, 0, v3
	v_and_b32_e32 v2, v52, v2
	v_add3_u32 v4, v4, v10, v5
	v_bfe_u32 v5, v8, 20, 1
	v_add_u32_e32 v5, -1, v5
	v_cmp_eq_u64_e32 vcc, v[2:3], v[6:7]
	v_cndmask_b32_e32 v2, 0, v5, vcc
	v_add_u32_e32 v2, v2, v8
	v_and_b32_e32 v2, 0xfffff, v2
	v_add_co_u32_e32 v2, vcc, v2, v8
	v_add_u32_e32 v11, 6, v4
	v_addc_co_u32_e32 v3, vcc, 0, v9, vcc
	v_cmp_ne_u32_e32 vcc, 0, v11
                                        ; implicit-def: $vgpr10
	s_and_saveexec_b64 s[20:21], vcc
	s_xor_b64 s[20:21], exec, s[20:21]
; %bb.4252:                             ;   in Loop: Header=BB4_3900 Depth=2
	v_add_u32_e32 v4, 7, v4
	v_cmp_lt_u64_e32 vcc, s[46:47], v[2:3]
	v_cndmask_b32_e32 v10, v11, v4, vcc
	v_cndmask_b32_e64 v4, 0, 1, vcc
	v_lshrrev_b64 v[2:3], v4, v[2:3]
; %bb.4253:                             ;   in Loop: Header=BB4_3900 Depth=2
	s_andn2_saveexec_b64 s[20:21], s[20:21]
; %bb.4254:                             ;   in Loop: Header=BB4_3900 Depth=2
	v_bfe_u32 v10, v2, 23, 1
; %bb.4255:                             ;   in Loop: Header=BB4_3900 Depth=2
	s_or_b64 exec, exec, s[20:21]
	v_lshrrev_b64 v[2:3], 20, v[2:3]
	v_cmp_gt_i32_e32 vcc, 16, v10
	v_cndmask_b32_e32 v3, 0, v3, vcc
	v_cndmask_b32_e32 v2, 7, v2, vcc
	v_cmp_eq_u64_e64 s[20:21], 0, v[2:3]
	v_min_i32_e32 v3, 15, v10
	v_cmp_eq_u32_e32 vcc, 0, v10
	v_lshlrev_b32_e32 v3, 3, v3
	v_and_or_b32 v2, v2, 7, v3
	s_and_b64 s[20:21], vcc, s[20:21]
	v_cndmask_b32_e64 v2, v2, 0, s[20:21]
	v_or_b32_e32 v24, v2, v1
.LBB4_4256:                             ;   in Loop: Header=BB4_3900 Depth=2
	s_or_b64 exec, exec, s[62:63]
.LBB4_4257:                             ;   in Loop: Header=BB4_3900 Depth=2
	s_or_b64 exec, exec, s[60:61]
                                        ; implicit-def: $vgpr2
.LBB4_4258:                             ;   in Loop: Header=BB4_3900 Depth=2
	s_andn2_saveexec_b64 s[20:21], s[58:59]
; %bb.4259:                             ;   in Loop: Header=BB4_3900 Depth=2
	v_or_b32_sdwa v1, v2, s71 dst_sel:DWORD dst_unused:UNUSED_PAD src0_sel:BYTE_3 src1_sel:DWORD
	v_cmp_eq_u64_e32 vcc, 0, v[52:53]
	v_cndmask_b32_e32 v24, v1, v24, vcc
; %bb.4260:                             ;   in Loop: Header=BB4_3900 Depth=2
	s_or_b64 exec, exec, s[20:21]
	v_lshrrev_b16_e32 v10, 8, v16
	v_lshrrev_b16_e32 v2, 8, v12
	v_cmp_ne_u16_e64 s[20:21], 0, v10
	s_and_b64 vcc, exec, s[56:57]
	s_cbranch_vccz .LBB4_4274
; %bb.4261:                             ;   in Loop: Header=BB4_3900 Depth=2
	v_mov_b32_e32 v3, 0
	v_mov_b32_e32 v1, 0
	s_and_saveexec_b64 s[58:59], s[20:21]
	s_cbranch_execz .LBB4_4267
; %bb.4262:                             ;   in Loop: Header=BB4_3900 Depth=2
	v_cmp_ne_u16_e32 vcc, s69, v10
	v_bfrev_b32_e32 v1, 1
	s_and_saveexec_b64 s[60:61], vcc
	s_cbranch_execz .LBB4_4266
; %bb.4263:                             ;   in Loop: Header=BB4_3900 Depth=2
	v_and_b32_e32 v4, 0x7f, v10
	v_cmp_ne_u32_e32 vcc, s71, v4
	v_mov_b32_e32 v1, 0x7f800001
	s_and_saveexec_b64 s[62:63], vcc
	s_cbranch_execz .LBB4_4265
; %bb.4264:                             ;   in Loop: Header=BB4_3900 Depth=2
	v_and_b32_e32 v1, 7, v10
	v_ffbh_u32_e32 v6, v1
	v_min_u32_e32 v8, 32, v6
	v_subrev_u32_e32 v6, 28, v8
	v_lshlrev_b64 v[6:7], v6, v[10:11]
	v_lshrrev_b32_e32 v5, 3, v4
	v_sub_u32_e32 v7, 29, v8
	v_and_b32_e32 v6, 7, v6
	v_cmp_gt_u32_e32 vcc, 8, v4
	v_cndmask_b32_e32 v4, v5, v7, vcc
	v_cndmask_b32_e32 v1, v1, v6, vcc
	v_lshlrev_b32_e32 v5, 16, v16
	v_lshlrev_b32_e32 v1, 20, v1
	v_and_b32_e32 v5, 0x80000000, v5
	v_lshl_add_u32 v4, v4, 23, v51
	v_or3_b32 v1, v5, v4, v1
.LBB4_4265:                             ;   in Loop: Header=BB4_3900 Depth=2
	s_or_b64 exec, exec, s[62:63]
.LBB4_4266:                             ;   in Loop: Header=BB4_3900 Depth=2
	s_or_b64 exec, exec, s[60:61]
.LBB4_4267:                             ;   in Loop: Header=BB4_3900 Depth=2
	s_or_b64 exec, exec, s[58:59]
	v_cmp_ne_u16_e32 vcc, 0, v2
	s_and_saveexec_b64 s[58:59], vcc
	s_cbranch_execz .LBB4_4273
; %bb.4268:                             ;   in Loop: Header=BB4_3900 Depth=2
	v_cmp_ne_u16_e32 vcc, s69, v2
	v_bfrev_b32_e32 v3, 1
	s_and_saveexec_b64 s[60:61], vcc
	s_cbranch_execz .LBB4_4272
; %bb.4269:                             ;   in Loop: Header=BB4_3900 Depth=2
	v_and_b32_e32 v4, 0x7f, v2
	v_cmp_ne_u32_e32 vcc, s71, v4
	v_mov_b32_e32 v3, 0x7f800001
	s_and_saveexec_b64 s[62:63], vcc
	s_cbranch_execz .LBB4_4271
; %bb.4270:                             ;   in Loop: Header=BB4_3900 Depth=2
	v_and_b32_e32 v3, 7, v2
	v_ffbh_u32_e32 v6, v3
	v_min_u32_e32 v8, 32, v6
	v_subrev_u32_e32 v6, 28, v8
	v_lshlrev_b64 v[6:7], v6, v[2:3]
	v_lshrrev_b32_e32 v5, 3, v4
	v_sub_u32_e32 v7, 29, v8
	v_and_b32_e32 v6, 7, v6
	v_cmp_gt_u32_e32 vcc, 8, v4
	v_cndmask_b32_e32 v4, v5, v7, vcc
	v_cndmask_b32_e32 v3, v3, v6, vcc
	v_lshlrev_b32_e32 v5, 16, v12
	v_lshlrev_b32_e32 v3, 20, v3
	v_and_b32_e32 v5, 0x80000000, v5
	v_lshl_add_u32 v4, v4, 23, v51
	v_or3_b32 v3, v5, v4, v3
.LBB4_4271:                             ;   in Loop: Header=BB4_3900 Depth=2
	s_or_b64 exec, exec, s[62:63]
.LBB4_4272:                             ;   in Loop: Header=BB4_3900 Depth=2
	s_or_b64 exec, exec, s[60:61]
.LBB4_4273:                             ;   in Loop: Header=BB4_3900 Depth=2
	s_or_b64 exec, exec, s[58:59]
	v_max_f32_e32 v3, v3, v3
	v_max_f32_e32 v1, v1, v1
	;; [unrolled: 1-line block ×3, first 2 shown]
	s_branch .LBB4_4288
.LBB4_4274:                             ;   in Loop: Header=BB4_3900 Depth=2
                                        ; implicit-def: $vgpr3
	s_cbranch_execz .LBB4_4288
; %bb.4275:                             ;   in Loop: Header=BB4_3900 Depth=2
	v_mov_b32_e32 v3, 0
	v_mov_b32_e32 v1, 0
	s_and_saveexec_b64 s[58:59], s[20:21]
	s_cbranch_execz .LBB4_4281
; %bb.4276:                             ;   in Loop: Header=BB4_3900 Depth=2
	v_cmp_ne_u16_e32 vcc, s69, v10
	v_bfrev_b32_e32 v1, 1
	s_and_saveexec_b64 s[20:21], vcc
	s_cbranch_execz .LBB4_4280
; %bb.4277:                             ;   in Loop: Header=BB4_3900 Depth=2
	v_and_b32_e32 v4, 0x7f, v10
	v_cmp_ne_u32_e32 vcc, s71, v4
	v_mov_b32_e32 v1, 0x7f800001
	s_and_saveexec_b64 s[60:61], vcc
	s_cbranch_execz .LBB4_4279
; %bb.4278:                             ;   in Loop: Header=BB4_3900 Depth=2
	v_and_b32_e32 v1, 7, v10
	v_ffbh_u32_e32 v6, v1
	v_min_u32_e32 v8, 32, v6
	v_subrev_u32_e32 v6, 28, v8
	v_lshlrev_b64 v[6:7], v6, v[10:11]
	v_lshrrev_b32_e32 v5, 3, v4
	v_sub_u32_e32 v7, 29, v8
	v_and_b32_e32 v6, 7, v6
	v_cmp_gt_u32_e32 vcc, 8, v4
	v_cndmask_b32_e32 v4, v5, v7, vcc
	v_cndmask_b32_e32 v1, v1, v6, vcc
	v_lshlrev_b32_e32 v5, 16, v16
	v_lshlrev_b32_e32 v1, 20, v1
	v_and_b32_e32 v5, 0x80000000, v5
	v_lshl_add_u32 v4, v4, 23, v51
	v_or3_b32 v1, v5, v4, v1
.LBB4_4279:                             ;   in Loop: Header=BB4_3900 Depth=2
	s_or_b64 exec, exec, s[60:61]
.LBB4_4280:                             ;   in Loop: Header=BB4_3900 Depth=2
	s_or_b64 exec, exec, s[20:21]
.LBB4_4281:                             ;   in Loop: Header=BB4_3900 Depth=2
	s_or_b64 exec, exec, s[58:59]
	v_cmp_ne_u16_e32 vcc, 0, v2
	s_and_saveexec_b64 s[20:21], vcc
	s_cbranch_execz .LBB4_4287
; %bb.4282:                             ;   in Loop: Header=BB4_3900 Depth=2
	v_cmp_ne_u16_e32 vcc, s69, v2
	v_bfrev_b32_e32 v3, 1
	s_and_saveexec_b64 s[58:59], vcc
	s_cbranch_execz .LBB4_4286
; %bb.4283:                             ;   in Loop: Header=BB4_3900 Depth=2
	v_and_b32_e32 v4, 0x7f, v2
	v_cmp_ne_u32_e32 vcc, s71, v4
	v_mov_b32_e32 v3, 0x7f800001
	s_and_saveexec_b64 s[60:61], vcc
	s_cbranch_execz .LBB4_4285
; %bb.4284:                             ;   in Loop: Header=BB4_3900 Depth=2
	v_and_b32_e32 v5, 7, v2
	v_ffbh_u32_e32 v3, v5
	v_min_u32_e32 v7, 32, v3
	v_subrev_u32_e32 v3, 28, v7
	v_lshlrev_b64 v[2:3], v3, v[2:3]
	v_lshrrev_b32_e32 v6, 3, v4
	v_sub_u32_e32 v3, 29, v7
	v_and_b32_e32 v2, 7, v2
	v_cmp_gt_u32_e32 vcc, 8, v4
	v_cndmask_b32_e32 v3, v6, v3, vcc
	v_cndmask_b32_e32 v2, v5, v2, vcc
	v_lshlrev_b32_e32 v4, 16, v12
	v_lshlrev_b32_e32 v2, 20, v2
	v_and_b32_e32 v4, 0x80000000, v4
	v_lshl_add_u32 v3, v3, 23, v51
	v_or3_b32 v3, v4, v3, v2
.LBB4_4285:                             ;   in Loop: Header=BB4_3900 Depth=2
	s_or_b64 exec, exec, s[60:61]
.LBB4_4286:                             ;   in Loop: Header=BB4_3900 Depth=2
	s_or_b64 exec, exec, s[58:59]
.LBB4_4287:                             ;   in Loop: Header=BB4_3900 Depth=2
	s_or_b64 exec, exec, s[20:21]
	v_max_f32_e32 v2, v3, v3
	v_max_f32_e32 v1, v1, v1
	v_min_f32_e32 v3, v1, v2
.LBB4_4288:                             ;   in Loop: Header=BB4_3900 Depth=2
	v_and_b32_sdwa v1, v3, s69 dst_sel:DWORD dst_unused:UNUSED_PAD src0_sel:BYTE_3 src1_sel:DWORD
	v_and_b32_e32 v4, 0x7f800000, v3
	v_mov_b32_e32 v5, v53
	v_and_b32_e32 v52, 0x7fffff, v3
	v_or_b32_e32 v54, 0x7e, v1
	v_cmp_ne_u64_e32 vcc, s[40:41], v[4:5]
	s_and_saveexec_b64 s[20:21], vcc
	s_xor_b64 s[58:59], exec, s[20:21]
	s_cbranch_execz .LBB4_4298
; %bb.4289:                             ;   in Loop: Header=BB4_3900 Depth=2
	v_and_b32_e32 v4, 0x7fffffff, v3
	v_mov_b32_e32 v5, v53
	v_cmp_gt_u64_e32 vcc, s[42:43], v[4:5]
	s_and_saveexec_b64 s[60:61], vcc
	s_cbranch_execz .LBB4_4297
; %bb.4290:                             ;   in Loop: Header=BB4_3900 Depth=2
	v_cmp_ne_u32_e32 vcc, 0, v3
	v_mov_b32_e32 v54, 0
	s_and_saveexec_b64 s[62:63], vcc
	s_cbranch_execz .LBB4_4296
; %bb.4291:                             ;   in Loop: Header=BB4_3900 Depth=2
	v_bfe_u32 v2, v3, 23, 8
	v_sub_u32_e32 v4, 0x79, v2
	v_cmp_gt_u32_e32 vcc, s73, v2
	v_add_u32_e32 v3, 0xffffff81, v2
	v_cndmask_b32_e32 v4, 0, v4, vcc
	v_cmp_eq_u32_e32 vcc, 0, v2
	v_mov_b32_e32 v2, 0xffffff82
	v_cndmask_b32_e32 v10, v3, v2, vcc
	v_mov_b32_e32 v2, 0x78
	v_or_b32_e32 v5, 0x800000, v52
	v_cndmask_b32_e32 v4, v4, v2, vcc
	v_cndmask_b32_e32 v52, v5, v52, vcc
	v_add_u32_e32 v2, 20, v4
	v_lshlrev_b64 v[2:3], v2, -1
	v_add_u32_e32 v5, 19, v4
	v_lshrrev_b64 v[8:9], v4, v[52:53]
	v_not_b32_e32 v3, v3
	v_not_b32_e32 v2, v2
	v_lshlrev_b64 v[6:7], v5, 1
	v_lshrrev_b32_e32 v5, 23, v8
	v_and_b32_e32 v3, 0, v3
	v_and_b32_e32 v2, v52, v2
	v_add3_u32 v4, v4, v10, v5
	v_bfe_u32 v5, v8, 20, 1
	v_add_u32_e32 v5, -1, v5
	v_cmp_eq_u64_e32 vcc, v[2:3], v[6:7]
	v_cndmask_b32_e32 v2, 0, v5, vcc
	v_add_u32_e32 v2, v2, v8
	v_and_b32_e32 v2, 0xfffff, v2
	v_add_co_u32_e32 v2, vcc, v2, v8
	v_add_u32_e32 v11, 6, v4
	v_addc_co_u32_e32 v3, vcc, 0, v9, vcc
	v_cmp_ne_u32_e32 vcc, 0, v11
                                        ; implicit-def: $vgpr10
	s_and_saveexec_b64 s[20:21], vcc
	s_xor_b64 s[20:21], exec, s[20:21]
; %bb.4292:                             ;   in Loop: Header=BB4_3900 Depth=2
	v_add_u32_e32 v4, 7, v4
	v_cmp_lt_u64_e32 vcc, s[46:47], v[2:3]
	v_cndmask_b32_e32 v10, v11, v4, vcc
	v_cndmask_b32_e64 v4, 0, 1, vcc
	v_lshrrev_b64 v[2:3], v4, v[2:3]
; %bb.4293:                             ;   in Loop: Header=BB4_3900 Depth=2
	s_andn2_saveexec_b64 s[20:21], s[20:21]
; %bb.4294:                             ;   in Loop: Header=BB4_3900 Depth=2
	v_bfe_u32 v10, v2, 23, 1
; %bb.4295:                             ;   in Loop: Header=BB4_3900 Depth=2
	s_or_b64 exec, exec, s[20:21]
	v_lshrrev_b64 v[2:3], 20, v[2:3]
	v_cmp_gt_i32_e32 vcc, 16, v10
	v_cndmask_b32_e32 v3, 0, v3, vcc
	v_cndmask_b32_e32 v2, 7, v2, vcc
	v_cmp_eq_u64_e64 s[20:21], 0, v[2:3]
	v_min_i32_e32 v3, 15, v10
	v_cmp_eq_u32_e32 vcc, 0, v10
	v_lshlrev_b32_e32 v3, 3, v3
	v_and_or_b32 v2, v2, 7, v3
	s_and_b64 s[20:21], vcc, s[20:21]
	v_cndmask_b32_e64 v2, v2, 0, s[20:21]
	v_or_b32_e32 v54, v2, v1
.LBB4_4296:                             ;   in Loop: Header=BB4_3900 Depth=2
	s_or_b64 exec, exec, s[62:63]
.LBB4_4297:                             ;   in Loop: Header=BB4_3900 Depth=2
	s_or_b64 exec, exec, s[60:61]
                                        ; implicit-def: $vgpr3
.LBB4_4298:                             ;   in Loop: Header=BB4_3900 Depth=2
	s_andn2_saveexec_b64 s[20:21], s[58:59]
; %bb.4299:                             ;   in Loop: Header=BB4_3900 Depth=2
	v_or_b32_sdwa v1, v3, s71 dst_sel:DWORD dst_unused:UNUSED_PAD src0_sel:BYTE_3 src1_sel:DWORD
	v_cmp_eq_u64_e32 vcc, 0, v[52:53]
	v_cndmask_b32_e32 v54, v1, v54, vcc
; %bb.4300:                             ;   in Loop: Header=BB4_3900 Depth=2
	s_or_b64 exec, exec, s[20:21]
	v_lshrrev_b32_e32 v10, 16, v16
	v_lshrrev_b32_e32 v2, 16, v12
	v_cmp_ne_u16_sdwa s[20:21], v10, v53 src0_sel:BYTE_0 src1_sel:DWORD
	s_and_b64 vcc, exec, s[56:57]
	s_cbranch_vccz .LBB4_4314
; %bb.4301:                             ;   in Loop: Header=BB4_3900 Depth=2
	v_mov_b32_e32 v3, 0
	v_mov_b32_e32 v1, 0
	s_and_saveexec_b64 s[58:59], s[20:21]
	s_cbranch_execz .LBB4_4307
; %bb.4302:                             ;   in Loop: Header=BB4_3900 Depth=2
	v_cmp_ne_u16_sdwa vcc, v10, s69 src0_sel:BYTE_0 src1_sel:DWORD
	v_bfrev_b32_e32 v1, 1
	s_and_saveexec_b64 s[60:61], vcc
	s_cbranch_execz .LBB4_4306
; %bb.4303:                             ;   in Loop: Header=BB4_3900 Depth=2
	v_bfe_u32 v4, v16, 16, 7
	v_cmp_ne_u32_e32 vcc, s71, v4
	v_mov_b32_e32 v1, 0x7f800001
	s_and_saveexec_b64 s[62:63], vcc
	s_cbranch_execz .LBB4_4305
; %bb.4304:                             ;   in Loop: Header=BB4_3900 Depth=2
	v_and_b32_e32 v1, 7, v10
	v_ffbh_u32_e32 v6, v1
	v_min_u32_e32 v8, 32, v6
	v_subrev_u32_e32 v6, 28, v8
	v_lshlrev_b64 v[6:7], v6, v[10:11]
	v_lshrrev_b32_e32 v5, 3, v4
	v_sub_u32_e32 v7, 29, v8
	v_and_b32_e32 v6, 7, v6
	v_cmp_gt_u32_e32 vcc, 8, v4
	v_cndmask_b32_e32 v4, v5, v7, vcc
	v_cndmask_b32_e32 v1, v1, v6, vcc
	v_lshlrev_b32_e32 v5, 24, v10
	v_lshlrev_b32_e32 v1, 20, v1
	v_and_b32_e32 v5, 0x80000000, v5
	v_lshl_add_u32 v4, v4, 23, v51
	v_or3_b32 v1, v5, v4, v1
.LBB4_4305:                             ;   in Loop: Header=BB4_3900 Depth=2
	s_or_b64 exec, exec, s[62:63]
.LBB4_4306:                             ;   in Loop: Header=BB4_3900 Depth=2
	s_or_b64 exec, exec, s[60:61]
.LBB4_4307:                             ;   in Loop: Header=BB4_3900 Depth=2
	s_or_b64 exec, exec, s[58:59]
	v_cmp_ne_u16_sdwa vcc, v2, v53 src0_sel:BYTE_0 src1_sel:DWORD
	s_and_saveexec_b64 s[58:59], vcc
	s_cbranch_execz .LBB4_4313
; %bb.4308:                             ;   in Loop: Header=BB4_3900 Depth=2
	v_cmp_ne_u16_sdwa vcc, v2, s69 src0_sel:BYTE_0 src1_sel:DWORD
	v_bfrev_b32_e32 v3, 1
	s_and_saveexec_b64 s[60:61], vcc
	s_cbranch_execz .LBB4_4312
; %bb.4309:                             ;   in Loop: Header=BB4_3900 Depth=2
	v_bfe_u32 v4, v12, 16, 7
	v_cmp_ne_u32_e32 vcc, s71, v4
	v_mov_b32_e32 v3, 0x7f800001
	s_and_saveexec_b64 s[62:63], vcc
	s_cbranch_execz .LBB4_4311
; %bb.4310:                             ;   in Loop: Header=BB4_3900 Depth=2
	v_and_b32_e32 v3, 7, v2
	v_ffbh_u32_e32 v6, v3
	v_min_u32_e32 v8, 32, v6
	v_subrev_u32_e32 v6, 28, v8
	v_lshlrev_b64 v[6:7], v6, v[2:3]
	v_lshrrev_b32_e32 v5, 3, v4
	v_sub_u32_e32 v7, 29, v8
	v_and_b32_e32 v6, 7, v6
	v_cmp_gt_u32_e32 vcc, 8, v4
	v_cndmask_b32_e32 v4, v5, v7, vcc
	v_cndmask_b32_e32 v3, v3, v6, vcc
	v_lshlrev_b32_e32 v5, 24, v2
	v_lshlrev_b32_e32 v3, 20, v3
	v_and_b32_e32 v5, 0x80000000, v5
	v_lshl_add_u32 v4, v4, 23, v51
	v_or3_b32 v3, v5, v4, v3
.LBB4_4311:                             ;   in Loop: Header=BB4_3900 Depth=2
	s_or_b64 exec, exec, s[62:63]
.LBB4_4312:                             ;   in Loop: Header=BB4_3900 Depth=2
	s_or_b64 exec, exec, s[60:61]
.LBB4_4313:                             ;   in Loop: Header=BB4_3900 Depth=2
	s_or_b64 exec, exec, s[58:59]
	v_max_f32_e32 v3, v3, v3
	v_max_f32_e32 v1, v1, v1
	;; [unrolled: 1-line block ×3, first 2 shown]
	s_branch .LBB4_4328
.LBB4_4314:                             ;   in Loop: Header=BB4_3900 Depth=2
                                        ; implicit-def: $vgpr3
	s_cbranch_execz .LBB4_4328
; %bb.4315:                             ;   in Loop: Header=BB4_3900 Depth=2
	v_mov_b32_e32 v3, 0
	v_mov_b32_e32 v1, 0
	s_and_saveexec_b64 s[58:59], s[20:21]
	s_cbranch_execz .LBB4_4321
; %bb.4316:                             ;   in Loop: Header=BB4_3900 Depth=2
	v_cmp_ne_u16_sdwa vcc, v10, s69 src0_sel:BYTE_0 src1_sel:DWORD
	v_bfrev_b32_e32 v1, 1
	s_and_saveexec_b64 s[20:21], vcc
	s_cbranch_execz .LBB4_4320
; %bb.4317:                             ;   in Loop: Header=BB4_3900 Depth=2
	v_bfe_u32 v4, v16, 16, 7
	v_cmp_ne_u32_e32 vcc, s71, v4
	v_mov_b32_e32 v1, 0x7f800001
	s_and_saveexec_b64 s[60:61], vcc
	s_cbranch_execz .LBB4_4319
; %bb.4318:                             ;   in Loop: Header=BB4_3900 Depth=2
	v_and_b32_e32 v1, 7, v10
	v_ffbh_u32_e32 v6, v1
	v_min_u32_e32 v8, 32, v6
	v_subrev_u32_e32 v6, 28, v8
	v_lshlrev_b64 v[6:7], v6, v[10:11]
	v_lshrrev_b32_e32 v5, 3, v4
	v_sub_u32_e32 v7, 29, v8
	v_and_b32_e32 v6, 7, v6
	v_cmp_gt_u32_e32 vcc, 8, v4
	v_cndmask_b32_e32 v4, v5, v7, vcc
	v_cndmask_b32_e32 v1, v1, v6, vcc
	v_lshlrev_b32_e32 v5, 24, v10
	v_lshlrev_b32_e32 v1, 20, v1
	v_and_b32_e32 v5, 0x80000000, v5
	v_lshl_add_u32 v4, v4, 23, v51
	v_or3_b32 v1, v5, v4, v1
.LBB4_4319:                             ;   in Loop: Header=BB4_3900 Depth=2
	s_or_b64 exec, exec, s[60:61]
.LBB4_4320:                             ;   in Loop: Header=BB4_3900 Depth=2
	s_or_b64 exec, exec, s[20:21]
.LBB4_4321:                             ;   in Loop: Header=BB4_3900 Depth=2
	s_or_b64 exec, exec, s[58:59]
	v_cmp_ne_u16_sdwa vcc, v2, v53 src0_sel:BYTE_0 src1_sel:DWORD
	s_and_saveexec_b64 s[20:21], vcc
	s_cbranch_execz .LBB4_4327
; %bb.4322:                             ;   in Loop: Header=BB4_3900 Depth=2
	v_cmp_ne_u16_sdwa vcc, v2, s69 src0_sel:BYTE_0 src1_sel:DWORD
	v_bfrev_b32_e32 v3, 1
	s_and_saveexec_b64 s[58:59], vcc
	s_cbranch_execz .LBB4_4326
; %bb.4323:                             ;   in Loop: Header=BB4_3900 Depth=2
	v_bfe_u32 v4, v12, 16, 7
	v_cmp_ne_u32_e32 vcc, s71, v4
	v_mov_b32_e32 v3, 0x7f800001
	s_and_saveexec_b64 s[60:61], vcc
	s_cbranch_execz .LBB4_4325
; %bb.4324:                             ;   in Loop: Header=BB4_3900 Depth=2
	v_and_b32_e32 v3, 7, v2
	v_ffbh_u32_e32 v6, v3
	v_min_u32_e32 v8, 32, v6
	v_subrev_u32_e32 v6, 28, v8
	v_lshlrev_b64 v[6:7], v6, v[2:3]
	v_lshrrev_b32_e32 v5, 3, v4
	v_sub_u32_e32 v7, 29, v8
	v_and_b32_e32 v6, 7, v6
	v_cmp_gt_u32_e32 vcc, 8, v4
	v_cndmask_b32_e32 v4, v5, v7, vcc
	v_cndmask_b32_e32 v3, v3, v6, vcc
	v_lshlrev_b32_e32 v2, 24, v2
	v_lshlrev_b32_e32 v3, 20, v3
	v_and_b32_e32 v2, 0x80000000, v2
	v_lshl_add_u32 v4, v4, 23, v51
	v_or3_b32 v3, v2, v4, v3
.LBB4_4325:                             ;   in Loop: Header=BB4_3900 Depth=2
	s_or_b64 exec, exec, s[60:61]
.LBB4_4326:                             ;   in Loop: Header=BB4_3900 Depth=2
	s_or_b64 exec, exec, s[58:59]
.LBB4_4327:                             ;   in Loop: Header=BB4_3900 Depth=2
	s_or_b64 exec, exec, s[20:21]
	v_max_f32_e32 v2, v3, v3
	v_max_f32_e32 v1, v1, v1
	v_min_f32_e32 v3, v1, v2
.LBB4_4328:                             ;   in Loop: Header=BB4_3900 Depth=2
	v_and_b32_sdwa v10, v3, s69 dst_sel:DWORD dst_unused:UNUSED_PAD src0_sel:BYTE_3 src1_sel:DWORD
	v_and_b32_e32 v4, 0x7f800000, v3
	v_mov_b32_e32 v5, v53
	v_and_b32_e32 v52, 0x7fffff, v3
	v_or_b32_e32 v1, 0x7e, v10
	v_cmp_ne_u64_e32 vcc, s[40:41], v[4:5]
	s_and_saveexec_b64 s[20:21], vcc
	s_xor_b64 s[58:59], exec, s[20:21]
	s_cbranch_execz .LBB4_4338
; %bb.4329:                             ;   in Loop: Header=BB4_3900 Depth=2
	v_and_b32_e32 v4, 0x7fffffff, v3
	v_mov_b32_e32 v5, v53
	v_cmp_gt_u64_e32 vcc, s[42:43], v[4:5]
	s_and_saveexec_b64 s[60:61], vcc
	s_cbranch_execz .LBB4_4337
; %bb.4330:                             ;   in Loop: Header=BB4_3900 Depth=2
	v_cmp_ne_u32_e32 vcc, 0, v3
	v_mov_b32_e32 v1, 0
	s_and_saveexec_b64 s[62:63], vcc
	s_cbranch_execz .LBB4_4336
; %bb.4331:                             ;   in Loop: Header=BB4_3900 Depth=2
	v_bfe_u32 v1, v3, 23, 8
	v_sub_u32_e32 v3, 0x79, v1
	v_cmp_gt_u32_e32 vcc, s73, v1
	v_add_u32_e32 v2, 0xffffff81, v1
	v_cndmask_b32_e32 v3, 0, v3, vcc
	v_cmp_eq_u32_e32 vcc, 0, v1
	v_mov_b32_e32 v1, 0xffffff82
	v_cndmask_b32_e32 v1, v2, v1, vcc
	v_mov_b32_e32 v2, 0x78
	v_or_b32_e32 v4, 0x800000, v52
	v_cndmask_b32_e32 v5, v3, v2, vcc
	v_cndmask_b32_e32 v52, v4, v52, vcc
	v_add_u32_e32 v2, 20, v5
	v_lshlrev_b64 v[2:3], v2, -1
	v_add_u32_e32 v4, 19, v5
	v_lshrrev_b64 v[8:9], v5, v[52:53]
	v_not_b32_e32 v3, v3
	v_not_b32_e32 v2, v2
	v_lshlrev_b64 v[6:7], v4, 1
	v_lshrrev_b32_e32 v4, 23, v8
	v_and_b32_e32 v3, 0, v3
	v_and_b32_e32 v2, v52, v2
	v_add3_u32 v4, v5, v1, v4
	v_bfe_u32 v1, v8, 20, 1
	v_add_u32_e32 v1, -1, v1
	v_cmp_eq_u64_e32 vcc, v[2:3], v[6:7]
	v_cndmask_b32_e32 v1, 0, v1, vcc
	v_add_u32_e32 v1, v1, v8
	v_and_b32_e32 v1, 0xfffff, v1
	v_add_co_u32_e32 v2, vcc, v1, v8
	v_add_u32_e32 v11, 6, v4
	v_addc_co_u32_e32 v3, vcc, 0, v9, vcc
	v_cmp_ne_u32_e32 vcc, 0, v11
                                        ; implicit-def: $vgpr1
	s_and_saveexec_b64 s[20:21], vcc
	s_xor_b64 s[20:21], exec, s[20:21]
; %bb.4332:                             ;   in Loop: Header=BB4_3900 Depth=2
	v_cmp_lt_u64_e32 vcc, s[46:47], v[2:3]
	v_add_u32_e32 v1, 7, v4
	v_cndmask_b32_e64 v4, 0, 1, vcc
	v_cndmask_b32_e32 v1, v11, v1, vcc
	v_lshrrev_b64 v[2:3], v4, v[2:3]
; %bb.4333:                             ;   in Loop: Header=BB4_3900 Depth=2
	s_andn2_saveexec_b64 s[20:21], s[20:21]
; %bb.4334:                             ;   in Loop: Header=BB4_3900 Depth=2
	v_bfe_u32 v1, v2, 23, 1
; %bb.4335:                             ;   in Loop: Header=BB4_3900 Depth=2
	s_or_b64 exec, exec, s[20:21]
	v_lshrrev_b64 v[2:3], 20, v[2:3]
	v_cmp_gt_i32_e32 vcc, 16, v1
	v_cndmask_b32_e32 v3, 0, v3, vcc
	v_cndmask_b32_e32 v2, 7, v2, vcc
	v_cmp_eq_u32_e32 vcc, 0, v1
	v_min_i32_e32 v1, 15, v1
	v_cmp_eq_u64_e64 s[20:21], 0, v[2:3]
	v_lshlrev_b32_e32 v1, 3, v1
	v_and_or_b32 v1, v2, 7, v1
	s_and_b64 s[20:21], vcc, s[20:21]
	v_cndmask_b32_e64 v1, v1, 0, s[20:21]
	v_or_b32_e32 v1, v1, v10
.LBB4_4336:                             ;   in Loop: Header=BB4_3900 Depth=2
	s_or_b64 exec, exec, s[62:63]
.LBB4_4337:                             ;   in Loop: Header=BB4_3900 Depth=2
	s_or_b64 exec, exec, s[60:61]
                                        ; implicit-def: $vgpr3
.LBB4_4338:                             ;   in Loop: Header=BB4_3900 Depth=2
	s_andn2_saveexec_b64 s[20:21], s[58:59]
; %bb.4339:                             ;   in Loop: Header=BB4_3900 Depth=2
	v_or_b32_sdwa v2, v3, s71 dst_sel:DWORD dst_unused:UNUSED_PAD src0_sel:BYTE_3 src1_sel:DWORD
	v_cmp_eq_u64_e32 vcc, 0, v[52:53]
	v_cndmask_b32_e32 v1, v2, v1, vcc
; %bb.4340:                             ;   in Loop: Header=BB4_3900 Depth=2
	s_or_b64 exec, exec, s[20:21]
	v_lshrrev_b32_e32 v10, 24, v16
	v_lshrrev_b32_e32 v2, 24, v12
	v_cmp_lt_u32_e64 s[20:21], s45, v16
	s_and_b64 vcc, exec, s[56:57]
	s_cbranch_vccz .LBB4_4354
; %bb.4341:                             ;   in Loop: Header=BB4_3900 Depth=2
	v_mov_b32_e32 v11, 0
	v_mov_b32_e32 v3, 0
	s_and_saveexec_b64 s[58:59], s[20:21]
	s_cbranch_execz .LBB4_4347
; %bb.4342:                             ;   in Loop: Header=BB4_3900 Depth=2
	v_cmp_ne_u32_e32 vcc, s69, v10
	v_bfrev_b32_e32 v3, 1
	s_and_saveexec_b64 s[60:61], vcc
	s_cbranch_execz .LBB4_4346
; %bb.4343:                             ;   in Loop: Header=BB4_3900 Depth=2
	v_bfe_u32 v4, v16, 24, 7
	v_cmp_ne_u32_e32 vcc, s71, v4
	v_mov_b32_e32 v3, 0x7f800001
	s_and_saveexec_b64 s[62:63], vcc
	s_cbranch_execz .LBB4_4345
; %bb.4344:                             ;   in Loop: Header=BB4_3900 Depth=2
	v_and_b32_e32 v3, 7, v10
	v_ffbh_u32_e32 v6, v3
	v_min_u32_e32 v8, 32, v6
	v_subrev_u32_e32 v6, 28, v8
	v_lshlrev_b64 v[6:7], v6, v[10:11]
	v_lshrrev_b32_e32 v5, 3, v4
	v_sub_u32_e32 v7, 29, v8
	v_and_b32_e32 v6, 7, v6
	v_cmp_gt_u32_e32 vcc, 8, v4
	v_cndmask_b32_e32 v4, v5, v7, vcc
	v_cndmask_b32_e32 v3, v3, v6, vcc
	v_lshlrev_b32_e32 v5, 24, v10
	v_lshlrev_b32_e32 v3, 20, v3
	v_and_b32_e32 v5, 0x80000000, v5
	v_lshl_add_u32 v4, v4, 23, v51
	v_or3_b32 v3, v5, v4, v3
.LBB4_4345:                             ;   in Loop: Header=BB4_3900 Depth=2
	s_or_b64 exec, exec, s[62:63]
.LBB4_4346:                             ;   in Loop: Header=BB4_3900 Depth=2
	s_or_b64 exec, exec, s[60:61]
.LBB4_4347:                             ;   in Loop: Header=BB4_3900 Depth=2
	s_or_b64 exec, exec, s[58:59]
	v_cmp_lt_u32_e32 vcc, s45, v12
	s_and_saveexec_b64 s[58:59], vcc
	s_cbranch_execz .LBB4_4353
; %bb.4348:                             ;   in Loop: Header=BB4_3900 Depth=2
	v_cmp_ne_u32_e32 vcc, s69, v2
	v_bfrev_b32_e32 v11, 1
	s_and_saveexec_b64 s[60:61], vcc
	s_cbranch_execz .LBB4_4352
; %bb.4349:                             ;   in Loop: Header=BB4_3900 Depth=2
	v_bfe_u32 v4, v12, 24, 7
	v_cmp_ne_u32_e32 vcc, s71, v4
	v_mov_b32_e32 v11, 0x7f800001
	s_and_saveexec_b64 s[62:63], vcc
	s_cbranch_execz .LBB4_4351
; %bb.4350:                             ;   in Loop: Header=BB4_3900 Depth=2
	v_and_b32_e32 v5, 7, v2
	v_ffbh_u32_e32 v6, v5
	v_min_u32_e32 v9, 32, v6
	v_subrev_u32_e32 v6, 28, v9
	v_lshlrev_b64 v[6:7], v6, v[2:3]
	v_lshrrev_b32_e32 v8, 3, v4
	v_sub_u32_e32 v7, 29, v9
	v_and_b32_e32 v6, 7, v6
	v_cmp_gt_u32_e32 vcc, 8, v4
	v_cndmask_b32_e32 v4, v8, v7, vcc
	v_cndmask_b32_e32 v5, v5, v6, vcc
	v_lshlrev_b32_e32 v6, 24, v2
	v_lshlrev_b32_e32 v5, 20, v5
	v_and_b32_e32 v6, 0x80000000, v6
	v_lshl_add_u32 v4, v4, 23, v51
	v_or3_b32 v11, v6, v4, v5
.LBB4_4351:                             ;   in Loop: Header=BB4_3900 Depth=2
	s_or_b64 exec, exec, s[62:63]
.LBB4_4352:                             ;   in Loop: Header=BB4_3900 Depth=2
	s_or_b64 exec, exec, s[60:61]
.LBB4_4353:                             ;   in Loop: Header=BB4_3900 Depth=2
	s_or_b64 exec, exec, s[58:59]
	v_max_f32_e32 v4, v11, v11
	v_max_f32_e32 v3, v3, v3
	;; [unrolled: 1-line block ×3, first 2 shown]
	s_branch .LBB4_4368
.LBB4_4354:                             ;   in Loop: Header=BB4_3900 Depth=2
                                        ; implicit-def: $vgpr3
	s_cbranch_execz .LBB4_4368
; %bb.4355:                             ;   in Loop: Header=BB4_3900 Depth=2
	v_mov_b32_e32 v11, 0
	v_mov_b32_e32 v3, 0
	s_and_saveexec_b64 s[58:59], s[20:21]
	s_cbranch_execz .LBB4_4361
; %bb.4356:                             ;   in Loop: Header=BB4_3900 Depth=2
	v_cmp_ne_u32_e32 vcc, s69, v10
	v_bfrev_b32_e32 v3, 1
	s_and_saveexec_b64 s[20:21], vcc
	s_cbranch_execz .LBB4_4360
; %bb.4357:                             ;   in Loop: Header=BB4_3900 Depth=2
	v_bfe_u32 v4, v16, 24, 7
	v_cmp_ne_u32_e32 vcc, s71, v4
	v_mov_b32_e32 v3, 0x7f800001
	s_and_saveexec_b64 s[60:61], vcc
	s_cbranch_execz .LBB4_4359
; %bb.4358:                             ;   in Loop: Header=BB4_3900 Depth=2
	v_and_b32_e32 v3, 7, v10
	v_ffbh_u32_e32 v6, v3
	v_min_u32_e32 v8, 32, v6
	v_subrev_u32_e32 v6, 28, v8
	v_lshlrev_b64 v[6:7], v6, v[10:11]
	v_lshrrev_b32_e32 v5, 3, v4
	v_sub_u32_e32 v7, 29, v8
	v_and_b32_e32 v6, 7, v6
	v_cmp_gt_u32_e32 vcc, 8, v4
	v_cndmask_b32_e32 v4, v5, v7, vcc
	v_cndmask_b32_e32 v3, v3, v6, vcc
	v_lshlrev_b32_e32 v5, 24, v10
	v_lshlrev_b32_e32 v3, 20, v3
	v_and_b32_e32 v5, 0x80000000, v5
	v_lshl_add_u32 v4, v4, 23, v51
	v_or3_b32 v3, v5, v4, v3
.LBB4_4359:                             ;   in Loop: Header=BB4_3900 Depth=2
	s_or_b64 exec, exec, s[60:61]
.LBB4_4360:                             ;   in Loop: Header=BB4_3900 Depth=2
	s_or_b64 exec, exec, s[20:21]
.LBB4_4361:                             ;   in Loop: Header=BB4_3900 Depth=2
	s_or_b64 exec, exec, s[58:59]
	v_cmp_lt_u32_e32 vcc, s45, v12
	s_and_saveexec_b64 s[20:21], vcc
	s_cbranch_execz .LBB4_4367
; %bb.4362:                             ;   in Loop: Header=BB4_3900 Depth=2
	v_cmp_ne_u32_e32 vcc, s69, v2
	v_bfrev_b32_e32 v11, 1
	s_and_saveexec_b64 s[58:59], vcc
	s_cbranch_execz .LBB4_4366
; %bb.4363:                             ;   in Loop: Header=BB4_3900 Depth=2
	v_bfe_u32 v4, v12, 24, 7
	v_cmp_ne_u32_e32 vcc, s71, v4
	v_mov_b32_e32 v11, 0x7f800001
	s_and_saveexec_b64 s[60:61], vcc
	s_cbranch_execz .LBB4_4365
; %bb.4364:                             ;   in Loop: Header=BB4_3900 Depth=2
	v_and_b32_e32 v5, 7, v2
	v_ffbh_u32_e32 v6, v5
	v_min_u32_e32 v9, 32, v6
	v_subrev_u32_e32 v6, 28, v9
	v_lshlrev_b64 v[6:7], v6, v[2:3]
	v_lshrrev_b32_e32 v8, 3, v4
	v_sub_u32_e32 v7, 29, v9
	v_and_b32_e32 v6, 7, v6
	v_cmp_gt_u32_e32 vcc, 8, v4
	v_cndmask_b32_e32 v4, v8, v7, vcc
	v_cndmask_b32_e32 v5, v5, v6, vcc
	v_lshlrev_b32_e32 v2, 24, v2
	v_lshlrev_b32_e32 v5, 20, v5
	v_and_b32_e32 v2, 0x80000000, v2
	v_lshl_add_u32 v4, v4, 23, v51
	v_or3_b32 v11, v2, v4, v5
.LBB4_4365:                             ;   in Loop: Header=BB4_3900 Depth=2
	s_or_b64 exec, exec, s[60:61]
.LBB4_4366:                             ;   in Loop: Header=BB4_3900 Depth=2
	s_or_b64 exec, exec, s[58:59]
.LBB4_4367:                             ;   in Loop: Header=BB4_3900 Depth=2
	s_or_b64 exec, exec, s[20:21]
	v_max_f32_e32 v2, v11, v11
	v_max_f32_e32 v3, v3, v3
	v_min_f32_e32 v3, v3, v2
.LBB4_4368:                             ;   in Loop: Header=BB4_3900 Depth=2
	v_and_b32_sdwa v10, v3, s69 dst_sel:DWORD dst_unused:UNUSED_PAD src0_sel:BYTE_3 src1_sel:DWORD
	v_and_b32_e32 v4, 0x7f800000, v3
	v_mov_b32_e32 v5, v53
	v_and_b32_e32 v52, 0x7fffff, v3
	v_or_b32_e32 v48, 0x7e, v10
	v_cmp_ne_u64_e32 vcc, s[40:41], v[4:5]
	s_and_saveexec_b64 s[20:21], vcc
	s_xor_b64 s[58:59], exec, s[20:21]
	s_cbranch_execz .LBB4_4378
; %bb.4369:                             ;   in Loop: Header=BB4_3900 Depth=2
	v_and_b32_e32 v4, 0x7fffffff, v3
	v_mov_b32_e32 v5, v53
	v_cmp_gt_u64_e32 vcc, s[42:43], v[4:5]
	s_and_saveexec_b64 s[60:61], vcc
	s_cbranch_execz .LBB4_4377
; %bb.4370:                             ;   in Loop: Header=BB4_3900 Depth=2
	v_cmp_ne_u32_e32 vcc, 0, v3
	v_mov_b32_e32 v48, 0
	s_and_saveexec_b64 s[62:63], vcc
	s_cbranch_execz .LBB4_4376
; %bb.4371:                             ;   in Loop: Header=BB4_3900 Depth=2
	v_bfe_u32 v2, v3, 23, 8
	v_sub_u32_e32 v4, 0x79, v2
	v_cmp_gt_u32_e32 vcc, s73, v2
	v_add_u32_e32 v3, 0xffffff81, v2
	v_cndmask_b32_e32 v4, 0, v4, vcc
	v_cmp_eq_u32_e32 vcc, 0, v2
	v_mov_b32_e32 v2, 0xffffff82
	v_cndmask_b32_e32 v11, v3, v2, vcc
	v_mov_b32_e32 v2, 0x78
	v_or_b32_e32 v5, 0x800000, v52
	v_cndmask_b32_e32 v4, v4, v2, vcc
	v_cndmask_b32_e32 v52, v5, v52, vcc
	v_add_u32_e32 v2, 20, v4
	v_lshlrev_b64 v[2:3], v2, -1
	v_add_u32_e32 v5, 19, v4
	v_lshrrev_b64 v[8:9], v4, v[52:53]
	v_not_b32_e32 v3, v3
	v_not_b32_e32 v2, v2
	v_lshlrev_b64 v[6:7], v5, 1
	v_lshrrev_b32_e32 v5, 23, v8
	v_and_b32_e32 v3, 0, v3
	v_and_b32_e32 v2, v52, v2
	v_add3_u32 v4, v4, v11, v5
	v_bfe_u32 v5, v8, 20, 1
	v_add_u32_e32 v5, -1, v5
	v_cmp_eq_u64_e32 vcc, v[2:3], v[6:7]
	v_cndmask_b32_e32 v2, 0, v5, vcc
	v_add_u32_e32 v2, v2, v8
	v_and_b32_e32 v2, 0xfffff, v2
	v_add_co_u32_e32 v2, vcc, v2, v8
	v_add_u32_e32 v14, 6, v4
	v_addc_co_u32_e32 v3, vcc, 0, v9, vcc
	v_cmp_ne_u32_e32 vcc, 0, v14
                                        ; implicit-def: $vgpr11
	s_and_saveexec_b64 s[20:21], vcc
	s_xor_b64 s[20:21], exec, s[20:21]
; %bb.4372:                             ;   in Loop: Header=BB4_3900 Depth=2
	v_add_u32_e32 v4, 7, v4
	v_cmp_lt_u64_e32 vcc, s[46:47], v[2:3]
	v_cndmask_b32_e32 v11, v14, v4, vcc
	v_cndmask_b32_e64 v4, 0, 1, vcc
	v_lshrrev_b64 v[2:3], v4, v[2:3]
; %bb.4373:                             ;   in Loop: Header=BB4_3900 Depth=2
	s_andn2_saveexec_b64 s[20:21], s[20:21]
; %bb.4374:                             ;   in Loop: Header=BB4_3900 Depth=2
	v_bfe_u32 v11, v2, 23, 1
; %bb.4375:                             ;   in Loop: Header=BB4_3900 Depth=2
	s_or_b64 exec, exec, s[20:21]
	v_lshrrev_b64 v[2:3], 20, v[2:3]
	v_cmp_gt_i32_e32 vcc, 16, v11
	v_cndmask_b32_e32 v3, 0, v3, vcc
	v_cndmask_b32_e32 v2, 7, v2, vcc
	v_cmp_eq_u64_e64 s[20:21], 0, v[2:3]
	v_min_i32_e32 v3, 15, v11
	v_cmp_eq_u32_e32 vcc, 0, v11
	v_lshlrev_b32_e32 v3, 3, v3
	v_and_or_b32 v2, v2, 7, v3
	s_and_b64 s[20:21], vcc, s[20:21]
	v_cndmask_b32_e64 v2, v2, 0, s[20:21]
	v_or_b32_e32 v48, v2, v10
.LBB4_4376:                             ;   in Loop: Header=BB4_3900 Depth=2
	s_or_b64 exec, exec, s[62:63]
.LBB4_4377:                             ;   in Loop: Header=BB4_3900 Depth=2
	s_or_b64 exec, exec, s[60:61]
                                        ; implicit-def: $vgpr3
.LBB4_4378:                             ;   in Loop: Header=BB4_3900 Depth=2
	s_andn2_saveexec_b64 s[20:21], s[58:59]
; %bb.4379:                             ;   in Loop: Header=BB4_3900 Depth=2
	v_or_b32_sdwa v2, v3, s71 dst_sel:DWORD dst_unused:UNUSED_PAD src0_sel:BYTE_3 src1_sel:DWORD
	v_cmp_eq_u64_e32 vcc, 0, v[52:53]
	v_cndmask_b32_e32 v48, v2, v48, vcc
; %bb.4380:                             ;   in Loop: Header=BB4_3900 Depth=2
	s_or_b64 exec, exec, s[20:21]
	v_mov_b32_e32 v52, v17
	v_mov_b32_e32 v2, v13
	;; [unrolled: 1-line block ×3, first 2 shown]
	v_cmp_ne_u16_sdwa s[20:21], v17, v53 src0_sel:BYTE_0 src1_sel:DWORD
	s_and_b64 vcc, exec, s[56:57]
	s_cbranch_vccz .LBB4_4394
; %bb.4381:                             ;   in Loop: Header=BB4_3900 Depth=2
	v_mov_b32_e32 v11, 0
	v_mov_b32_e32 v10, 0
	s_and_saveexec_b64 s[58:59], s[20:21]
	s_cbranch_execz .LBB4_4387
; %bb.4382:                             ;   in Loop: Header=BB4_3900 Depth=2
	v_cmp_ne_u16_sdwa vcc, v17, s69 src0_sel:BYTE_0 src1_sel:DWORD
	v_bfrev_b32_e32 v10, 1
	s_and_saveexec_b64 s[60:61], vcc
	s_cbranch_execz .LBB4_4386
; %bb.4383:                             ;   in Loop: Header=BB4_3900 Depth=2
	v_and_b32_e32 v4, 0x7f, v17
	v_cmp_ne_u32_e32 vcc, s71, v4
	v_mov_b32_e32 v10, 0x7f800001
	s_and_saveexec_b64 s[62:63], vcc
	s_cbranch_execz .LBB4_4385
; %bb.4384:                             ;   in Loop: Header=BB4_3900 Depth=2
	v_and_b32_e32 v5, 7, v17
	v_ffbh_u32_e32 v5, v5
	v_min_u32_e32 v5, 32, v5
	v_subrev_u32_e32 v7, 28, v5
	v_cmp_gt_u32_e32 vcc, 8, v4
	v_lshrrev_b32_e32 v6, 3, v4
	v_sub_u32_e32 v5, 29, v5
	v_cndmask_b32_e32 v4, 0, v7, vcc
	v_cndmask_b32_e32 v6, v6, v5, vcc
	v_lshlrev_b64 v[4:5], v4, v[52:53]
	v_lshlrev_b32_e32 v4, 20, v4
	v_lshlrev_b32_e32 v5, 24, v52
	v_and_b32_e32 v4, 0x700000, v4
	v_and_b32_e32 v5, 0x80000000, v5
	v_lshl_add_u32 v6, v6, 23, v51
	v_or3_b32 v10, v5, v6, v4
.LBB4_4385:                             ;   in Loop: Header=BB4_3900 Depth=2
	s_or_b64 exec, exec, s[62:63]
.LBB4_4386:                             ;   in Loop: Header=BB4_3900 Depth=2
	s_or_b64 exec, exec, s[60:61]
.LBB4_4387:                             ;   in Loop: Header=BB4_3900 Depth=2
	s_or_b64 exec, exec, s[58:59]
	v_cmp_ne_u16_sdwa vcc, v13, v53 src0_sel:BYTE_0 src1_sel:DWORD
	s_and_saveexec_b64 s[58:59], vcc
	s_cbranch_execz .LBB4_4393
; %bb.4388:                             ;   in Loop: Header=BB4_3900 Depth=2
	v_cmp_ne_u16_sdwa vcc, v13, s69 src0_sel:BYTE_0 src1_sel:DWORD
	v_bfrev_b32_e32 v11, 1
	s_and_saveexec_b64 s[60:61], vcc
	s_cbranch_execz .LBB4_4392
; %bb.4389:                             ;   in Loop: Header=BB4_3900 Depth=2
	v_and_b32_e32 v4, 0x7f, v13
	v_cmp_ne_u32_e32 vcc, s71, v4
	v_mov_b32_e32 v11, 0x7f800001
	s_and_saveexec_b64 s[62:63], vcc
	s_cbranch_execz .LBB4_4391
; %bb.4390:                             ;   in Loop: Header=BB4_3900 Depth=2
	v_and_b32_e32 v5, 7, v13
	v_ffbh_u32_e32 v5, v5
	v_min_u32_e32 v5, 32, v5
	v_subrev_u32_e32 v7, 28, v5
	v_cmp_gt_u32_e32 vcc, 8, v4
	v_lshrrev_b32_e32 v6, 3, v4
	v_sub_u32_e32 v5, 29, v5
	v_cndmask_b32_e32 v4, 0, v7, vcc
	v_cndmask_b32_e32 v6, v6, v5, vcc
	v_lshlrev_b64 v[4:5], v4, v[2:3]
	v_lshlrev_b32_e32 v4, 20, v4
	v_lshlrev_b32_e32 v5, 24, v2
	v_and_b32_e32 v4, 0x700000, v4
	v_and_b32_e32 v5, 0x80000000, v5
	v_lshl_add_u32 v6, v6, 23, v51
	v_or3_b32 v11, v5, v6, v4
.LBB4_4391:                             ;   in Loop: Header=BB4_3900 Depth=2
	s_or_b64 exec, exec, s[62:63]
.LBB4_4392:                             ;   in Loop: Header=BB4_3900 Depth=2
	s_or_b64 exec, exec, s[60:61]
.LBB4_4393:                             ;   in Loop: Header=BB4_3900 Depth=2
	s_or_b64 exec, exec, s[58:59]
	v_max_f32_e32 v4, v11, v11
	v_max_f32_e32 v5, v10, v10
	;; [unrolled: 1-line block ×3, first 2 shown]
	s_branch .LBB4_4408
.LBB4_4394:                             ;   in Loop: Header=BB4_3900 Depth=2
                                        ; implicit-def: $vgpr14
	s_cbranch_execz .LBB4_4408
; %bb.4395:                             ;   in Loop: Header=BB4_3900 Depth=2
	v_mov_b32_e32 v11, 0
	v_mov_b32_e32 v10, 0
	s_and_saveexec_b64 s[58:59], s[20:21]
	s_cbranch_execz .LBB4_4401
; %bb.4396:                             ;   in Loop: Header=BB4_3900 Depth=2
	v_cmp_ne_u16_sdwa vcc, v17, s69 src0_sel:BYTE_0 src1_sel:DWORD
	v_bfrev_b32_e32 v10, 1
	s_and_saveexec_b64 s[20:21], vcc
	s_cbranch_execz .LBB4_4400
; %bb.4397:                             ;   in Loop: Header=BB4_3900 Depth=2
	v_and_b32_e32 v4, 0x7f, v17
	v_cmp_ne_u32_e32 vcc, s71, v4
	v_mov_b32_e32 v10, 0x7f800001
	s_and_saveexec_b64 s[60:61], vcc
	s_cbranch_execz .LBB4_4399
; %bb.4398:                             ;   in Loop: Header=BB4_3900 Depth=2
	v_and_b32_e32 v5, 7, v17
	v_ffbh_u32_e32 v5, v5
	v_min_u32_e32 v5, 32, v5
	v_subrev_u32_e32 v7, 28, v5
	v_cmp_gt_u32_e32 vcc, 8, v4
	v_lshrrev_b32_e32 v6, 3, v4
	v_sub_u32_e32 v5, 29, v5
	v_cndmask_b32_e32 v4, 0, v7, vcc
	v_cndmask_b32_e32 v6, v6, v5, vcc
	v_lshlrev_b64 v[4:5], v4, v[52:53]
	v_lshlrev_b32_e32 v4, 20, v4
	v_lshlrev_b32_e32 v5, 24, v52
	v_and_b32_e32 v4, 0x700000, v4
	v_and_b32_e32 v5, 0x80000000, v5
	v_lshl_add_u32 v6, v6, 23, v51
	v_or3_b32 v10, v5, v6, v4
.LBB4_4399:                             ;   in Loop: Header=BB4_3900 Depth=2
	s_or_b64 exec, exec, s[60:61]
.LBB4_4400:                             ;   in Loop: Header=BB4_3900 Depth=2
	s_or_b64 exec, exec, s[20:21]
.LBB4_4401:                             ;   in Loop: Header=BB4_3900 Depth=2
	s_or_b64 exec, exec, s[58:59]
	v_cmp_ne_u16_sdwa vcc, v13, v53 src0_sel:BYTE_0 src1_sel:DWORD
	s_and_saveexec_b64 s[20:21], vcc
	s_cbranch_execz .LBB4_4407
; %bb.4402:                             ;   in Loop: Header=BB4_3900 Depth=2
	v_cmp_ne_u16_sdwa vcc, v13, s69 src0_sel:BYTE_0 src1_sel:DWORD
	v_bfrev_b32_e32 v11, 1
	s_and_saveexec_b64 s[58:59], vcc
	s_cbranch_execz .LBB4_4406
; %bb.4403:                             ;   in Loop: Header=BB4_3900 Depth=2
	v_and_b32_e32 v4, 0x7f, v13
	v_cmp_ne_u32_e32 vcc, s71, v4
	v_mov_b32_e32 v11, 0x7f800001
	s_and_saveexec_b64 s[60:61], vcc
	s_cbranch_execz .LBB4_4405
; %bb.4404:                             ;   in Loop: Header=BB4_3900 Depth=2
	v_and_b32_e32 v5, 7, v13
	v_ffbh_u32_e32 v5, v5
	v_min_u32_e32 v5, 32, v5
	v_subrev_u32_e32 v7, 28, v5
	v_cmp_gt_u32_e32 vcc, 8, v4
	v_lshrrev_b32_e32 v6, 3, v4
	v_sub_u32_e32 v5, 29, v5
	v_cndmask_b32_e32 v4, 0, v7, vcc
	v_cndmask_b32_e32 v6, v6, v5, vcc
	v_lshlrev_b64 v[4:5], v4, v[2:3]
	v_lshlrev_b32_e32 v3, 20, v4
	v_lshlrev_b32_e32 v4, 24, v2
	v_and_b32_e32 v3, 0x700000, v3
	v_and_b32_e32 v4, 0x80000000, v4
	v_lshl_add_u32 v5, v6, 23, v51
	v_or3_b32 v11, v4, v5, v3
.LBB4_4405:                             ;   in Loop: Header=BB4_3900 Depth=2
	s_or_b64 exec, exec, s[60:61]
.LBB4_4406:                             ;   in Loop: Header=BB4_3900 Depth=2
	s_or_b64 exec, exec, s[58:59]
.LBB4_4407:                             ;   in Loop: Header=BB4_3900 Depth=2
	s_or_b64 exec, exec, s[20:21]
	v_max_f32_e32 v3, v11, v11
	v_max_f32_e32 v4, v10, v10
	v_min_f32_e32 v14, v4, v3
.LBB4_4408:                             ;   in Loop: Header=BB4_3900 Depth=2
	v_and_b32_sdwa v3, v14, s69 dst_sel:DWORD dst_unused:UNUSED_PAD src0_sel:BYTE_3 src1_sel:DWORD
	v_and_b32_e32 v4, 0x7f800000, v14
	v_mov_b32_e32 v5, v53
	v_and_b32_e32 v10, 0x7fffff, v14
	v_mov_b32_e32 v11, v53
	v_or_b32_e32 v49, 0x7e, v3
	v_cmp_ne_u64_e32 vcc, s[40:41], v[4:5]
	s_and_saveexec_b64 s[20:21], vcc
	s_xor_b64 s[58:59], exec, s[20:21]
	s_cbranch_execz .LBB4_4418
; %bb.4409:                             ;   in Loop: Header=BB4_3900 Depth=2
	v_and_b32_e32 v4, 0x7fffffff, v14
	v_mov_b32_e32 v5, v53
	v_cmp_gt_u64_e32 vcc, s[42:43], v[4:5]
	s_and_saveexec_b64 s[60:61], vcc
	s_cbranch_execz .LBB4_4417
; %bb.4410:                             ;   in Loop: Header=BB4_3900 Depth=2
	v_cmp_ne_u32_e32 vcc, 0, v14
	v_mov_b32_e32 v49, 0
	s_and_saveexec_b64 s[62:63], vcc
	s_cbranch_execz .LBB4_4416
; %bb.4411:                             ;   in Loop: Header=BB4_3900 Depth=2
	v_bfe_u32 v4, v14, 23, 8
	v_sub_u32_e32 v6, 0x79, v4
	v_cmp_gt_u32_e32 vcc, s73, v4
	v_add_u32_e32 v5, 0xffffff81, v4
	v_cndmask_b32_e32 v6, 0, v6, vcc
	v_cmp_eq_u32_e32 vcc, 0, v4
	v_mov_b32_e32 v4, 0xffffff82
	v_cndmask_b32_e32 v14, v5, v4, vcc
	v_mov_b32_e32 v4, 0x78
	v_cndmask_b32_e32 v38, v6, v4, vcc
	v_add_u32_e32 v4, 20, v38
	v_or_b32_e32 v7, 0x800000, v10
	v_lshlrev_b64 v[4:5], v4, -1
	v_cndmask_b32_e32 v10, v7, v10, vcc
	v_not_b32_e32 v4, v4
	v_not_b32_e32 v5, v5
	v_and_b32_e32 v6, v10, v4
	v_add_u32_e32 v4, 19, v38
	v_lshrrev_b64 v[10:11], v38, v[10:11]
	v_and_b32_e32 v7, 0, v5
	v_lshlrev_b64 v[8:9], v4, 1
	v_bfe_u32 v5, v10, 20, 1
	v_add_u32_e32 v5, -1, v5
	v_cmp_eq_u64_e32 vcc, v[6:7], v[8:9]
	v_cndmask_b32_e32 v5, 0, v5, vcc
	v_add_u32_e32 v5, v5, v10
	v_lshrrev_b32_e32 v4, 23, v10
	v_and_b32_e32 v5, 0xfffff, v5
	v_add3_u32 v4, v38, v14, v4
	v_add_co_u32_e32 v10, vcc, v5, v10
	v_add_u32_e32 v49, 6, v4
	v_addc_co_u32_e32 v11, vcc, 0, v11, vcc
	v_cmp_ne_u32_e32 vcc, 0, v49
                                        ; implicit-def: $vgpr14
	s_and_saveexec_b64 s[20:21], vcc
	s_xor_b64 s[20:21], exec, s[20:21]
; %bb.4412:                             ;   in Loop: Header=BB4_3900 Depth=2
	v_add_u32_e32 v4, 7, v4
	v_cmp_lt_u64_e32 vcc, s[46:47], v[10:11]
	v_cndmask_b32_e32 v14, v49, v4, vcc
	v_cndmask_b32_e64 v4, 0, 1, vcc
	v_lshrrev_b64 v[10:11], v4, v[10:11]
; %bb.4413:                             ;   in Loop: Header=BB4_3900 Depth=2
	s_andn2_saveexec_b64 s[20:21], s[20:21]
; %bb.4414:                             ;   in Loop: Header=BB4_3900 Depth=2
	v_bfe_u32 v14, v10, 23, 1
; %bb.4415:                             ;   in Loop: Header=BB4_3900 Depth=2
	s_or_b64 exec, exec, s[20:21]
	v_lshrrev_b64 v[4:5], 20, v[10:11]
	v_cmp_gt_i32_e32 vcc, 16, v14
	v_cndmask_b32_e32 v5, 0, v5, vcc
	v_cndmask_b32_e32 v4, 7, v4, vcc
	v_cmp_eq_u64_e64 s[20:21], 0, v[4:5]
	v_min_i32_e32 v5, 15, v14
	v_cmp_eq_u32_e32 vcc, 0, v14
	v_lshlrev_b32_e32 v5, 3, v5
	v_and_or_b32 v4, v4, 7, v5
	s_and_b64 s[20:21], vcc, s[20:21]
	v_cndmask_b32_e64 v4, v4, 0, s[20:21]
	v_or_b32_e32 v49, v4, v3
.LBB4_4416:                             ;   in Loop: Header=BB4_3900 Depth=2
	s_or_b64 exec, exec, s[62:63]
.LBB4_4417:                             ;   in Loop: Header=BB4_3900 Depth=2
	s_or_b64 exec, exec, s[60:61]
                                        ; implicit-def: $vgpr14
                                        ; implicit-def: $vgpr10_vgpr11
.LBB4_4418:                             ;   in Loop: Header=BB4_3900 Depth=2
	s_andn2_saveexec_b64 s[20:21], s[58:59]
; %bb.4419:                             ;   in Loop: Header=BB4_3900 Depth=2
	v_or_b32_sdwa v3, v14, s71 dst_sel:DWORD dst_unused:UNUSED_PAD src0_sel:BYTE_3 src1_sel:DWORD
	v_cmp_eq_u64_e32 vcc, 0, v[10:11]
	v_cndmask_b32_e32 v49, v3, v49, vcc
; %bb.4420:                             ;   in Loop: Header=BB4_3900 Depth=2
	s_or_b64 exec, exec, s[20:21]
	v_lshrrev_b16_e32 v14, 8, v52
	v_lshrrev_b16_e32 v10, 8, v2
	v_cmp_ne_u16_e64 s[20:21], 0, v14
	s_and_b64 vcc, exec, s[56:57]
	s_cbranch_vccz .LBB4_4434
; %bb.4421:                             ;   in Loop: Header=BB4_3900 Depth=2
	v_mov_b32_e32 v11, 0
	v_mov_b32_e32 v3, 0
	s_and_saveexec_b64 s[58:59], s[20:21]
	s_cbranch_execz .LBB4_4427
; %bb.4422:                             ;   in Loop: Header=BB4_3900 Depth=2
	v_cmp_ne_u16_e32 vcc, s69, v14
	v_bfrev_b32_e32 v3, 1
	s_and_saveexec_b64 s[60:61], vcc
	s_cbranch_execz .LBB4_4426
; %bb.4423:                             ;   in Loop: Header=BB4_3900 Depth=2
	v_and_b32_e32 v4, 0x7f, v14
	v_cmp_ne_u32_e32 vcc, s71, v4
	v_mov_b32_e32 v3, 0x7f800001
	s_and_saveexec_b64 s[62:63], vcc
	s_cbranch_execz .LBB4_4425
; %bb.4424:                             ;   in Loop: Header=BB4_3900 Depth=2
	v_and_b32_e32 v3, 7, v14
	v_ffbh_u32_e32 v6, v3
	v_min_u32_e32 v8, 32, v6
	v_subrev_u32_e32 v6, 28, v8
	v_lshlrev_b64 v[6:7], v6, v[14:15]
	v_lshrrev_b32_e32 v5, 3, v4
	v_sub_u32_e32 v7, 29, v8
	v_and_b32_e32 v6, 7, v6
	v_cmp_gt_u32_e32 vcc, 8, v4
	v_cndmask_b32_e32 v4, v5, v7, vcc
	v_cndmask_b32_e32 v3, v3, v6, vcc
	v_lshlrev_b32_e32 v5, 16, v52
	v_lshlrev_b32_e32 v3, 20, v3
	v_and_b32_e32 v5, 0x80000000, v5
	v_lshl_add_u32 v4, v4, 23, v51
	v_or3_b32 v3, v5, v4, v3
.LBB4_4425:                             ;   in Loop: Header=BB4_3900 Depth=2
	s_or_b64 exec, exec, s[62:63]
.LBB4_4426:                             ;   in Loop: Header=BB4_3900 Depth=2
	s_or_b64 exec, exec, s[60:61]
.LBB4_4427:                             ;   in Loop: Header=BB4_3900 Depth=2
	s_or_b64 exec, exec, s[58:59]
	v_cmp_ne_u16_e32 vcc, 0, v10
	s_and_saveexec_b64 s[58:59], vcc
	s_cbranch_execz .LBB4_4433
; %bb.4428:                             ;   in Loop: Header=BB4_3900 Depth=2
	v_cmp_ne_u16_e32 vcc, s69, v10
	v_bfrev_b32_e32 v11, 1
	s_and_saveexec_b64 s[60:61], vcc
	s_cbranch_execz .LBB4_4432
; %bb.4429:                             ;   in Loop: Header=BB4_3900 Depth=2
	v_and_b32_e32 v4, 0x7f, v10
	v_cmp_ne_u32_e32 vcc, s71, v4
	v_mov_b32_e32 v11, 0x7f800001
	s_and_saveexec_b64 s[62:63], vcc
	s_cbranch_execz .LBB4_4431
; %bb.4430:                             ;   in Loop: Header=BB4_3900 Depth=2
	v_and_b32_e32 v5, 7, v10
	v_ffbh_u32_e32 v6, v5
	v_min_u32_e32 v9, 32, v6
	v_subrev_u32_e32 v6, 28, v9
	v_lshlrev_b64 v[6:7], v6, v[10:11]
	v_lshrrev_b32_e32 v8, 3, v4
	v_sub_u32_e32 v7, 29, v9
	v_and_b32_e32 v6, 7, v6
	v_cmp_gt_u32_e32 vcc, 8, v4
	v_cndmask_b32_e32 v4, v8, v7, vcc
	v_cndmask_b32_e32 v5, v5, v6, vcc
	v_lshlrev_b32_e32 v6, 16, v2
	v_lshlrev_b32_e32 v5, 20, v5
	v_and_b32_e32 v6, 0x80000000, v6
	v_lshl_add_u32 v4, v4, 23, v51
	v_or3_b32 v11, v6, v4, v5
.LBB4_4431:                             ;   in Loop: Header=BB4_3900 Depth=2
	s_or_b64 exec, exec, s[62:63]
.LBB4_4432:                             ;   in Loop: Header=BB4_3900 Depth=2
	s_or_b64 exec, exec, s[60:61]
.LBB4_4433:                             ;   in Loop: Header=BB4_3900 Depth=2
	s_or_b64 exec, exec, s[58:59]
	v_max_f32_e32 v4, v11, v11
	v_max_f32_e32 v3, v3, v3
	;; [unrolled: 1-line block ×3, first 2 shown]
	s_branch .LBB4_4448
.LBB4_4434:                             ;   in Loop: Header=BB4_3900 Depth=2
                                        ; implicit-def: $vgpr3
	s_cbranch_execz .LBB4_4448
; %bb.4435:                             ;   in Loop: Header=BB4_3900 Depth=2
	v_mov_b32_e32 v11, 0
	v_mov_b32_e32 v3, 0
	s_and_saveexec_b64 s[58:59], s[20:21]
	s_cbranch_execz .LBB4_4441
; %bb.4436:                             ;   in Loop: Header=BB4_3900 Depth=2
	v_cmp_ne_u16_e32 vcc, s69, v14
	v_bfrev_b32_e32 v3, 1
	s_and_saveexec_b64 s[20:21], vcc
	s_cbranch_execz .LBB4_4440
; %bb.4437:                             ;   in Loop: Header=BB4_3900 Depth=2
	v_and_b32_e32 v4, 0x7f, v14
	v_cmp_ne_u32_e32 vcc, s71, v4
	v_mov_b32_e32 v3, 0x7f800001
	s_and_saveexec_b64 s[60:61], vcc
	s_cbranch_execz .LBB4_4439
; %bb.4438:                             ;   in Loop: Header=BB4_3900 Depth=2
	v_and_b32_e32 v3, 7, v14
	v_ffbh_u32_e32 v6, v3
	v_min_u32_e32 v8, 32, v6
	v_subrev_u32_e32 v6, 28, v8
	v_lshlrev_b64 v[6:7], v6, v[14:15]
	v_lshrrev_b32_e32 v5, 3, v4
	v_sub_u32_e32 v7, 29, v8
	v_and_b32_e32 v6, 7, v6
	v_cmp_gt_u32_e32 vcc, 8, v4
	v_cndmask_b32_e32 v4, v5, v7, vcc
	v_cndmask_b32_e32 v3, v3, v6, vcc
	v_lshlrev_b32_e32 v5, 16, v52
	v_lshlrev_b32_e32 v3, 20, v3
	v_and_b32_e32 v5, 0x80000000, v5
	v_lshl_add_u32 v4, v4, 23, v51
	v_or3_b32 v3, v5, v4, v3
.LBB4_4439:                             ;   in Loop: Header=BB4_3900 Depth=2
	s_or_b64 exec, exec, s[60:61]
.LBB4_4440:                             ;   in Loop: Header=BB4_3900 Depth=2
	s_or_b64 exec, exec, s[20:21]
.LBB4_4441:                             ;   in Loop: Header=BB4_3900 Depth=2
	s_or_b64 exec, exec, s[58:59]
	v_cmp_ne_u16_e32 vcc, 0, v10
	s_and_saveexec_b64 s[20:21], vcc
	s_cbranch_execz .LBB4_4447
; %bb.4442:                             ;   in Loop: Header=BB4_3900 Depth=2
	v_cmp_ne_u16_e32 vcc, s69, v10
	v_bfrev_b32_e32 v11, 1
	s_and_saveexec_b64 s[58:59], vcc
	s_cbranch_execz .LBB4_4446
; %bb.4443:                             ;   in Loop: Header=BB4_3900 Depth=2
	v_and_b32_e32 v4, 0x7f, v10
	v_cmp_ne_u32_e32 vcc, s71, v4
	v_mov_b32_e32 v11, 0x7f800001
	s_and_saveexec_b64 s[60:61], vcc
	s_cbranch_execz .LBB4_4445
; %bb.4444:                             ;   in Loop: Header=BB4_3900 Depth=2
	v_and_b32_e32 v5, 7, v10
	v_ffbh_u32_e32 v6, v5
	v_min_u32_e32 v9, 32, v6
	v_subrev_u32_e32 v6, 28, v9
	v_lshlrev_b64 v[6:7], v6, v[10:11]
	v_lshrrev_b32_e32 v8, 3, v4
	v_sub_u32_e32 v7, 29, v9
	v_and_b32_e32 v6, 7, v6
	v_cmp_gt_u32_e32 vcc, 8, v4
	v_cndmask_b32_e32 v4, v8, v7, vcc
	v_cndmask_b32_e32 v5, v5, v6, vcc
	v_lshlrev_b32_e32 v2, 16, v2
	v_lshlrev_b32_e32 v5, 20, v5
	v_and_b32_e32 v2, 0x80000000, v2
	v_lshl_add_u32 v4, v4, 23, v51
	v_or3_b32 v11, v2, v4, v5
.LBB4_4445:                             ;   in Loop: Header=BB4_3900 Depth=2
	s_or_b64 exec, exec, s[60:61]
.LBB4_4446:                             ;   in Loop: Header=BB4_3900 Depth=2
	s_or_b64 exec, exec, s[58:59]
.LBB4_4447:                             ;   in Loop: Header=BB4_3900 Depth=2
	s_or_b64 exec, exec, s[20:21]
	v_max_f32_e32 v2, v11, v11
	v_max_f32_e32 v3, v3, v3
	v_min_f32_e32 v3, v3, v2
.LBB4_4448:                             ;   in Loop: Header=BB4_3900 Depth=2
	v_and_b32_sdwa v10, v3, s69 dst_sel:DWORD dst_unused:UNUSED_PAD src0_sel:BYTE_3 src1_sel:DWORD
	v_and_b32_e32 v4, 0x7f800000, v3
	v_mov_b32_e32 v5, v53
	v_and_b32_e32 v52, 0x7fffff, v3
	v_or_b32_e32 v11, 0x7e, v10
	v_cmp_ne_u64_e32 vcc, s[40:41], v[4:5]
	s_and_saveexec_b64 s[20:21], vcc
	s_xor_b64 s[58:59], exec, s[20:21]
	s_cbranch_execz .LBB4_4458
; %bb.4449:                             ;   in Loop: Header=BB4_3900 Depth=2
	v_and_b32_e32 v4, 0x7fffffff, v3
	v_mov_b32_e32 v5, v53
	v_cmp_gt_u64_e32 vcc, s[42:43], v[4:5]
	s_and_saveexec_b64 s[60:61], vcc
	s_cbranch_execz .LBB4_4457
; %bb.4450:                             ;   in Loop: Header=BB4_3900 Depth=2
	v_cmp_ne_u32_e32 vcc, 0, v3
	v_mov_b32_e32 v11, 0
	s_and_saveexec_b64 s[62:63], vcc
	s_cbranch_execz .LBB4_4456
; %bb.4451:                             ;   in Loop: Header=BB4_3900 Depth=2
	v_bfe_u32 v2, v3, 23, 8
	v_sub_u32_e32 v4, 0x79, v2
	v_cmp_gt_u32_e32 vcc, s73, v2
	v_add_u32_e32 v3, 0xffffff81, v2
	v_cndmask_b32_e32 v4, 0, v4, vcc
	v_cmp_eq_u32_e32 vcc, 0, v2
	v_mov_b32_e32 v2, 0xffffff82
	v_cndmask_b32_e32 v11, v3, v2, vcc
	v_mov_b32_e32 v2, 0x78
	v_or_b32_e32 v5, 0x800000, v52
	v_cndmask_b32_e32 v4, v4, v2, vcc
	v_cndmask_b32_e32 v52, v5, v52, vcc
	v_add_u32_e32 v2, 20, v4
	v_lshlrev_b64 v[2:3], v2, -1
	v_add_u32_e32 v5, 19, v4
	v_lshrrev_b64 v[8:9], v4, v[52:53]
	v_not_b32_e32 v3, v3
	v_not_b32_e32 v2, v2
	v_lshlrev_b64 v[6:7], v5, 1
	v_lshrrev_b32_e32 v5, 23, v8
	v_and_b32_e32 v3, 0, v3
	v_and_b32_e32 v2, v52, v2
	v_add3_u32 v4, v4, v11, v5
	v_bfe_u32 v5, v8, 20, 1
	v_add_u32_e32 v5, -1, v5
	v_cmp_eq_u64_e32 vcc, v[2:3], v[6:7]
	v_cndmask_b32_e32 v2, 0, v5, vcc
	v_add_u32_e32 v2, v2, v8
	v_and_b32_e32 v2, 0xfffff, v2
	v_add_co_u32_e32 v2, vcc, v2, v8
	v_add_u32_e32 v14, 6, v4
	v_addc_co_u32_e32 v3, vcc, 0, v9, vcc
	v_cmp_ne_u32_e32 vcc, 0, v14
                                        ; implicit-def: $vgpr11
	s_and_saveexec_b64 s[20:21], vcc
	s_xor_b64 s[20:21], exec, s[20:21]
; %bb.4452:                             ;   in Loop: Header=BB4_3900 Depth=2
	v_add_u32_e32 v4, 7, v4
	v_cmp_lt_u64_e32 vcc, s[46:47], v[2:3]
	v_cndmask_b32_e32 v11, v14, v4, vcc
	v_cndmask_b32_e64 v4, 0, 1, vcc
	v_lshrrev_b64 v[2:3], v4, v[2:3]
; %bb.4453:                             ;   in Loop: Header=BB4_3900 Depth=2
	s_andn2_saveexec_b64 s[20:21], s[20:21]
; %bb.4454:                             ;   in Loop: Header=BB4_3900 Depth=2
	v_bfe_u32 v11, v2, 23, 1
; %bb.4455:                             ;   in Loop: Header=BB4_3900 Depth=2
	s_or_b64 exec, exec, s[20:21]
	v_lshrrev_b64 v[2:3], 20, v[2:3]
	v_cmp_gt_i32_e32 vcc, 16, v11
	v_cndmask_b32_e32 v3, 0, v3, vcc
	v_cndmask_b32_e32 v2, 7, v2, vcc
	v_cmp_eq_u64_e64 s[20:21], 0, v[2:3]
	v_min_i32_e32 v3, 15, v11
	v_cmp_eq_u32_e32 vcc, 0, v11
	v_lshlrev_b32_e32 v3, 3, v3
	v_and_or_b32 v2, v2, 7, v3
	s_and_b64 s[20:21], vcc, s[20:21]
	v_cndmask_b32_e64 v2, v2, 0, s[20:21]
	v_or_b32_e32 v11, v2, v10
.LBB4_4456:                             ;   in Loop: Header=BB4_3900 Depth=2
	s_or_b64 exec, exec, s[62:63]
.LBB4_4457:                             ;   in Loop: Header=BB4_3900 Depth=2
	s_or_b64 exec, exec, s[60:61]
                                        ; implicit-def: $vgpr3
.LBB4_4458:                             ;   in Loop: Header=BB4_3900 Depth=2
	s_andn2_saveexec_b64 s[20:21], s[58:59]
; %bb.4459:                             ;   in Loop: Header=BB4_3900 Depth=2
	v_or_b32_sdwa v2, v3, s71 dst_sel:DWORD dst_unused:UNUSED_PAD src0_sel:BYTE_3 src1_sel:DWORD
	v_cmp_eq_u64_e32 vcc, 0, v[52:53]
	v_cndmask_b32_e32 v11, v2, v11, vcc
; %bb.4460:                             ;   in Loop: Header=BB4_3900 Depth=2
	s_or_b64 exec, exec, s[20:21]
	v_lshrrev_b32_e32 v10, 16, v17
	v_lshrrev_b32_e32 v2, 16, v13
	v_cmp_ne_u16_sdwa s[20:21], v10, v53 src0_sel:BYTE_0 src1_sel:DWORD
	s_and_b64 vcc, exec, s[56:57]
	s_cbranch_vccz .LBB4_4474
; %bb.4461:                             ;   in Loop: Header=BB4_3900 Depth=2
	v_mov_b32_e32 v14, 0
	v_mov_b32_e32 v3, 0
	s_and_saveexec_b64 s[58:59], s[20:21]
	s_cbranch_execz .LBB4_4467
; %bb.4462:                             ;   in Loop: Header=BB4_3900 Depth=2
	v_cmp_ne_u16_sdwa vcc, v10, s69 src0_sel:BYTE_0 src1_sel:DWORD
	v_bfrev_b32_e32 v3, 1
	s_and_saveexec_b64 s[60:61], vcc
	s_cbranch_execz .LBB4_4466
; %bb.4463:                             ;   in Loop: Header=BB4_3900 Depth=2
	v_bfe_u32 v4, v17, 16, 7
	v_cmp_ne_u32_e32 vcc, s71, v4
	v_mov_b32_e32 v3, 0x7f800001
	s_and_saveexec_b64 s[62:63], vcc
	s_cbranch_execz .LBB4_4465
; %bb.4464:                             ;   in Loop: Header=BB4_3900 Depth=2
	v_and_b32_e32 v3, 7, v10
	v_ffbh_u32_e32 v6, v3
	v_min_u32_e32 v8, 32, v6
	v_subrev_u32_e32 v6, 28, v8
	v_lshlrev_b64 v[6:7], v6, v[10:11]
	v_lshrrev_b32_e32 v5, 3, v4
	v_sub_u32_e32 v7, 29, v8
	v_and_b32_e32 v6, 7, v6
	v_cmp_gt_u32_e32 vcc, 8, v4
	v_cndmask_b32_e32 v4, v5, v7, vcc
	v_cndmask_b32_e32 v3, v3, v6, vcc
	v_lshlrev_b32_e32 v5, 24, v10
	v_lshlrev_b32_e32 v3, 20, v3
	v_and_b32_e32 v5, 0x80000000, v5
	v_lshl_add_u32 v4, v4, 23, v51
	v_or3_b32 v3, v5, v4, v3
.LBB4_4465:                             ;   in Loop: Header=BB4_3900 Depth=2
	s_or_b64 exec, exec, s[62:63]
.LBB4_4466:                             ;   in Loop: Header=BB4_3900 Depth=2
	s_or_b64 exec, exec, s[60:61]
.LBB4_4467:                             ;   in Loop: Header=BB4_3900 Depth=2
	s_or_b64 exec, exec, s[58:59]
	v_cmp_ne_u16_sdwa vcc, v2, v53 src0_sel:BYTE_0 src1_sel:DWORD
	s_and_saveexec_b64 s[58:59], vcc
	s_cbranch_execz .LBB4_4473
; %bb.4468:                             ;   in Loop: Header=BB4_3900 Depth=2
	v_cmp_ne_u16_sdwa vcc, v2, s69 src0_sel:BYTE_0 src1_sel:DWORD
	v_bfrev_b32_e32 v14, 1
	s_and_saveexec_b64 s[60:61], vcc
	s_cbranch_execz .LBB4_4472
; %bb.4469:                             ;   in Loop: Header=BB4_3900 Depth=2
	v_bfe_u32 v4, v13, 16, 7
	v_cmp_ne_u32_e32 vcc, s71, v4
	v_mov_b32_e32 v14, 0x7f800001
	s_and_saveexec_b64 s[62:63], vcc
	s_cbranch_execz .LBB4_4471
; %bb.4470:                             ;   in Loop: Header=BB4_3900 Depth=2
	v_and_b32_e32 v5, 7, v2
	v_ffbh_u32_e32 v6, v5
	v_min_u32_e32 v9, 32, v6
	v_subrev_u32_e32 v6, 28, v9
	v_lshlrev_b64 v[6:7], v6, v[2:3]
	v_lshrrev_b32_e32 v8, 3, v4
	v_sub_u32_e32 v7, 29, v9
	v_and_b32_e32 v6, 7, v6
	v_cmp_gt_u32_e32 vcc, 8, v4
	v_cndmask_b32_e32 v4, v8, v7, vcc
	v_cndmask_b32_e32 v5, v5, v6, vcc
	v_lshlrev_b32_e32 v6, 24, v2
	v_lshlrev_b32_e32 v5, 20, v5
	v_and_b32_e32 v6, 0x80000000, v6
	v_lshl_add_u32 v4, v4, 23, v51
	v_or3_b32 v14, v6, v4, v5
.LBB4_4471:                             ;   in Loop: Header=BB4_3900 Depth=2
	s_or_b64 exec, exec, s[62:63]
.LBB4_4472:                             ;   in Loop: Header=BB4_3900 Depth=2
	s_or_b64 exec, exec, s[60:61]
.LBB4_4473:                             ;   in Loop: Header=BB4_3900 Depth=2
	s_or_b64 exec, exec, s[58:59]
	v_max_f32_e32 v4, v14, v14
	v_max_f32_e32 v3, v3, v3
	v_max_f32_e32 v3, v3, v4
	s_branch .LBB4_4488
.LBB4_4474:                             ;   in Loop: Header=BB4_3900 Depth=2
                                        ; implicit-def: $vgpr3
	s_cbranch_execz .LBB4_4488
; %bb.4475:                             ;   in Loop: Header=BB4_3900 Depth=2
	v_mov_b32_e32 v14, 0
	v_mov_b32_e32 v3, 0
	s_and_saveexec_b64 s[58:59], s[20:21]
	s_cbranch_execz .LBB4_4481
; %bb.4476:                             ;   in Loop: Header=BB4_3900 Depth=2
	v_cmp_ne_u16_sdwa vcc, v10, s69 src0_sel:BYTE_0 src1_sel:DWORD
	v_bfrev_b32_e32 v3, 1
	s_and_saveexec_b64 s[20:21], vcc
	s_cbranch_execz .LBB4_4480
; %bb.4477:                             ;   in Loop: Header=BB4_3900 Depth=2
	v_bfe_u32 v4, v17, 16, 7
	v_cmp_ne_u32_e32 vcc, s71, v4
	v_mov_b32_e32 v3, 0x7f800001
	s_and_saveexec_b64 s[60:61], vcc
	s_cbranch_execz .LBB4_4479
; %bb.4478:                             ;   in Loop: Header=BB4_3900 Depth=2
	v_and_b32_e32 v3, 7, v10
	v_ffbh_u32_e32 v6, v3
	v_min_u32_e32 v8, 32, v6
	v_subrev_u32_e32 v6, 28, v8
	v_lshlrev_b64 v[6:7], v6, v[10:11]
	v_lshrrev_b32_e32 v5, 3, v4
	v_sub_u32_e32 v7, 29, v8
	v_and_b32_e32 v6, 7, v6
	v_cmp_gt_u32_e32 vcc, 8, v4
	v_cndmask_b32_e32 v4, v5, v7, vcc
	v_cndmask_b32_e32 v3, v3, v6, vcc
	v_lshlrev_b32_e32 v5, 24, v10
	v_lshlrev_b32_e32 v3, 20, v3
	v_and_b32_e32 v5, 0x80000000, v5
	v_lshl_add_u32 v4, v4, 23, v51
	v_or3_b32 v3, v5, v4, v3
.LBB4_4479:                             ;   in Loop: Header=BB4_3900 Depth=2
	s_or_b64 exec, exec, s[60:61]
.LBB4_4480:                             ;   in Loop: Header=BB4_3900 Depth=2
	s_or_b64 exec, exec, s[20:21]
.LBB4_4481:                             ;   in Loop: Header=BB4_3900 Depth=2
	s_or_b64 exec, exec, s[58:59]
	v_cmp_ne_u16_sdwa vcc, v2, v53 src0_sel:BYTE_0 src1_sel:DWORD
	s_and_saveexec_b64 s[20:21], vcc
	s_cbranch_execz .LBB4_4487
; %bb.4482:                             ;   in Loop: Header=BB4_3900 Depth=2
	v_cmp_ne_u16_sdwa vcc, v2, s69 src0_sel:BYTE_0 src1_sel:DWORD
	v_bfrev_b32_e32 v14, 1
	s_and_saveexec_b64 s[58:59], vcc
	s_cbranch_execz .LBB4_4486
; %bb.4483:                             ;   in Loop: Header=BB4_3900 Depth=2
	v_bfe_u32 v4, v13, 16, 7
	v_cmp_ne_u32_e32 vcc, s71, v4
	v_mov_b32_e32 v14, 0x7f800001
	s_and_saveexec_b64 s[60:61], vcc
	s_cbranch_execz .LBB4_4485
; %bb.4484:                             ;   in Loop: Header=BB4_3900 Depth=2
	v_and_b32_e32 v5, 7, v2
	v_ffbh_u32_e32 v6, v5
	v_min_u32_e32 v9, 32, v6
	v_subrev_u32_e32 v6, 28, v9
	v_lshlrev_b64 v[6:7], v6, v[2:3]
	v_lshrrev_b32_e32 v8, 3, v4
	v_sub_u32_e32 v7, 29, v9
	v_and_b32_e32 v6, 7, v6
	v_cmp_gt_u32_e32 vcc, 8, v4
	v_cndmask_b32_e32 v4, v8, v7, vcc
	v_cndmask_b32_e32 v5, v5, v6, vcc
	v_lshlrev_b32_e32 v2, 24, v2
	v_lshlrev_b32_e32 v5, 20, v5
	v_and_b32_e32 v2, 0x80000000, v2
	v_lshl_add_u32 v4, v4, 23, v51
	v_or3_b32 v14, v2, v4, v5
.LBB4_4485:                             ;   in Loop: Header=BB4_3900 Depth=2
	s_or_b64 exec, exec, s[60:61]
.LBB4_4486:                             ;   in Loop: Header=BB4_3900 Depth=2
	s_or_b64 exec, exec, s[58:59]
.LBB4_4487:                             ;   in Loop: Header=BB4_3900 Depth=2
	s_or_b64 exec, exec, s[20:21]
	v_max_f32_e32 v2, v14, v14
	v_max_f32_e32 v3, v3, v3
	v_min_f32_e32 v3, v3, v2
.LBB4_4488:                             ;   in Loop: Header=BB4_3900 Depth=2
	v_and_b32_sdwa v10, v3, s69 dst_sel:DWORD dst_unused:UNUSED_PAD src0_sel:BYTE_3 src1_sel:DWORD
	v_and_b32_e32 v4, 0x7f800000, v3
	v_mov_b32_e32 v5, v53
	v_and_b32_e32 v52, 0x7fffff, v3
	v_or_b32_e32 v14, 0x7e, v10
	v_cmp_ne_u64_e32 vcc, s[40:41], v[4:5]
	s_and_saveexec_b64 s[20:21], vcc
	s_xor_b64 s[58:59], exec, s[20:21]
	s_cbranch_execz .LBB4_4498
; %bb.4489:                             ;   in Loop: Header=BB4_3900 Depth=2
	v_and_b32_e32 v4, 0x7fffffff, v3
	v_mov_b32_e32 v5, v53
	v_cmp_gt_u64_e32 vcc, s[42:43], v[4:5]
	s_and_saveexec_b64 s[60:61], vcc
	s_cbranch_execz .LBB4_4497
; %bb.4490:                             ;   in Loop: Header=BB4_3900 Depth=2
	v_cmp_ne_u32_e32 vcc, 0, v3
	v_mov_b32_e32 v14, 0
	s_and_saveexec_b64 s[62:63], vcc
	s_cbranch_execz .LBB4_4496
; %bb.4491:                             ;   in Loop: Header=BB4_3900 Depth=2
	v_bfe_u32 v2, v3, 23, 8
	v_sub_u32_e32 v4, 0x79, v2
	v_cmp_gt_u32_e32 vcc, s73, v2
	v_add_u32_e32 v3, 0xffffff81, v2
	v_cndmask_b32_e32 v4, 0, v4, vcc
	v_cmp_eq_u32_e32 vcc, 0, v2
	v_mov_b32_e32 v2, 0xffffff82
	v_cndmask_b32_e32 v14, v3, v2, vcc
	v_mov_b32_e32 v2, 0x78
	v_or_b32_e32 v5, 0x800000, v52
	v_cndmask_b32_e32 v4, v4, v2, vcc
	v_cndmask_b32_e32 v52, v5, v52, vcc
	v_add_u32_e32 v2, 20, v4
	v_lshlrev_b64 v[2:3], v2, -1
	v_add_u32_e32 v5, 19, v4
	v_lshrrev_b64 v[8:9], v4, v[52:53]
	v_not_b32_e32 v3, v3
	v_not_b32_e32 v2, v2
	v_lshlrev_b64 v[6:7], v5, 1
	v_lshrrev_b32_e32 v5, 23, v8
	v_and_b32_e32 v3, 0, v3
	v_and_b32_e32 v2, v52, v2
	v_add3_u32 v4, v4, v14, v5
	v_bfe_u32 v5, v8, 20, 1
	v_add_u32_e32 v5, -1, v5
	v_cmp_eq_u64_e32 vcc, v[2:3], v[6:7]
	v_cndmask_b32_e32 v2, 0, v5, vcc
	v_add_u32_e32 v2, v2, v8
	v_and_b32_e32 v2, 0xfffff, v2
	v_add_co_u32_e32 v2, vcc, v2, v8
	v_add_u32_e32 v52, 6, v4
	v_addc_co_u32_e32 v3, vcc, 0, v9, vcc
	v_cmp_ne_u32_e32 vcc, 0, v52
                                        ; implicit-def: $vgpr14
	s_and_saveexec_b64 s[20:21], vcc
	s_xor_b64 s[20:21], exec, s[20:21]
; %bb.4492:                             ;   in Loop: Header=BB4_3900 Depth=2
	v_add_u32_e32 v4, 7, v4
	v_cmp_lt_u64_e32 vcc, s[46:47], v[2:3]
	v_cndmask_b32_e32 v14, v52, v4, vcc
	v_cndmask_b32_e64 v4, 0, 1, vcc
	v_lshrrev_b64 v[2:3], v4, v[2:3]
; %bb.4493:                             ;   in Loop: Header=BB4_3900 Depth=2
	s_andn2_saveexec_b64 s[20:21], s[20:21]
; %bb.4494:                             ;   in Loop: Header=BB4_3900 Depth=2
	v_bfe_u32 v14, v2, 23, 1
; %bb.4495:                             ;   in Loop: Header=BB4_3900 Depth=2
	s_or_b64 exec, exec, s[20:21]
	v_lshrrev_b64 v[2:3], 20, v[2:3]
	v_cmp_gt_i32_e32 vcc, 16, v14
	v_cndmask_b32_e32 v3, 0, v3, vcc
	v_cndmask_b32_e32 v2, 7, v2, vcc
	v_cmp_eq_u64_e64 s[20:21], 0, v[2:3]
	v_min_i32_e32 v3, 15, v14
	v_lshlrev_b32_e32 v3, 3, v3
	v_cmp_eq_u32_e32 vcc, 0, v14
	v_and_b32_e32 v3, 0xf8, v3
	v_and_or_b32 v2, v2, 7, v3
	s_and_b64 s[20:21], vcc, s[20:21]
	v_cndmask_b32_e64 v2, v2, 0, s[20:21]
	v_or_b32_e32 v14, v2, v10
.LBB4_4496:                             ;   in Loop: Header=BB4_3900 Depth=2
	s_or_b64 exec, exec, s[62:63]
.LBB4_4497:                             ;   in Loop: Header=BB4_3900 Depth=2
	s_or_b64 exec, exec, s[60:61]
                                        ; implicit-def: $vgpr3
.LBB4_4498:                             ;   in Loop: Header=BB4_3900 Depth=2
	s_andn2_saveexec_b64 s[20:21], s[58:59]
; %bb.4499:                             ;   in Loop: Header=BB4_3900 Depth=2
	v_or_b32_sdwa v2, v3, s71 dst_sel:DWORD dst_unused:UNUSED_PAD src0_sel:BYTE_3 src1_sel:DWORD
	v_cmp_eq_u64_e32 vcc, 0, v[52:53]
	v_cndmask_b32_e32 v14, v2, v14, vcc
; %bb.4500:                             ;   in Loop: Header=BB4_3900 Depth=2
	s_or_b64 exec, exec, s[20:21]
	v_lshrrev_b32_e32 v10, 24, v17
	v_lshrrev_b32_e32 v2, 24, v13
	v_cmp_lt_u64_e64 s[20:21], s[44:45], v[16:17]
	s_and_b64 vcc, exec, s[56:57]
	s_cbranch_vccz .LBB4_4514
; %bb.4501:                             ;   in Loop: Header=BB4_3900 Depth=2
	v_mov_b32_e32 v16, 0
	v_mov_b32_e32 v3, 0
	s_and_saveexec_b64 s[58:59], s[20:21]
	s_cbranch_execz .LBB4_4507
; %bb.4502:                             ;   in Loop: Header=BB4_3900 Depth=2
	v_cmp_ne_u32_e32 vcc, s69, v10
	v_bfrev_b32_e32 v3, 1
	s_and_saveexec_b64 s[60:61], vcc
	s_cbranch_execz .LBB4_4506
; %bb.4503:                             ;   in Loop: Header=BB4_3900 Depth=2
	v_bfe_u32 v4, v17, 24, 7
	v_cmp_ne_u32_e32 vcc, s71, v4
	v_mov_b32_e32 v3, 0x7f800001
	s_and_saveexec_b64 s[62:63], vcc
	s_cbranch_execz .LBB4_4505
; %bb.4504:                             ;   in Loop: Header=BB4_3900 Depth=2
	v_and_b32_e32 v3, 7, v10
	v_ffbh_u32_e32 v6, v3
	v_min_u32_e32 v8, 32, v6
	v_subrev_u32_e32 v6, 28, v8
	v_lshlrev_b64 v[6:7], v6, v[10:11]
	v_lshrrev_b32_e32 v5, 3, v4
	v_sub_u32_e32 v7, 29, v8
	v_and_b32_e32 v6, 7, v6
	v_cmp_gt_u32_e32 vcc, 8, v4
	v_cndmask_b32_e32 v4, v5, v7, vcc
	v_cndmask_b32_e32 v3, v3, v6, vcc
	v_lshlrev_b32_e32 v5, 24, v10
	v_lshlrev_b32_e32 v3, 20, v3
	v_and_b32_e32 v5, 0x80000000, v5
	v_lshl_add_u32 v4, v4, 23, v51
	v_or3_b32 v3, v5, v4, v3
.LBB4_4505:                             ;   in Loop: Header=BB4_3900 Depth=2
	s_or_b64 exec, exec, s[62:63]
.LBB4_4506:                             ;   in Loop: Header=BB4_3900 Depth=2
	s_or_b64 exec, exec, s[60:61]
.LBB4_4507:                             ;   in Loop: Header=BB4_3900 Depth=2
	s_or_b64 exec, exec, s[58:59]
	v_cmp_lt_u64_e32 vcc, s[44:45], v[12:13]
	s_and_saveexec_b64 s[58:59], vcc
	s_cbranch_execz .LBB4_4513
; %bb.4508:                             ;   in Loop: Header=BB4_3900 Depth=2
	v_cmp_ne_u32_e32 vcc, s69, v2
	v_bfrev_b32_e32 v16, 1
	s_and_saveexec_b64 s[60:61], vcc
	s_cbranch_execz .LBB4_4512
; %bb.4509:                             ;   in Loop: Header=BB4_3900 Depth=2
	v_bfe_u32 v4, v13, 24, 7
	v_cmp_ne_u32_e32 vcc, s71, v4
	v_mov_b32_e32 v16, 0x7f800001
	s_and_saveexec_b64 s[62:63], vcc
	s_cbranch_execz .LBB4_4511
; %bb.4510:                             ;   in Loop: Header=BB4_3900 Depth=2
	v_and_b32_e32 v5, 7, v2
	v_ffbh_u32_e32 v6, v5
	v_min_u32_e32 v9, 32, v6
	v_subrev_u32_e32 v6, 28, v9
	v_lshlrev_b64 v[6:7], v6, v[2:3]
	v_lshrrev_b32_e32 v8, 3, v4
	v_sub_u32_e32 v7, 29, v9
	v_and_b32_e32 v6, 7, v6
	v_cmp_gt_u32_e32 vcc, 8, v4
	v_cndmask_b32_e32 v4, v8, v7, vcc
	v_cndmask_b32_e32 v5, v5, v6, vcc
	v_lshlrev_b32_e32 v6, 24, v2
	v_lshlrev_b32_e32 v5, 20, v5
	v_and_b32_e32 v6, 0x80000000, v6
	v_lshl_add_u32 v4, v4, 23, v51
	v_or3_b32 v16, v6, v4, v5
.LBB4_4511:                             ;   in Loop: Header=BB4_3900 Depth=2
	s_or_b64 exec, exec, s[62:63]
.LBB4_4512:                             ;   in Loop: Header=BB4_3900 Depth=2
	s_or_b64 exec, exec, s[60:61]
.LBB4_4513:                             ;   in Loop: Header=BB4_3900 Depth=2
	s_or_b64 exec, exec, s[58:59]
	v_max_f32_e32 v4, v16, v16
	v_max_f32_e32 v3, v3, v3
	;; [unrolled: 1-line block ×3, first 2 shown]
	s_branch .LBB4_4528
.LBB4_4514:                             ;   in Loop: Header=BB4_3900 Depth=2
                                        ; implicit-def: $vgpr3
	s_cbranch_execz .LBB4_4528
; %bb.4515:                             ;   in Loop: Header=BB4_3900 Depth=2
	v_mov_b32_e32 v16, 0
	v_mov_b32_e32 v3, 0
	s_and_saveexec_b64 s[58:59], s[20:21]
	s_cbranch_execz .LBB4_4521
; %bb.4516:                             ;   in Loop: Header=BB4_3900 Depth=2
	v_cmp_ne_u32_e32 vcc, s69, v10
	v_bfrev_b32_e32 v3, 1
	s_and_saveexec_b64 s[20:21], vcc
	s_cbranch_execz .LBB4_4520
; %bb.4517:                             ;   in Loop: Header=BB4_3900 Depth=2
	v_bfe_u32 v4, v17, 24, 7
	v_cmp_ne_u32_e32 vcc, s71, v4
	v_mov_b32_e32 v3, 0x7f800001
	s_and_saveexec_b64 s[60:61], vcc
	s_cbranch_execz .LBB4_4519
; %bb.4518:                             ;   in Loop: Header=BB4_3900 Depth=2
	v_and_b32_e32 v3, 7, v10
	v_ffbh_u32_e32 v6, v3
	v_min_u32_e32 v8, 32, v6
	v_subrev_u32_e32 v6, 28, v8
	v_lshlrev_b64 v[6:7], v6, v[10:11]
	v_lshrrev_b32_e32 v5, 3, v4
	v_sub_u32_e32 v7, 29, v8
	v_and_b32_e32 v6, 7, v6
	v_cmp_gt_u32_e32 vcc, 8, v4
	v_cndmask_b32_e32 v4, v5, v7, vcc
	v_cndmask_b32_e32 v3, v3, v6, vcc
	v_lshlrev_b32_e32 v5, 24, v10
	v_lshlrev_b32_e32 v3, 20, v3
	v_and_b32_e32 v5, 0x80000000, v5
	v_lshl_add_u32 v4, v4, 23, v51
	v_or3_b32 v3, v5, v4, v3
.LBB4_4519:                             ;   in Loop: Header=BB4_3900 Depth=2
	s_or_b64 exec, exec, s[60:61]
.LBB4_4520:                             ;   in Loop: Header=BB4_3900 Depth=2
	s_or_b64 exec, exec, s[20:21]
.LBB4_4521:                             ;   in Loop: Header=BB4_3900 Depth=2
	s_or_b64 exec, exec, s[58:59]
	v_cmp_lt_u64_e32 vcc, s[44:45], v[12:13]
	s_and_saveexec_b64 s[20:21], vcc
	s_cbranch_execz .LBB4_4527
; %bb.4522:                             ;   in Loop: Header=BB4_3900 Depth=2
	v_cmp_ne_u32_e32 vcc, s69, v2
	v_bfrev_b32_e32 v16, 1
	s_and_saveexec_b64 s[58:59], vcc
	s_cbranch_execz .LBB4_4526
; %bb.4523:                             ;   in Loop: Header=BB4_3900 Depth=2
	v_bfe_u32 v4, v13, 24, 7
	v_cmp_ne_u32_e32 vcc, s71, v4
	v_mov_b32_e32 v16, 0x7f800001
	s_and_saveexec_b64 s[60:61], vcc
	s_cbranch_execz .LBB4_4525
; %bb.4524:                             ;   in Loop: Header=BB4_3900 Depth=2
	v_and_b32_e32 v5, 7, v2
	v_ffbh_u32_e32 v6, v5
	v_min_u32_e32 v9, 32, v6
	v_subrev_u32_e32 v6, 28, v9
	v_lshlrev_b64 v[6:7], v6, v[2:3]
	v_lshrrev_b32_e32 v8, 3, v4
	v_sub_u32_e32 v7, 29, v9
	v_and_b32_e32 v6, 7, v6
	v_cmp_gt_u32_e32 vcc, 8, v4
	v_cndmask_b32_e32 v4, v8, v7, vcc
	v_cndmask_b32_e32 v5, v5, v6, vcc
	v_lshlrev_b32_e32 v2, 24, v2
	v_lshlrev_b32_e32 v5, 20, v5
	v_and_b32_e32 v2, 0x80000000, v2
	v_lshl_add_u32 v4, v4, 23, v51
	v_or3_b32 v16, v2, v4, v5
.LBB4_4525:                             ;   in Loop: Header=BB4_3900 Depth=2
	s_or_b64 exec, exec, s[60:61]
.LBB4_4526:                             ;   in Loop: Header=BB4_3900 Depth=2
	s_or_b64 exec, exec, s[58:59]
.LBB4_4527:                             ;   in Loop: Header=BB4_3900 Depth=2
	s_or_b64 exec, exec, s[20:21]
	v_max_f32_e32 v2, v16, v16
	v_max_f32_e32 v3, v3, v3
	v_min_f32_e32 v3, v3, v2
.LBB4_4528:                             ;   in Loop: Header=BB4_3900 Depth=2
	v_and_b32_sdwa v10, v3, s69 dst_sel:DWORD dst_unused:UNUSED_PAD src0_sel:BYTE_3 src1_sel:DWORD
	v_and_b32_e32 v4, 0x7f800000, v3
	v_mov_b32_e32 v5, v53
	v_and_b32_e32 v52, 0x7fffff, v3
	v_or_b32_e32 v2, 0x7e, v10
	v_cmp_ne_u64_e32 vcc, s[40:41], v[4:5]
	s_and_saveexec_b64 s[20:21], vcc
	s_xor_b64 s[58:59], exec, s[20:21]
	s_cbranch_execz .LBB4_4538
; %bb.4529:                             ;   in Loop: Header=BB4_3900 Depth=2
	v_and_b32_e32 v4, 0x7fffffff, v3
	v_mov_b32_e32 v5, v53
	v_cmp_gt_u64_e32 vcc, s[42:43], v[4:5]
	s_and_saveexec_b64 s[60:61], vcc
	s_cbranch_execz .LBB4_4537
; %bb.4530:                             ;   in Loop: Header=BB4_3900 Depth=2
	v_cmp_ne_u32_e32 vcc, 0, v3
	v_mov_b32_e32 v2, 0
	s_and_saveexec_b64 s[62:63], vcc
	s_cbranch_execz .LBB4_4536
; %bb.4531:                             ;   in Loop: Header=BB4_3900 Depth=2
	v_bfe_u32 v2, v3, 23, 8
	v_sub_u32_e32 v4, 0x79, v2
	v_cmp_gt_u32_e32 vcc, s73, v2
	v_add_u32_e32 v3, 0xffffff81, v2
	v_cndmask_b32_e32 v4, 0, v4, vcc
	v_cmp_eq_u32_e32 vcc, 0, v2
	v_mov_b32_e32 v2, 0xffffff82
	v_cndmask_b32_e32 v12, v3, v2, vcc
	v_mov_b32_e32 v2, 0x78
	v_or_b32_e32 v5, 0x800000, v52
	v_cndmask_b32_e32 v4, v4, v2, vcc
	v_cndmask_b32_e32 v52, v5, v52, vcc
	v_add_u32_e32 v2, 20, v4
	v_lshlrev_b64 v[2:3], v2, -1
	v_add_u32_e32 v5, 19, v4
	v_lshrrev_b64 v[8:9], v4, v[52:53]
	v_not_b32_e32 v3, v3
	v_not_b32_e32 v2, v2
	v_lshlrev_b64 v[6:7], v5, 1
	v_lshrrev_b32_e32 v5, 23, v8
	v_and_b32_e32 v3, 0, v3
	v_and_b32_e32 v2, v52, v2
	v_add3_u32 v4, v4, v12, v5
	v_bfe_u32 v5, v8, 20, 1
	v_add_u32_e32 v5, -1, v5
	v_cmp_eq_u64_e32 vcc, v[2:3], v[6:7]
	v_cndmask_b32_e32 v2, 0, v5, vcc
	v_add_u32_e32 v2, v2, v8
	v_and_b32_e32 v2, 0xfffff, v2
	v_add_co_u32_e32 v2, vcc, v2, v8
	v_add_u32_e32 v13, 6, v4
	v_addc_co_u32_e32 v3, vcc, 0, v9, vcc
	v_cmp_ne_u32_e32 vcc, 0, v13
                                        ; implicit-def: $vgpr12
	s_and_saveexec_b64 s[20:21], vcc
	s_xor_b64 s[20:21], exec, s[20:21]
; %bb.4532:                             ;   in Loop: Header=BB4_3900 Depth=2
	v_add_u32_e32 v4, 7, v4
	v_cmp_lt_u64_e32 vcc, s[46:47], v[2:3]
	v_cndmask_b32_e32 v12, v13, v4, vcc
	v_cndmask_b32_e64 v4, 0, 1, vcc
	v_lshrrev_b64 v[2:3], v4, v[2:3]
; %bb.4533:                             ;   in Loop: Header=BB4_3900 Depth=2
	s_andn2_saveexec_b64 s[20:21], s[20:21]
; %bb.4534:                             ;   in Loop: Header=BB4_3900 Depth=2
	v_bfe_u32 v12, v2, 23, 1
; %bb.4535:                             ;   in Loop: Header=BB4_3900 Depth=2
	s_or_b64 exec, exec, s[20:21]
	v_lshrrev_b64 v[2:3], 20, v[2:3]
	v_cmp_gt_i32_e32 vcc, 16, v12
	v_cndmask_b32_e32 v3, 0, v3, vcc
	v_cndmask_b32_e32 v2, 7, v2, vcc
	v_cmp_eq_u64_e64 s[20:21], 0, v[2:3]
	v_min_i32_e32 v3, 15, v12
	v_lshlrev_b32_e32 v3, 3, v3
	v_cmp_eq_u32_e32 vcc, 0, v12
	v_and_b32_e32 v3, 0xf8, v3
	v_and_or_b32 v2, v2, 7, v3
	s_and_b64 s[20:21], vcc, s[20:21]
	v_cndmask_b32_e64 v2, v2, 0, s[20:21]
	v_or_b32_e32 v2, v2, v10
.LBB4_4536:                             ;   in Loop: Header=BB4_3900 Depth=2
	s_or_b64 exec, exec, s[62:63]
.LBB4_4537:                             ;   in Loop: Header=BB4_3900 Depth=2
	s_or_b64 exec, exec, s[60:61]
                                        ; implicit-def: $vgpr3
.LBB4_4538:                             ;   in Loop: Header=BB4_3900 Depth=2
	s_andn2_saveexec_b64 s[20:21], s[58:59]
	s_cbranch_execz .LBB4_3899
; %bb.4539:                             ;   in Loop: Header=BB4_3900 Depth=2
	v_or_b32_sdwa v3, v3, s71 dst_sel:DWORD dst_unused:UNUSED_PAD src0_sel:BYTE_3 src1_sel:DWORD
	v_cmp_eq_u64_e32 vcc, 0, v[52:53]
	v_cndmask_b32_e32 v2, v3, v2, vcc
	s_branch .LBB4_3899
.LBB4_4540:                             ;   in Loop: Header=BB4_2542 Depth=1
	s_or_b64 exec, exec, s[54:55]
.LBB4_4541:                             ;   in Loop: Header=BB4_2542 Depth=1
	s_or_b64 exec, exec, s[52:53]
	v_accvgpr_read_b32 v0, a39
	v_and_b32_e32 v2, 15, v0
	v_cndmask_b32_e64 v17, v30, v2, s[18:19]
	v_cmp_ne_u32_e32 vcc, 0, v17
	s_mov_b64 s[20:21], 0
	v_mov_b32_e32 v0, 0
                                        ; implicit-def: $vgpr18
                                        ; implicit-def: $vgpr1
	s_and_saveexec_b64 s[52:53], vcc
	s_cbranch_execz .LBB4_4543
; %bb.4542:                             ;   in Loop: Header=BB4_2542 Depth=1
	v_accvgpr_read_b32 v0, a39
	v_sub_u32_e32 v1, v30, v2
	v_and_b32_e32 v0, 0x3ffffc00, v0
	v_cndmask_b32_e64 v1, 0, v1, s[18:19]
	v_cmp_lt_i32_e32 vcc, 0, v29
	v_add_u32_e32 v0, v1, v0
	v_cndmask_b32_e32 v1, 0, v60, vcc
	v_sub_u32_e32 v1, v1, v29
	v_lshl_add_u32 v18, v1, 6, v26
	v_ashrrev_i32_e32 v1, 31, v18
	v_lshrrev_b32_e32 v1, 26, v1
	v_add_u32_e32 v1, v18, v1
	s_mov_b64 s[20:21], exec
	v_ashrrev_i32_e32 v1, 6, v1
.LBB4_4543:                             ;   in Loop: Header=BB4_2542 Depth=1
	s_or_b64 exec, exec, s[52:53]
	s_and_b64 s[18:19], s[20:21], exec
.LBB4_4544:                             ;   in Loop: Header=BB4_2542 Depth=1
	s_or_b64 exec, exec, s[22:23]
	v_accvgpr_read_b32 v39, a7
	v_accvgpr_read_b32 v45, a11
	;; [unrolled: 1-line block ×4, first 2 shown]
	s_and_saveexec_b64 s[52:53], s[18:19]
	s_cbranch_execz .LBB4_4949
.LBB4_4545:                             ;   in Loop: Header=BB4_2542 Depth=1
	v_ashrrev_i32_e32 v2, 31, v17
	v_lshrrev_b32_e32 v2, 23, v2
	v_add_u32_e32 v2, v17, v2
	v_ashrrev_i32_e32 v21, 9, v2
	v_sub_u32_e32 v19, v21, v1
	v_ashrrev_i32_e32 v2, 31, v18
	v_cmp_lt_i32_e32 vcc, 0, v19
	v_lshrrev_b32_e32 v20, 26, v2
	s_and_saveexec_b64 s[22:23], vcc
	s_cbranch_execz .LBB4_4901
; %bb.4546:                             ;   in Loop: Header=BB4_2542 Depth=1
	v_add_u32_e32 v2, v18, v20
	v_and_b32_e32 v2, 0xffffffc0, v2
	s_trap 2
	v_sub_u32_e32 v6, v18, v2
	ds_read_b128 v[2:5], v0
	v_lshlrev_b32_e32 v1, 9, v1
	v_add3_u32 v1, v0, v6, v1
	ds_read_b64 v[6:7], v0
	v_ashrrev_i32_e32 v8, 31, v1
	s_waitcnt lgkmcnt(0)
	v_add_co_u32_e32 v10, vcc, v2, v1
	v_addc_co_u32_e32 v11, vcc, v3, v8, vcc
	v_add_co_u32_e32 v12, vcc, v4, v1
	v_addc_co_u32_e32 v13, vcc, v5, v8, vcc
	;; [unrolled: 2-line block ×3, first 2 shown]
	s_bitcmp1_b32 s64, 0
	v_add_co_u32_e32 v14, vcc, v2, v1
	s_cselect_b64 s[54:55], -1, 0
	v_addc_co_u32_e32 v15, vcc, v3, v8, vcc
	s_mov_b64 s[56:57], 0
	s_branch .LBB4_4548
.LBB4_4547:                             ;   in Loop: Header=BB4_4548 Depth=2
	s_or_b64 exec, exec, s[18:19]
	v_add_co_u32_e32 v4, vcc, 0xfffffe40, v14
	v_addc_co_u32_e32 v5, vcc, -1, v15, vcc
	flat_store_byte v[4:5], v24 glc slc
	v_add_co_u32_e32 v4, vcc, 0xfffffe80, v14
	v_addc_co_u32_e32 v5, vcc, -1, v15, vcc
	flat_store_byte v[4:5], v27 glc slc
	;; [unrolled: 3-line block ×6, first 2 shown]
	v_add_co_u32_e32 v4, vcc, s67, v14
	v_addc_co_u32_e32 v5, vcc, -1, v15, vcc
	v_accvgpr_read_b32 v1, a33
	v_add_co_u32_e32 v10, vcc, v10, v1
	v_accvgpr_read_b32 v2, a34
	v_addc_co_u32_e32 v11, vcc, v11, v2, vcc
	v_add_co_u32_e32 v12, vcc, v12, v1
	v_addc_co_u32_e32 v13, vcc, v13, v2, vcc
	v_sub_u32_e32 v19, v19, v60
	v_cmp_gt_i32_e32 vcc, 1, v19
	flat_store_byte v[4:5], v25 glc slc
	flat_store_byte v[14:15], v3 glc slc
	s_or_b64 s[56:57], vcc, s[56:57]
	v_add_co_u32_e32 v14, vcc, v14, v1
	v_addc_co_u32_e32 v15, vcc, v15, v2, vcc
	s_andn2_b64 exec, exec, s[56:57]
	s_cbranch_execz .LBB4_4900
.LBB4_4548:                             ;   Parent Loop BB4_2542 Depth=1
                                        ; =>  This Inner Loop Header: Depth=2
	flat_load_ubyte v16, v[10:11] glc slc
	flat_load_ubyte v49, v[10:11] offset:64 glc slc
	flat_load_ubyte v48, v[10:11] offset:128 glc slc
	;; [unrolled: 1-line block ×7, first 2 shown]
	flat_load_ubyte v3, v[12:13] glc slc
	flat_load_ubyte v27, v[12:13] offset:64 glc slc
	flat_load_ubyte v30, v[12:13] offset:128 glc slc
	;; [unrolled: 1-line block ×7, first 2 shown]
	s_and_b64 vcc, exec, s[54:55]
	s_waitcnt vmcnt(0) lgkmcnt(0)
	v_cmp_ne_u16_e64 s[18:19], 0, v16
	s_cbranch_vccz .LBB4_4562
; %bb.4549:                             ;   in Loop: Header=BB4_4548 Depth=2
	v_mov_b32_e32 v24, 0
	v_mov_b32_e32 v50, 0
	s_and_saveexec_b64 s[20:21], s[18:19]
	s_cbranch_execz .LBB4_4555
; %bb.4550:                             ;   in Loop: Header=BB4_4548 Depth=2
	v_cmp_ne_u16_e32 vcc, s69, v16
	v_bfrev_b32_e32 v50, 1
	s_and_saveexec_b64 s[58:59], vcc
	s_cbranch_execz .LBB4_4554
; %bb.4551:                             ;   in Loop: Header=BB4_4548 Depth=2
	v_and_b32_e32 v2, 0xffff, v16
	v_and_b32_e32 v4, 0x7f, v2
	v_cmp_ne_u32_e32 vcc, s71, v4
	v_mov_b32_e32 v50, 0x7f800001
	s_and_saveexec_b64 s[60:61], vcc
	s_cbranch_execz .LBB4_4553
; %bb.4552:                             ;   in Loop: Header=BB4_4548 Depth=2
	v_and_b32_e32 v5, 7, v2
	v_ffbh_u32_e32 v6, v5
	v_min_u32_e32 v9, 32, v6
	v_subrev_u32_e32 v6, 28, v9
	v_lshlrev_b64 v[6:7], v6, v[2:3]
	v_lshrrev_b32_e32 v8, 3, v4
	v_sub_u32_e32 v2, 29, v9
	v_and_b32_e32 v6, 7, v6
	v_cmp_gt_u32_e32 vcc, 8, v4
	v_cndmask_b32_e32 v2, v8, v2, vcc
	v_cndmask_b32_e32 v4, v5, v6, vcc
	v_lshlrev_b32_e32 v5, 24, v16
	v_lshlrev_b32_e32 v4, 20, v4
	v_and_b32_e32 v5, 0x80000000, v5
	v_lshl_add_u32 v2, v2, 23, v51
	v_or3_b32 v50, v5, v2, v4
.LBB4_4553:                             ;   in Loop: Header=BB4_4548 Depth=2
	s_or_b64 exec, exec, s[60:61]
.LBB4_4554:                             ;   in Loop: Header=BB4_4548 Depth=2
	s_or_b64 exec, exec, s[58:59]
.LBB4_4555:                             ;   in Loop: Header=BB4_4548 Depth=2
	s_or_b64 exec, exec, s[20:21]
	v_and_b32_e32 v2, 0xff, v3
	v_cmp_ne_u16_e32 vcc, 0, v2
	s_and_saveexec_b64 s[20:21], vcc
	s_cbranch_execz .LBB4_4561
; %bb.4556:                             ;   in Loop: Header=BB4_4548 Depth=2
	v_cmp_ne_u16_e32 vcc, s69, v2
	v_bfrev_b32_e32 v24, 1
	s_and_saveexec_b64 s[58:59], vcc
	s_cbranch_execz .LBB4_4560
; %bb.4557:                             ;   in Loop: Header=BB4_4548 Depth=2
	v_and_b32_e32 v4, 0x7f, v3
	v_cmp_ne_u32_e32 vcc, s71, v4
	v_mov_b32_e32 v24, 0x7f800001
	s_and_saveexec_b64 s[60:61], vcc
	s_cbranch_execz .LBB4_4559
; %bb.4558:                             ;   in Loop: Header=BB4_4548 Depth=2
	v_and_b32_e32 v5, 7, v2
	v_ffbh_u32_e32 v6, v5
	v_min_u32_e32 v9, 32, v6
	v_subrev_u32_e32 v6, 28, v9
	v_lshlrev_b64 v[6:7], v6, v[2:3]
	v_lshrrev_b32_e32 v8, 3, v4
	v_sub_u32_e32 v2, 29, v9
	v_and_b32_e32 v6, 7, v6
	v_cmp_gt_u32_e32 vcc, 8, v4
	v_cndmask_b32_e32 v2, v8, v2, vcc
	v_cndmask_b32_e32 v4, v5, v6, vcc
	v_lshlrev_b32_e32 v5, 24, v3
	v_lshlrev_b32_e32 v4, 20, v4
	v_and_b32_e32 v5, 0x80000000, v5
	v_lshl_add_u32 v2, v2, 23, v51
	v_or3_b32 v24, v5, v2, v4
.LBB4_4559:                             ;   in Loop: Header=BB4_4548 Depth=2
	s_or_b64 exec, exec, s[60:61]
.LBB4_4560:                             ;   in Loop: Header=BB4_4548 Depth=2
	s_or_b64 exec, exec, s[58:59]
.LBB4_4561:                             ;   in Loop: Header=BB4_4548 Depth=2
	s_or_b64 exec, exec, s[20:21]
	v_max_f32_e32 v2, v24, v24
	v_max_f32_e32 v4, v50, v50
	;; [unrolled: 1-line block ×3, first 2 shown]
	s_branch .LBB4_4576
.LBB4_4562:                             ;   in Loop: Header=BB4_4548 Depth=2
                                        ; implicit-def: $vgpr2
	s_cbranch_execz .LBB4_4576
; %bb.4563:                             ;   in Loop: Header=BB4_4548 Depth=2
	v_mov_b32_e32 v24, 0
	v_mov_b32_e32 v50, 0
	s_and_saveexec_b64 s[20:21], s[18:19]
	s_cbranch_execz .LBB4_4569
; %bb.4564:                             ;   in Loop: Header=BB4_4548 Depth=2
	v_cmp_ne_u16_e32 vcc, s69, v16
	v_bfrev_b32_e32 v50, 1
	s_and_saveexec_b64 s[18:19], vcc
	s_cbranch_execz .LBB4_4568
; %bb.4565:                             ;   in Loop: Header=BB4_4548 Depth=2
	v_and_b32_e32 v2, 0xffff, v16
	v_and_b32_e32 v4, 0x7f, v2
	v_cmp_ne_u32_e32 vcc, s71, v4
	v_mov_b32_e32 v50, 0x7f800001
	s_and_saveexec_b64 s[58:59], vcc
	s_cbranch_execz .LBB4_4567
; %bb.4566:                             ;   in Loop: Header=BB4_4548 Depth=2
	v_and_b32_e32 v5, 7, v2
	v_ffbh_u32_e32 v6, v5
	v_min_u32_e32 v9, 32, v6
	v_subrev_u32_e32 v6, 28, v9
	v_lshlrev_b64 v[6:7], v6, v[2:3]
	v_lshrrev_b32_e32 v8, 3, v4
	v_sub_u32_e32 v2, 29, v9
	v_and_b32_e32 v6, 7, v6
	v_cmp_gt_u32_e32 vcc, 8, v4
	v_cndmask_b32_e32 v2, v8, v2, vcc
	v_cndmask_b32_e32 v4, v5, v6, vcc
	v_lshlrev_b32_e32 v5, 24, v16
	v_lshlrev_b32_e32 v4, 20, v4
	v_and_b32_e32 v5, 0x80000000, v5
	v_lshl_add_u32 v2, v2, 23, v51
	v_or3_b32 v50, v5, v2, v4
.LBB4_4567:                             ;   in Loop: Header=BB4_4548 Depth=2
	s_or_b64 exec, exec, s[58:59]
.LBB4_4568:                             ;   in Loop: Header=BB4_4548 Depth=2
	s_or_b64 exec, exec, s[18:19]
.LBB4_4569:                             ;   in Loop: Header=BB4_4548 Depth=2
	s_or_b64 exec, exec, s[20:21]
	v_and_b32_e32 v2, 0xff, v3
	v_cmp_ne_u16_e32 vcc, 0, v2
	s_and_saveexec_b64 s[18:19], vcc
	s_cbranch_execz .LBB4_4575
; %bb.4570:                             ;   in Loop: Header=BB4_4548 Depth=2
	v_cmp_ne_u16_e32 vcc, s69, v2
	v_bfrev_b32_e32 v24, 1
	s_and_saveexec_b64 s[20:21], vcc
	s_cbranch_execz .LBB4_4574
; %bb.4571:                             ;   in Loop: Header=BB4_4548 Depth=2
	v_and_b32_e32 v4, 0x7f, v3
	v_cmp_ne_u32_e32 vcc, s71, v4
	v_mov_b32_e32 v24, 0x7f800001
	s_and_saveexec_b64 s[58:59], vcc
	s_cbranch_execz .LBB4_4573
; %bb.4572:                             ;   in Loop: Header=BB4_4548 Depth=2
	v_and_b32_e32 v5, 7, v2
	v_ffbh_u32_e32 v6, v5
	v_min_u32_e32 v9, 32, v6
	v_subrev_u32_e32 v6, 28, v9
	v_lshlrev_b64 v[6:7], v6, v[2:3]
	v_lshrrev_b32_e32 v8, 3, v4
	v_sub_u32_e32 v2, 29, v9
	v_and_b32_e32 v6, 7, v6
	v_cmp_gt_u32_e32 vcc, 8, v4
	v_cndmask_b32_e32 v2, v8, v2, vcc
	v_cndmask_b32_e32 v4, v5, v6, vcc
	v_lshlrev_b32_e32 v3, 24, v3
	v_lshlrev_b32_e32 v4, 20, v4
	v_and_b32_e32 v3, 0x80000000, v3
	v_lshl_add_u32 v2, v2, 23, v51
	v_or3_b32 v24, v3, v2, v4
.LBB4_4573:                             ;   in Loop: Header=BB4_4548 Depth=2
	s_or_b64 exec, exec, s[58:59]
.LBB4_4574:                             ;   in Loop: Header=BB4_4548 Depth=2
	s_or_b64 exec, exec, s[20:21]
.LBB4_4575:                             ;   in Loop: Header=BB4_4548 Depth=2
	s_or_b64 exec, exec, s[18:19]
	v_max_f32_e32 v2, v24, v24
	v_max_f32_e32 v3, v50, v50
	v_min_f32_e32 v2, v3, v2
.LBB4_4576:                             ;   in Loop: Header=BB4_4548 Depth=2
	v_and_b32_sdwa v16, v2, s69 dst_sel:DWORD dst_unused:UNUSED_PAD src0_sel:BYTE_3 src1_sel:DWORD
	v_and_b32_e32 v4, 0x7f800000, v2
	v_mov_b32_e32 v5, v53
	v_and_b32_e32 v52, 0x7fffff, v2
	v_or_b32_e32 v24, 0x7e, v16
	v_cmp_ne_u64_e32 vcc, s[40:41], v[4:5]
	s_and_saveexec_b64 s[18:19], vcc
	s_xor_b64 s[20:21], exec, s[18:19]
	s_cbranch_execz .LBB4_4590
; %bb.4577:                             ;   in Loop: Header=BB4_4548 Depth=2
	v_and_b32_e32 v4, 0x7fffffff, v2
	v_mov_b32_e32 v5, v53
	v_cmp_gt_u64_e32 vcc, s[42:43], v[4:5]
	s_and_saveexec_b64 s[18:19], vcc
	s_xor_b64 s[58:59], exec, s[18:19]
	s_cbranch_execz .LBB4_4589
; %bb.4578:                             ;   in Loop: Header=BB4_4548 Depth=2
	v_cmp_ne_u32_e32 vcc, 0, v2
	v_mov_b32_e32 v24, 0
	s_and_saveexec_b64 s[60:61], vcc
	s_cbranch_execz .LBB4_4588
; %bb.4579:                             ;   in Loop: Header=BB4_4548 Depth=2
	v_bfe_u32 v2, v2, 23, 8
	v_sub_u32_e32 v4, 0x79, v2
	v_cmp_gt_u32_e32 vcc, s73, v2
	v_add_u32_e32 v3, 0xffffff81, v2
	v_cndmask_b32_e32 v4, 0, v4, vcc
	v_cmp_eq_u32_e32 vcc, 0, v2
	v_mov_b32_e32 v2, 0xffffff82
	v_cndmask_b32_e32 v24, v3, v2, vcc
	v_mov_b32_e32 v2, 0x78
	v_or_b32_e32 v5, 0x800000, v52
	v_cndmask_b32_e32 v4, v4, v2, vcc
	v_cndmask_b32_e32 v52, v5, v52, vcc
	v_add_u32_e32 v2, 20, v4
	v_lshlrev_b64 v[2:3], v2, -1
	v_add_u32_e32 v5, 19, v4
	v_lshrrev_b64 v[8:9], v4, v[52:53]
	v_not_b32_e32 v3, v3
	v_not_b32_e32 v2, v2
	v_lshlrev_b64 v[6:7], v5, 1
	v_lshrrev_b32_e32 v5, 23, v8
	v_and_b32_e32 v3, 0, v3
	v_and_b32_e32 v2, v52, v2
	v_add3_u32 v4, v4, v24, v5
	v_bfe_u32 v5, v8, 20, 1
	v_add_u32_e32 v5, -1, v5
	v_cmp_eq_u64_e32 vcc, v[2:3], v[6:7]
	v_cndmask_b32_e32 v2, 0, v5, vcc
	v_add_u32_e32 v2, v2, v8
	v_and_b32_e32 v2, 0xfffff, v2
	v_add_co_u32_e32 v2, vcc, v2, v8
	v_add_u32_e32 v24, 6, v4
	v_addc_co_u32_e32 v3, vcc, 0, v9, vcc
	v_cmp_ne_u32_e32 vcc, 0, v24
                                        ; implicit-def: $vgpr50
	s_and_saveexec_b64 s[18:19], vcc
	s_xor_b64 s[18:19], exec, s[18:19]
; %bb.4580:                             ;   in Loop: Header=BB4_4548 Depth=2
	v_add_u32_e32 v4, 7, v4
	v_cmp_lt_u64_e32 vcc, s[46:47], v[2:3]
	v_cndmask_b32_e32 v50, v24, v4, vcc
	v_cndmask_b32_e64 v4, 0, 1, vcc
	v_lshrrev_b64 v[2:3], v4, v[2:3]
; %bb.4581:                             ;   in Loop: Header=BB4_4548 Depth=2
	s_andn2_saveexec_b64 s[18:19], s[18:19]
; %bb.4582:                             ;   in Loop: Header=BB4_4548 Depth=2
	v_bfe_u32 v50, v2, 23, 1
; %bb.4583:                             ;   in Loop: Header=BB4_4548 Depth=2
	s_or_b64 exec, exec, s[18:19]
	v_lshrrev_b64 v[2:3], 20, v[2:3]
	v_cmp_gt_i32_e32 vcc, 16, v50
	v_cndmask_b32_e32 v3, 0, v3, vcc
	v_cndmask_b32_e32 v2, 7, v2, vcc
	v_cmp_ne_u32_e32 vcc, 0, v50
	v_cmp_ne_u64_e64 s[18:19], 0, v[2:3]
	s_or_b64 s[18:19], vcc, s[18:19]
                                        ; implicit-def: $vgpr24
	s_and_saveexec_b64 vcc, s[18:19]
	s_xor_b64 s[18:19], exec, vcc
; %bb.4584:                             ;   in Loop: Header=BB4_4548 Depth=2
	v_min_i32_e32 v3, 15, v50
	v_lshl_or_b32 v3, v3, 3, v16
	v_and_or_b32 v24, v2, 7, v3
                                        ; implicit-def: $vgpr16
; %bb.4585:                             ;   in Loop: Header=BB4_4548 Depth=2
	s_andn2_saveexec_b64 s[18:19], s[18:19]
; %bb.4586:                             ;   in Loop: Header=BB4_4548 Depth=2
	v_mov_b32_e32 v24, v16
; %bb.4587:                             ;   in Loop: Header=BB4_4548 Depth=2
	s_or_b64 exec, exec, s[18:19]
.LBB4_4588:                             ;   in Loop: Header=BB4_4548 Depth=2
	s_or_b64 exec, exec, s[60:61]
.LBB4_4589:                             ;   in Loop: Header=BB4_4548 Depth=2
	s_andn2_saveexec_b64 s[18:19], s[58:59]
	s_or_b64 exec, exec, s[18:19]
                                        ; implicit-def: $vgpr2
.LBB4_4590:                             ;   in Loop: Header=BB4_4548 Depth=2
	s_andn2_saveexec_b64 s[18:19], s[20:21]
; %bb.4591:                             ;   in Loop: Header=BB4_4548 Depth=2
	v_or_b32_sdwa v2, v2, s71 dst_sel:DWORD dst_unused:UNUSED_PAD src0_sel:BYTE_3 src1_sel:DWORD
	v_cmp_eq_u64_e32 vcc, 0, v[52:53]
	v_cndmask_b32_e32 v24, v2, v24, vcc
; %bb.4592:                             ;   in Loop: Header=BB4_4548 Depth=2
	s_or_b64 exec, exec, s[18:19]
	v_and_b32_e32 v2, 0xff, v49
	v_cndmask_b32_e64 v3, 0, 1, s[54:55]
	v_cmp_ne_u32_e64 s[18:19], 1, v3
	s_andn2_b64 vcc, exec, s[54:55]
	v_cmp_ne_u16_e64 s[20:21], 0, v2
	s_cbranch_vccnz .LBB4_4606
; %bb.4593:                             ;   in Loop: Header=BB4_4548 Depth=2
	v_mov_b32_e32 v50, 0
	v_mov_b32_e32 v3, 0
	s_and_saveexec_b64 s[58:59], s[20:21]
	s_cbranch_execz .LBB4_4599
; %bb.4594:                             ;   in Loop: Header=BB4_4548 Depth=2
	v_cmp_ne_u16_e32 vcc, s69, v2
	v_bfrev_b32_e32 v3, 1
	s_and_saveexec_b64 s[60:61], vcc
	s_cbranch_execz .LBB4_4598
; %bb.4595:                             ;   in Loop: Header=BB4_4548 Depth=2
	v_and_b32_e32 v4, 0x7f, v49
	v_cmp_ne_u32_e32 vcc, s71, v4
	v_mov_b32_e32 v3, 0x7f800001
	s_and_saveexec_b64 s[62:63], vcc
	s_cbranch_execz .LBB4_4597
; %bb.4596:                             ;   in Loop: Header=BB4_4548 Depth=2
	v_and_b32_e32 v3, 7, v2
	v_ffbh_u32_e32 v6, v3
	v_min_u32_e32 v8, 32, v6
	v_subrev_u32_e32 v6, 28, v8
	v_lshlrev_b64 v[6:7], v6, v[2:3]
	v_lshrrev_b32_e32 v5, 3, v4
	v_sub_u32_e32 v7, 29, v8
	v_and_b32_e32 v6, 7, v6
	v_cmp_gt_u32_e32 vcc, 8, v4
	v_cndmask_b32_e32 v4, v5, v7, vcc
	v_cndmask_b32_e32 v3, v3, v6, vcc
	v_lshlrev_b32_e32 v5, 24, v49
	v_lshlrev_b32_e32 v3, 20, v3
	v_and_b32_e32 v5, 0x80000000, v5
	v_lshl_add_u32 v4, v4, 23, v51
	v_or3_b32 v3, v5, v4, v3
.LBB4_4597:                             ;   in Loop: Header=BB4_4548 Depth=2
	s_or_b64 exec, exec, s[62:63]
.LBB4_4598:                             ;   in Loop: Header=BB4_4548 Depth=2
	s_or_b64 exec, exec, s[60:61]
.LBB4_4599:                             ;   in Loop: Header=BB4_4548 Depth=2
	s_or_b64 exec, exec, s[58:59]
	v_and_b32_e32 v16, 0xff, v27
	v_cmp_ne_u16_e32 vcc, 0, v16
	s_and_saveexec_b64 s[58:59], vcc
	s_cbranch_execz .LBB4_4605
; %bb.4600:                             ;   in Loop: Header=BB4_4548 Depth=2
	v_cmp_ne_u16_e32 vcc, s69, v16
	v_bfrev_b32_e32 v50, 1
	s_and_saveexec_b64 s[60:61], vcc
	s_cbranch_execz .LBB4_4604
; %bb.4601:                             ;   in Loop: Header=BB4_4548 Depth=2
	v_and_b32_e32 v4, 0x7f, v27
	v_cmp_ne_u32_e32 vcc, s71, v4
	v_mov_b32_e32 v50, 0x7f800001
	s_and_saveexec_b64 s[62:63], vcc
	s_cbranch_execz .LBB4_4603
; %bb.4602:                             ;   in Loop: Header=BB4_4548 Depth=2
	v_and_b32_e32 v5, 7, v16
	v_ffbh_u32_e32 v6, v5
	v_min_u32_e32 v9, 32, v6
	v_subrev_u32_e32 v6, 28, v9
	v_lshlrev_b64 v[6:7], v6, v[16:17]
	v_lshrrev_b32_e32 v8, 3, v4
	v_sub_u32_e32 v7, 29, v9
	v_and_b32_e32 v6, 7, v6
	v_cmp_gt_u32_e32 vcc, 8, v4
	v_cndmask_b32_e32 v4, v8, v7, vcc
	v_cndmask_b32_e32 v5, v5, v6, vcc
	v_lshlrev_b32_e32 v6, 24, v27
	v_lshlrev_b32_e32 v5, 20, v5
	v_and_b32_e32 v6, 0x80000000, v6
	v_lshl_add_u32 v4, v4, 23, v51
	v_or3_b32 v50, v6, v4, v5
.LBB4_4603:                             ;   in Loop: Header=BB4_4548 Depth=2
	s_or_b64 exec, exec, s[62:63]
.LBB4_4604:                             ;   in Loop: Header=BB4_4548 Depth=2
	s_or_b64 exec, exec, s[60:61]
.LBB4_4605:                             ;   in Loop: Header=BB4_4548 Depth=2
	s_or_b64 exec, exec, s[58:59]
	v_max_f32_e32 v4, v50, v50
	v_max_f32_e32 v3, v3, v3
	;; [unrolled: 1-line block ×3, first 2 shown]
	s_branch .LBB4_4620
.LBB4_4606:                             ;   in Loop: Header=BB4_4548 Depth=2
                                        ; implicit-def: $vgpr3
	s_cbranch_execz .LBB4_4620
; %bb.4607:                             ;   in Loop: Header=BB4_4548 Depth=2
	v_mov_b32_e32 v16, 0
	v_mov_b32_e32 v3, 0
	s_and_saveexec_b64 s[58:59], s[20:21]
	s_cbranch_execz .LBB4_4613
; %bb.4608:                             ;   in Loop: Header=BB4_4548 Depth=2
	v_cmp_ne_u16_e32 vcc, s69, v2
	v_bfrev_b32_e32 v3, 1
	s_and_saveexec_b64 s[20:21], vcc
	s_cbranch_execz .LBB4_4612
; %bb.4609:                             ;   in Loop: Header=BB4_4548 Depth=2
	v_and_b32_e32 v4, 0x7f, v49
	v_cmp_ne_u32_e32 vcc, s71, v4
	v_mov_b32_e32 v3, 0x7f800001
	s_and_saveexec_b64 s[60:61], vcc
	s_cbranch_execz .LBB4_4611
; %bb.4610:                             ;   in Loop: Header=BB4_4548 Depth=2
	v_and_b32_e32 v5, 7, v2
	v_ffbh_u32_e32 v3, v5
	v_min_u32_e32 v7, 32, v3
	v_subrev_u32_e32 v3, 28, v7
	v_lshlrev_b64 v[2:3], v3, v[2:3]
	v_lshrrev_b32_e32 v6, 3, v4
	v_sub_u32_e32 v3, 29, v7
	v_and_b32_e32 v2, 7, v2
	v_cmp_gt_u32_e32 vcc, 8, v4
	v_cndmask_b32_e32 v3, v6, v3, vcc
	v_cndmask_b32_e32 v2, v5, v2, vcc
	v_lshlrev_b32_e32 v4, 24, v49
	v_lshlrev_b32_e32 v2, 20, v2
	v_and_b32_e32 v4, 0x80000000, v4
	v_lshl_add_u32 v3, v3, 23, v51
	v_or3_b32 v3, v4, v3, v2
.LBB4_4611:                             ;   in Loop: Header=BB4_4548 Depth=2
	s_or_b64 exec, exec, s[60:61]
.LBB4_4612:                             ;   in Loop: Header=BB4_4548 Depth=2
	s_or_b64 exec, exec, s[20:21]
.LBB4_4613:                             ;   in Loop: Header=BB4_4548 Depth=2
	s_or_b64 exec, exec, s[58:59]
	v_and_b32_e32 v2, 0xff, v27
	v_cmp_ne_u16_e32 vcc, 0, v2
	s_and_saveexec_b64 s[20:21], vcc
	s_cbranch_execz .LBB4_4619
; %bb.4614:                             ;   in Loop: Header=BB4_4548 Depth=2
	v_cmp_ne_u16_e32 vcc, s69, v2
	v_bfrev_b32_e32 v16, 1
	s_and_saveexec_b64 s[58:59], vcc
	s_cbranch_execz .LBB4_4618
; %bb.4615:                             ;   in Loop: Header=BB4_4548 Depth=2
	v_and_b32_e32 v4, 0x7f, v27
	v_cmp_ne_u32_e32 vcc, s71, v4
	v_mov_b32_e32 v16, 0x7f800001
	s_and_saveexec_b64 s[60:61], vcc
	s_cbranch_execz .LBB4_4617
; %bb.4616:                             ;   in Loop: Header=BB4_4548 Depth=2
	v_and_b32_e32 v5, 7, v2
	v_ffbh_u32_e32 v6, v5
	v_min_u32_e32 v9, 32, v6
	v_subrev_u32_e32 v6, 28, v9
	v_lshlrev_b64 v[6:7], v6, v[2:3]
	v_lshrrev_b32_e32 v8, 3, v4
	v_sub_u32_e32 v2, 29, v9
	v_and_b32_e32 v6, 7, v6
	v_cmp_gt_u32_e32 vcc, 8, v4
	v_cndmask_b32_e32 v2, v8, v2, vcc
	v_cndmask_b32_e32 v4, v5, v6, vcc
	v_lshlrev_b32_e32 v5, 24, v27
	v_lshlrev_b32_e32 v4, 20, v4
	v_and_b32_e32 v5, 0x80000000, v5
	v_lshl_add_u32 v2, v2, 23, v51
	v_or3_b32 v16, v5, v2, v4
.LBB4_4617:                             ;   in Loop: Header=BB4_4548 Depth=2
	s_or_b64 exec, exec, s[60:61]
.LBB4_4618:                             ;   in Loop: Header=BB4_4548 Depth=2
	s_or_b64 exec, exec, s[58:59]
.LBB4_4619:                             ;   in Loop: Header=BB4_4548 Depth=2
	s_or_b64 exec, exec, s[20:21]
	v_max_f32_e32 v2, v16, v16
	v_max_f32_e32 v3, v3, v3
	v_min_f32_e32 v3, v3, v2
.LBB4_4620:                             ;   in Loop: Header=BB4_4548 Depth=2
	v_and_b32_sdwa v16, v3, s69 dst_sel:DWORD dst_unused:UNUSED_PAD src0_sel:BYTE_3 src1_sel:DWORD
	v_and_b32_e32 v4, 0x7f800000, v3
	v_mov_b32_e32 v5, v53
	v_and_b32_e32 v52, 0x7fffff, v3
	v_or_b32_e32 v27, 0x7e, v16
	v_cmp_ne_u64_e32 vcc, s[40:41], v[4:5]
	s_and_saveexec_b64 s[20:21], vcc
	s_xor_b64 s[58:59], exec, s[20:21]
	s_cbranch_execz .LBB4_4634
; %bb.4621:                             ;   in Loop: Header=BB4_4548 Depth=2
	v_and_b32_e32 v4, 0x7fffffff, v3
	v_mov_b32_e32 v5, v53
	v_cmp_gt_u64_e32 vcc, s[42:43], v[4:5]
	s_and_saveexec_b64 s[20:21], vcc
	s_xor_b64 s[60:61], exec, s[20:21]
	s_cbranch_execz .LBB4_4633
; %bb.4622:                             ;   in Loop: Header=BB4_4548 Depth=2
	v_cmp_ne_u32_e32 vcc, 0, v3
	v_mov_b32_e32 v27, 0
	s_and_saveexec_b64 s[62:63], vcc
	s_cbranch_execz .LBB4_4632
; %bb.4623:                             ;   in Loop: Header=BB4_4548 Depth=2
	v_bfe_u32 v2, v3, 23, 8
	v_sub_u32_e32 v4, 0x79, v2
	v_cmp_gt_u32_e32 vcc, s73, v2
	v_add_u32_e32 v3, 0xffffff81, v2
	v_cndmask_b32_e32 v4, 0, v4, vcc
	v_cmp_eq_u32_e32 vcc, 0, v2
	v_mov_b32_e32 v2, 0xffffff82
	v_cndmask_b32_e32 v27, v3, v2, vcc
	v_mov_b32_e32 v2, 0x78
	v_or_b32_e32 v5, 0x800000, v52
	v_cndmask_b32_e32 v4, v4, v2, vcc
	v_cndmask_b32_e32 v52, v5, v52, vcc
	v_add_u32_e32 v2, 20, v4
	v_lshlrev_b64 v[2:3], v2, -1
	v_add_u32_e32 v5, 19, v4
	v_lshrrev_b64 v[8:9], v4, v[52:53]
	v_not_b32_e32 v3, v3
	v_not_b32_e32 v2, v2
	v_lshlrev_b64 v[6:7], v5, 1
	v_lshrrev_b32_e32 v5, 23, v8
	v_and_b32_e32 v3, 0, v3
	v_and_b32_e32 v2, v52, v2
	v_add3_u32 v4, v4, v27, v5
	v_bfe_u32 v5, v8, 20, 1
	v_add_u32_e32 v5, -1, v5
	v_cmp_eq_u64_e32 vcc, v[2:3], v[6:7]
	v_cndmask_b32_e32 v2, 0, v5, vcc
	v_add_u32_e32 v2, v2, v8
	v_and_b32_e32 v2, 0xfffff, v2
	v_add_co_u32_e32 v2, vcc, v2, v8
	v_add_u32_e32 v27, 6, v4
	v_addc_co_u32_e32 v3, vcc, 0, v9, vcc
	v_cmp_ne_u32_e32 vcc, 0, v27
                                        ; implicit-def: $vgpr49
	s_and_saveexec_b64 s[20:21], vcc
	s_xor_b64 s[20:21], exec, s[20:21]
; %bb.4624:                             ;   in Loop: Header=BB4_4548 Depth=2
	v_add_u32_e32 v4, 7, v4
	v_cmp_lt_u64_e32 vcc, s[46:47], v[2:3]
	v_cndmask_b32_e32 v49, v27, v4, vcc
	v_cndmask_b32_e64 v4, 0, 1, vcc
	v_lshrrev_b64 v[2:3], v4, v[2:3]
; %bb.4625:                             ;   in Loop: Header=BB4_4548 Depth=2
	s_andn2_saveexec_b64 s[20:21], s[20:21]
; %bb.4626:                             ;   in Loop: Header=BB4_4548 Depth=2
	v_bfe_u32 v49, v2, 23, 1
; %bb.4627:                             ;   in Loop: Header=BB4_4548 Depth=2
	s_or_b64 exec, exec, s[20:21]
	v_lshrrev_b64 v[2:3], 20, v[2:3]
	v_cmp_gt_i32_e32 vcc, 16, v49
	v_cndmask_b32_e32 v3, 0, v3, vcc
	v_cndmask_b32_e32 v2, 7, v2, vcc
	v_cmp_ne_u32_e32 vcc, 0, v49
	v_cmp_ne_u64_e64 s[20:21], 0, v[2:3]
	s_or_b64 s[20:21], vcc, s[20:21]
                                        ; implicit-def: $vgpr27
	s_and_saveexec_b64 vcc, s[20:21]
	s_xor_b64 s[20:21], exec, vcc
; %bb.4628:                             ;   in Loop: Header=BB4_4548 Depth=2
	v_min_i32_e32 v3, 15, v49
	v_lshl_or_b32 v3, v3, 3, v16
	v_and_or_b32 v27, v2, 7, v3
                                        ; implicit-def: $vgpr16
; %bb.4629:                             ;   in Loop: Header=BB4_4548 Depth=2
	s_andn2_saveexec_b64 s[20:21], s[20:21]
; %bb.4630:                             ;   in Loop: Header=BB4_4548 Depth=2
	v_mov_b32_e32 v27, v16
; %bb.4631:                             ;   in Loop: Header=BB4_4548 Depth=2
	s_or_b64 exec, exec, s[20:21]
.LBB4_4632:                             ;   in Loop: Header=BB4_4548 Depth=2
	s_or_b64 exec, exec, s[62:63]
.LBB4_4633:                             ;   in Loop: Header=BB4_4548 Depth=2
	s_andn2_saveexec_b64 s[20:21], s[60:61]
	s_or_b64 exec, exec, s[20:21]
                                        ; implicit-def: $vgpr3
.LBB4_4634:                             ;   in Loop: Header=BB4_4548 Depth=2
	s_andn2_saveexec_b64 s[20:21], s[58:59]
; %bb.4635:                             ;   in Loop: Header=BB4_4548 Depth=2
	v_or_b32_sdwa v2, v3, s71 dst_sel:DWORD dst_unused:UNUSED_PAD src0_sel:BYTE_3 src1_sel:DWORD
	v_cmp_eq_u64_e32 vcc, 0, v[52:53]
	v_cndmask_b32_e32 v27, v2, v27, vcc
; %bb.4636:                             ;   in Loop: Header=BB4_4548 Depth=2
	s_or_b64 exec, exec, s[20:21]
	v_and_b32_e32 v2, 0xff, v48
	s_and_b64 vcc, exec, s[18:19]
	v_cmp_ne_u16_e64 s[20:21], 0, v2
	s_cbranch_vccnz .LBB4_4650
; %bb.4637:                             ;   in Loop: Header=BB4_4548 Depth=2
	v_mov_b32_e32 v49, 0
	v_mov_b32_e32 v3, 0
	s_and_saveexec_b64 s[58:59], s[20:21]
	s_cbranch_execz .LBB4_4643
; %bb.4638:                             ;   in Loop: Header=BB4_4548 Depth=2
	v_cmp_ne_u16_e32 vcc, s69, v2
	v_bfrev_b32_e32 v3, 1
	s_and_saveexec_b64 s[60:61], vcc
	s_cbranch_execz .LBB4_4642
; %bb.4639:                             ;   in Loop: Header=BB4_4548 Depth=2
	v_and_b32_e32 v4, 0x7f, v48
	v_cmp_ne_u32_e32 vcc, s71, v4
	v_mov_b32_e32 v3, 0x7f800001
	s_and_saveexec_b64 s[62:63], vcc
	s_cbranch_execz .LBB4_4641
; %bb.4640:                             ;   in Loop: Header=BB4_4548 Depth=2
	v_and_b32_e32 v3, 7, v2
	v_ffbh_u32_e32 v6, v3
	v_min_u32_e32 v8, 32, v6
	v_subrev_u32_e32 v6, 28, v8
	v_lshlrev_b64 v[6:7], v6, v[2:3]
	v_lshrrev_b32_e32 v5, 3, v4
	v_sub_u32_e32 v7, 29, v8
	v_and_b32_e32 v6, 7, v6
	v_cmp_gt_u32_e32 vcc, 8, v4
	v_cndmask_b32_e32 v4, v5, v7, vcc
	v_cndmask_b32_e32 v3, v3, v6, vcc
	v_lshlrev_b32_e32 v5, 24, v48
	v_lshlrev_b32_e32 v3, 20, v3
	v_and_b32_e32 v5, 0x80000000, v5
	v_lshl_add_u32 v4, v4, 23, v51
	v_or3_b32 v3, v5, v4, v3
.LBB4_4641:                             ;   in Loop: Header=BB4_4548 Depth=2
	s_or_b64 exec, exec, s[62:63]
.LBB4_4642:                             ;   in Loop: Header=BB4_4548 Depth=2
	s_or_b64 exec, exec, s[60:61]
.LBB4_4643:                             ;   in Loop: Header=BB4_4548 Depth=2
	s_or_b64 exec, exec, s[58:59]
	v_and_b32_e32 v16, 0xff, v30
	v_cmp_ne_u16_e32 vcc, 0, v16
	s_and_saveexec_b64 s[58:59], vcc
	s_cbranch_execz .LBB4_4649
; %bb.4644:                             ;   in Loop: Header=BB4_4548 Depth=2
	v_cmp_ne_u16_e32 vcc, s69, v16
	v_bfrev_b32_e32 v49, 1
	s_and_saveexec_b64 s[60:61], vcc
	s_cbranch_execz .LBB4_4648
; %bb.4645:                             ;   in Loop: Header=BB4_4548 Depth=2
	v_and_b32_e32 v4, 0x7f, v30
	v_cmp_ne_u32_e32 vcc, s71, v4
	v_mov_b32_e32 v49, 0x7f800001
	s_and_saveexec_b64 s[62:63], vcc
	s_cbranch_execz .LBB4_4647
; %bb.4646:                             ;   in Loop: Header=BB4_4548 Depth=2
	v_and_b32_e32 v5, 7, v16
	v_ffbh_u32_e32 v6, v5
	v_min_u32_e32 v9, 32, v6
	v_subrev_u32_e32 v6, 28, v9
	v_lshlrev_b64 v[6:7], v6, v[16:17]
	v_lshrrev_b32_e32 v8, 3, v4
	v_sub_u32_e32 v7, 29, v9
	v_and_b32_e32 v6, 7, v6
	v_cmp_gt_u32_e32 vcc, 8, v4
	v_cndmask_b32_e32 v4, v8, v7, vcc
	v_cndmask_b32_e32 v5, v5, v6, vcc
	v_lshlrev_b32_e32 v6, 24, v30
	v_lshlrev_b32_e32 v5, 20, v5
	v_and_b32_e32 v6, 0x80000000, v6
	v_lshl_add_u32 v4, v4, 23, v51
	v_or3_b32 v49, v6, v4, v5
.LBB4_4647:                             ;   in Loop: Header=BB4_4548 Depth=2
	s_or_b64 exec, exec, s[62:63]
.LBB4_4648:                             ;   in Loop: Header=BB4_4548 Depth=2
	s_or_b64 exec, exec, s[60:61]
.LBB4_4649:                             ;   in Loop: Header=BB4_4548 Depth=2
	s_or_b64 exec, exec, s[58:59]
	v_max_f32_e32 v4, v49, v49
	v_max_f32_e32 v3, v3, v3
	;; [unrolled: 1-line block ×3, first 2 shown]
	s_branch .LBB4_4664
.LBB4_4650:                             ;   in Loop: Header=BB4_4548 Depth=2
                                        ; implicit-def: $vgpr3
	s_cbranch_execz .LBB4_4664
; %bb.4651:                             ;   in Loop: Header=BB4_4548 Depth=2
	v_mov_b32_e32 v16, 0
	v_mov_b32_e32 v3, 0
	s_and_saveexec_b64 s[58:59], s[20:21]
	s_cbranch_execz .LBB4_4657
; %bb.4652:                             ;   in Loop: Header=BB4_4548 Depth=2
	v_cmp_ne_u16_e32 vcc, s69, v2
	v_bfrev_b32_e32 v3, 1
	s_and_saveexec_b64 s[20:21], vcc
	s_cbranch_execz .LBB4_4656
; %bb.4653:                             ;   in Loop: Header=BB4_4548 Depth=2
	v_and_b32_e32 v4, 0x7f, v48
	v_cmp_ne_u32_e32 vcc, s71, v4
	v_mov_b32_e32 v3, 0x7f800001
	s_and_saveexec_b64 s[60:61], vcc
	s_cbranch_execz .LBB4_4655
; %bb.4654:                             ;   in Loop: Header=BB4_4548 Depth=2
	v_and_b32_e32 v5, 7, v2
	v_ffbh_u32_e32 v3, v5
	v_min_u32_e32 v7, 32, v3
	v_subrev_u32_e32 v3, 28, v7
	v_lshlrev_b64 v[2:3], v3, v[2:3]
	v_lshrrev_b32_e32 v6, 3, v4
	v_sub_u32_e32 v3, 29, v7
	v_and_b32_e32 v2, 7, v2
	v_cmp_gt_u32_e32 vcc, 8, v4
	v_cndmask_b32_e32 v3, v6, v3, vcc
	v_cndmask_b32_e32 v2, v5, v2, vcc
	v_lshlrev_b32_e32 v4, 24, v48
	v_lshlrev_b32_e32 v2, 20, v2
	v_and_b32_e32 v4, 0x80000000, v4
	v_lshl_add_u32 v3, v3, 23, v51
	v_or3_b32 v3, v4, v3, v2
.LBB4_4655:                             ;   in Loop: Header=BB4_4548 Depth=2
	s_or_b64 exec, exec, s[60:61]
.LBB4_4656:                             ;   in Loop: Header=BB4_4548 Depth=2
	s_or_b64 exec, exec, s[20:21]
.LBB4_4657:                             ;   in Loop: Header=BB4_4548 Depth=2
	s_or_b64 exec, exec, s[58:59]
	v_and_b32_e32 v2, 0xff, v30
	v_cmp_ne_u16_e32 vcc, 0, v2
	s_and_saveexec_b64 s[20:21], vcc
	s_cbranch_execz .LBB4_4663
; %bb.4658:                             ;   in Loop: Header=BB4_4548 Depth=2
	v_cmp_ne_u16_e32 vcc, s69, v2
	v_bfrev_b32_e32 v16, 1
	s_and_saveexec_b64 s[58:59], vcc
	s_cbranch_execz .LBB4_4662
; %bb.4659:                             ;   in Loop: Header=BB4_4548 Depth=2
	v_and_b32_e32 v4, 0x7f, v30
	v_cmp_ne_u32_e32 vcc, s71, v4
	v_mov_b32_e32 v16, 0x7f800001
	s_and_saveexec_b64 s[60:61], vcc
	s_cbranch_execz .LBB4_4661
; %bb.4660:                             ;   in Loop: Header=BB4_4548 Depth=2
	v_and_b32_e32 v5, 7, v2
	v_ffbh_u32_e32 v6, v5
	v_min_u32_e32 v9, 32, v6
	v_subrev_u32_e32 v6, 28, v9
	v_lshlrev_b64 v[6:7], v6, v[2:3]
	v_lshrrev_b32_e32 v8, 3, v4
	v_sub_u32_e32 v2, 29, v9
	v_and_b32_e32 v6, 7, v6
	v_cmp_gt_u32_e32 vcc, 8, v4
	v_cndmask_b32_e32 v2, v8, v2, vcc
	v_cndmask_b32_e32 v4, v5, v6, vcc
	v_lshlrev_b32_e32 v5, 24, v30
	v_lshlrev_b32_e32 v4, 20, v4
	v_and_b32_e32 v5, 0x80000000, v5
	v_lshl_add_u32 v2, v2, 23, v51
	v_or3_b32 v16, v5, v2, v4
.LBB4_4661:                             ;   in Loop: Header=BB4_4548 Depth=2
	s_or_b64 exec, exec, s[60:61]
.LBB4_4662:                             ;   in Loop: Header=BB4_4548 Depth=2
	s_or_b64 exec, exec, s[58:59]
.LBB4_4663:                             ;   in Loop: Header=BB4_4548 Depth=2
	s_or_b64 exec, exec, s[20:21]
	v_max_f32_e32 v2, v16, v16
	v_max_f32_e32 v3, v3, v3
	v_min_f32_e32 v3, v3, v2
.LBB4_4664:                             ;   in Loop: Header=BB4_4548 Depth=2
	v_and_b32_sdwa v16, v3, s69 dst_sel:DWORD dst_unused:UNUSED_PAD src0_sel:BYTE_3 src1_sel:DWORD
	v_and_b32_e32 v4, 0x7f800000, v3
	v_mov_b32_e32 v5, v53
	v_and_b32_e32 v52, 0x7fffff, v3
	v_or_b32_e32 v30, 0x7e, v16
	v_cmp_ne_u64_e32 vcc, s[40:41], v[4:5]
	s_and_saveexec_b64 s[20:21], vcc
	s_xor_b64 s[58:59], exec, s[20:21]
	s_cbranch_execz .LBB4_4678
; %bb.4665:                             ;   in Loop: Header=BB4_4548 Depth=2
	v_and_b32_e32 v4, 0x7fffffff, v3
	v_mov_b32_e32 v5, v53
	v_cmp_gt_u64_e32 vcc, s[42:43], v[4:5]
	s_and_saveexec_b64 s[20:21], vcc
	s_xor_b64 s[60:61], exec, s[20:21]
	s_cbranch_execz .LBB4_4677
; %bb.4666:                             ;   in Loop: Header=BB4_4548 Depth=2
	v_cmp_ne_u32_e32 vcc, 0, v3
	v_mov_b32_e32 v30, 0
	s_and_saveexec_b64 s[62:63], vcc
	s_cbranch_execz .LBB4_4676
; %bb.4667:                             ;   in Loop: Header=BB4_4548 Depth=2
	v_bfe_u32 v2, v3, 23, 8
	v_sub_u32_e32 v4, 0x79, v2
	v_cmp_gt_u32_e32 vcc, s73, v2
	v_add_u32_e32 v3, 0xffffff81, v2
	v_cndmask_b32_e32 v4, 0, v4, vcc
	v_cmp_eq_u32_e32 vcc, 0, v2
	v_mov_b32_e32 v2, 0xffffff82
	v_cndmask_b32_e32 v30, v3, v2, vcc
	v_mov_b32_e32 v2, 0x78
	v_or_b32_e32 v5, 0x800000, v52
	v_cndmask_b32_e32 v4, v4, v2, vcc
	v_cndmask_b32_e32 v52, v5, v52, vcc
	v_add_u32_e32 v2, 20, v4
	v_lshlrev_b64 v[2:3], v2, -1
	v_add_u32_e32 v5, 19, v4
	v_lshrrev_b64 v[8:9], v4, v[52:53]
	v_not_b32_e32 v3, v3
	v_not_b32_e32 v2, v2
	v_lshlrev_b64 v[6:7], v5, 1
	v_lshrrev_b32_e32 v5, 23, v8
	v_and_b32_e32 v3, 0, v3
	v_and_b32_e32 v2, v52, v2
	v_add3_u32 v4, v4, v30, v5
	v_bfe_u32 v5, v8, 20, 1
	v_add_u32_e32 v5, -1, v5
	v_cmp_eq_u64_e32 vcc, v[2:3], v[6:7]
	v_cndmask_b32_e32 v2, 0, v5, vcc
	v_add_u32_e32 v2, v2, v8
	v_and_b32_e32 v2, 0xfffff, v2
	v_add_co_u32_e32 v2, vcc, v2, v8
	v_add_u32_e32 v30, 6, v4
	v_addc_co_u32_e32 v3, vcc, 0, v9, vcc
	v_cmp_ne_u32_e32 vcc, 0, v30
                                        ; implicit-def: $vgpr48
	s_and_saveexec_b64 s[20:21], vcc
	s_xor_b64 s[20:21], exec, s[20:21]
; %bb.4668:                             ;   in Loop: Header=BB4_4548 Depth=2
	v_add_u32_e32 v4, 7, v4
	v_cmp_lt_u64_e32 vcc, s[46:47], v[2:3]
	v_cndmask_b32_e32 v48, v30, v4, vcc
	v_cndmask_b32_e64 v4, 0, 1, vcc
	v_lshrrev_b64 v[2:3], v4, v[2:3]
; %bb.4669:                             ;   in Loop: Header=BB4_4548 Depth=2
	s_andn2_saveexec_b64 s[20:21], s[20:21]
; %bb.4670:                             ;   in Loop: Header=BB4_4548 Depth=2
	v_bfe_u32 v48, v2, 23, 1
; %bb.4671:                             ;   in Loop: Header=BB4_4548 Depth=2
	s_or_b64 exec, exec, s[20:21]
	v_lshrrev_b64 v[2:3], 20, v[2:3]
	v_cmp_gt_i32_e32 vcc, 16, v48
	v_cndmask_b32_e32 v3, 0, v3, vcc
	v_cndmask_b32_e32 v2, 7, v2, vcc
	v_cmp_ne_u32_e32 vcc, 0, v48
	v_cmp_ne_u64_e64 s[20:21], 0, v[2:3]
	s_or_b64 s[20:21], vcc, s[20:21]
                                        ; implicit-def: $vgpr30
	s_and_saveexec_b64 vcc, s[20:21]
	s_xor_b64 s[20:21], exec, vcc
; %bb.4672:                             ;   in Loop: Header=BB4_4548 Depth=2
	v_min_i32_e32 v3, 15, v48
	v_lshl_or_b32 v3, v3, 3, v16
	v_and_or_b32 v30, v2, 7, v3
                                        ; implicit-def: $vgpr16
; %bb.4673:                             ;   in Loop: Header=BB4_4548 Depth=2
	s_andn2_saveexec_b64 s[20:21], s[20:21]
; %bb.4674:                             ;   in Loop: Header=BB4_4548 Depth=2
	v_mov_b32_e32 v30, v16
; %bb.4675:                             ;   in Loop: Header=BB4_4548 Depth=2
	s_or_b64 exec, exec, s[20:21]
.LBB4_4676:                             ;   in Loop: Header=BB4_4548 Depth=2
	s_or_b64 exec, exec, s[62:63]
.LBB4_4677:                             ;   in Loop: Header=BB4_4548 Depth=2
	s_andn2_saveexec_b64 s[20:21], s[60:61]
	s_or_b64 exec, exec, s[20:21]
                                        ; implicit-def: $vgpr3
.LBB4_4678:                             ;   in Loop: Header=BB4_4548 Depth=2
	s_andn2_saveexec_b64 s[20:21], s[58:59]
; %bb.4679:                             ;   in Loop: Header=BB4_4548 Depth=2
	v_or_b32_sdwa v2, v3, s71 dst_sel:DWORD dst_unused:UNUSED_PAD src0_sel:BYTE_3 src1_sel:DWORD
	v_cmp_eq_u64_e32 vcc, 0, v[52:53]
	v_cndmask_b32_e32 v30, v2, v30, vcc
; %bb.4680:                             ;   in Loop: Header=BB4_4548 Depth=2
	s_or_b64 exec, exec, s[20:21]
	v_and_b32_e32 v2, 0xff, v35
	s_and_b64 vcc, exec, s[18:19]
	v_cmp_ne_u16_e64 s[20:21], 0, v2
	s_cbranch_vccnz .LBB4_4694
; %bb.4681:                             ;   in Loop: Header=BB4_4548 Depth=2
	v_mov_b32_e32 v48, 0
	v_mov_b32_e32 v3, 0
	s_and_saveexec_b64 s[58:59], s[20:21]
	s_cbranch_execz .LBB4_4687
; %bb.4682:                             ;   in Loop: Header=BB4_4548 Depth=2
	v_cmp_ne_u16_e32 vcc, s69, v2
	v_bfrev_b32_e32 v3, 1
	s_and_saveexec_b64 s[60:61], vcc
	s_cbranch_execz .LBB4_4686
; %bb.4683:                             ;   in Loop: Header=BB4_4548 Depth=2
	v_and_b32_e32 v4, 0x7f, v35
	v_cmp_ne_u32_e32 vcc, s71, v4
	v_mov_b32_e32 v3, 0x7f800001
	s_and_saveexec_b64 s[62:63], vcc
	s_cbranch_execz .LBB4_4685
; %bb.4684:                             ;   in Loop: Header=BB4_4548 Depth=2
	v_and_b32_e32 v3, 7, v2
	v_ffbh_u32_e32 v6, v3
	v_min_u32_e32 v8, 32, v6
	v_subrev_u32_e32 v6, 28, v8
	v_lshlrev_b64 v[6:7], v6, v[2:3]
	v_lshrrev_b32_e32 v5, 3, v4
	v_sub_u32_e32 v7, 29, v8
	v_and_b32_e32 v6, 7, v6
	v_cmp_gt_u32_e32 vcc, 8, v4
	v_cndmask_b32_e32 v4, v5, v7, vcc
	v_cndmask_b32_e32 v3, v3, v6, vcc
	v_lshlrev_b32_e32 v5, 24, v35
	v_lshlrev_b32_e32 v3, 20, v3
	v_and_b32_e32 v5, 0x80000000, v5
	v_lshl_add_u32 v4, v4, 23, v51
	v_or3_b32 v3, v5, v4, v3
.LBB4_4685:                             ;   in Loop: Header=BB4_4548 Depth=2
	s_or_b64 exec, exec, s[62:63]
.LBB4_4686:                             ;   in Loop: Header=BB4_4548 Depth=2
	s_or_b64 exec, exec, s[60:61]
.LBB4_4687:                             ;   in Loop: Header=BB4_4548 Depth=2
	s_or_b64 exec, exec, s[58:59]
	v_and_b32_e32 v16, 0xff, v34
	v_cmp_ne_u16_e32 vcc, 0, v16
	s_and_saveexec_b64 s[58:59], vcc
	s_cbranch_execz .LBB4_4693
; %bb.4688:                             ;   in Loop: Header=BB4_4548 Depth=2
	v_cmp_ne_u16_e32 vcc, s69, v16
	v_bfrev_b32_e32 v48, 1
	s_and_saveexec_b64 s[60:61], vcc
	s_cbranch_execz .LBB4_4692
; %bb.4689:                             ;   in Loop: Header=BB4_4548 Depth=2
	v_and_b32_e32 v4, 0x7f, v34
	v_cmp_ne_u32_e32 vcc, s71, v4
	v_mov_b32_e32 v48, 0x7f800001
	s_and_saveexec_b64 s[62:63], vcc
	s_cbranch_execz .LBB4_4691
; %bb.4690:                             ;   in Loop: Header=BB4_4548 Depth=2
	v_and_b32_e32 v5, 7, v16
	v_ffbh_u32_e32 v6, v5
	v_min_u32_e32 v9, 32, v6
	v_subrev_u32_e32 v6, 28, v9
	v_lshlrev_b64 v[6:7], v6, v[16:17]
	v_lshrrev_b32_e32 v8, 3, v4
	v_sub_u32_e32 v7, 29, v9
	v_and_b32_e32 v6, 7, v6
	v_cmp_gt_u32_e32 vcc, 8, v4
	v_cndmask_b32_e32 v4, v8, v7, vcc
	v_cndmask_b32_e32 v5, v5, v6, vcc
	v_lshlrev_b32_e32 v6, 24, v34
	v_lshlrev_b32_e32 v5, 20, v5
	v_and_b32_e32 v6, 0x80000000, v6
	v_lshl_add_u32 v4, v4, 23, v51
	v_or3_b32 v48, v6, v4, v5
.LBB4_4691:                             ;   in Loop: Header=BB4_4548 Depth=2
	s_or_b64 exec, exec, s[62:63]
.LBB4_4692:                             ;   in Loop: Header=BB4_4548 Depth=2
	s_or_b64 exec, exec, s[60:61]
.LBB4_4693:                             ;   in Loop: Header=BB4_4548 Depth=2
	s_or_b64 exec, exec, s[58:59]
	v_max_f32_e32 v4, v48, v48
	v_max_f32_e32 v3, v3, v3
	;; [unrolled: 1-line block ×3, first 2 shown]
	s_branch .LBB4_4708
.LBB4_4694:                             ;   in Loop: Header=BB4_4548 Depth=2
                                        ; implicit-def: $vgpr3
	s_cbranch_execz .LBB4_4708
; %bb.4695:                             ;   in Loop: Header=BB4_4548 Depth=2
	v_mov_b32_e32 v16, 0
	v_mov_b32_e32 v3, 0
	s_and_saveexec_b64 s[58:59], s[20:21]
	s_cbranch_execz .LBB4_4701
; %bb.4696:                             ;   in Loop: Header=BB4_4548 Depth=2
	v_cmp_ne_u16_e32 vcc, s69, v2
	v_bfrev_b32_e32 v3, 1
	s_and_saveexec_b64 s[20:21], vcc
	s_cbranch_execz .LBB4_4700
; %bb.4697:                             ;   in Loop: Header=BB4_4548 Depth=2
	v_and_b32_e32 v4, 0x7f, v35
	v_cmp_ne_u32_e32 vcc, s71, v4
	v_mov_b32_e32 v3, 0x7f800001
	s_and_saveexec_b64 s[60:61], vcc
	s_cbranch_execz .LBB4_4699
; %bb.4698:                             ;   in Loop: Header=BB4_4548 Depth=2
	v_and_b32_e32 v5, 7, v2
	v_ffbh_u32_e32 v3, v5
	v_min_u32_e32 v7, 32, v3
	v_subrev_u32_e32 v3, 28, v7
	v_lshlrev_b64 v[2:3], v3, v[2:3]
	v_lshrrev_b32_e32 v6, 3, v4
	v_sub_u32_e32 v3, 29, v7
	v_and_b32_e32 v2, 7, v2
	v_cmp_gt_u32_e32 vcc, 8, v4
	v_cndmask_b32_e32 v3, v6, v3, vcc
	v_cndmask_b32_e32 v2, v5, v2, vcc
	v_lshlrev_b32_e32 v4, 24, v35
	v_lshlrev_b32_e32 v2, 20, v2
	v_and_b32_e32 v4, 0x80000000, v4
	v_lshl_add_u32 v3, v3, 23, v51
	v_or3_b32 v3, v4, v3, v2
.LBB4_4699:                             ;   in Loop: Header=BB4_4548 Depth=2
	s_or_b64 exec, exec, s[60:61]
.LBB4_4700:                             ;   in Loop: Header=BB4_4548 Depth=2
	s_or_b64 exec, exec, s[20:21]
.LBB4_4701:                             ;   in Loop: Header=BB4_4548 Depth=2
	s_or_b64 exec, exec, s[58:59]
	v_and_b32_e32 v2, 0xff, v34
	v_cmp_ne_u16_e32 vcc, 0, v2
	s_and_saveexec_b64 s[20:21], vcc
	s_cbranch_execz .LBB4_4707
; %bb.4702:                             ;   in Loop: Header=BB4_4548 Depth=2
	v_cmp_ne_u16_e32 vcc, s69, v2
	v_bfrev_b32_e32 v16, 1
	s_and_saveexec_b64 s[58:59], vcc
	s_cbranch_execz .LBB4_4706
; %bb.4703:                             ;   in Loop: Header=BB4_4548 Depth=2
	v_and_b32_e32 v4, 0x7f, v34
	v_cmp_ne_u32_e32 vcc, s71, v4
	v_mov_b32_e32 v16, 0x7f800001
	s_and_saveexec_b64 s[60:61], vcc
	s_cbranch_execz .LBB4_4705
; %bb.4704:                             ;   in Loop: Header=BB4_4548 Depth=2
	v_and_b32_e32 v5, 7, v2
	v_ffbh_u32_e32 v6, v5
	v_min_u32_e32 v9, 32, v6
	v_subrev_u32_e32 v6, 28, v9
	v_lshlrev_b64 v[6:7], v6, v[2:3]
	v_lshrrev_b32_e32 v8, 3, v4
	v_sub_u32_e32 v2, 29, v9
	v_and_b32_e32 v6, 7, v6
	v_cmp_gt_u32_e32 vcc, 8, v4
	v_cndmask_b32_e32 v2, v8, v2, vcc
	v_cndmask_b32_e32 v4, v5, v6, vcc
	v_lshlrev_b32_e32 v5, 24, v34
	v_lshlrev_b32_e32 v4, 20, v4
	v_and_b32_e32 v5, 0x80000000, v5
	v_lshl_add_u32 v2, v2, 23, v51
	v_or3_b32 v16, v5, v2, v4
.LBB4_4705:                             ;   in Loop: Header=BB4_4548 Depth=2
	s_or_b64 exec, exec, s[60:61]
.LBB4_4706:                             ;   in Loop: Header=BB4_4548 Depth=2
	s_or_b64 exec, exec, s[58:59]
.LBB4_4707:                             ;   in Loop: Header=BB4_4548 Depth=2
	s_or_b64 exec, exec, s[20:21]
	v_max_f32_e32 v2, v16, v16
	v_max_f32_e32 v3, v3, v3
	v_min_f32_e32 v3, v3, v2
.LBB4_4708:                             ;   in Loop: Header=BB4_4548 Depth=2
	v_and_b32_sdwa v16, v3, s69 dst_sel:DWORD dst_unused:UNUSED_PAD src0_sel:BYTE_3 src1_sel:DWORD
	v_and_b32_e32 v4, 0x7f800000, v3
	v_mov_b32_e32 v5, v53
	v_and_b32_e32 v52, 0x7fffff, v3
	v_or_b32_e32 v34, 0x7e, v16
	v_cmp_ne_u64_e32 vcc, s[40:41], v[4:5]
	s_and_saveexec_b64 s[20:21], vcc
	s_xor_b64 s[58:59], exec, s[20:21]
	s_cbranch_execz .LBB4_4722
; %bb.4709:                             ;   in Loop: Header=BB4_4548 Depth=2
	v_and_b32_e32 v4, 0x7fffffff, v3
	v_mov_b32_e32 v5, v53
	v_cmp_gt_u64_e32 vcc, s[42:43], v[4:5]
	s_and_saveexec_b64 s[20:21], vcc
	s_xor_b64 s[60:61], exec, s[20:21]
	s_cbranch_execz .LBB4_4721
; %bb.4710:                             ;   in Loop: Header=BB4_4548 Depth=2
	v_cmp_ne_u32_e32 vcc, 0, v3
	v_mov_b32_e32 v34, 0
	s_and_saveexec_b64 s[62:63], vcc
	s_cbranch_execz .LBB4_4720
; %bb.4711:                             ;   in Loop: Header=BB4_4548 Depth=2
	v_bfe_u32 v2, v3, 23, 8
	v_sub_u32_e32 v4, 0x79, v2
	v_cmp_gt_u32_e32 vcc, s73, v2
	v_add_u32_e32 v3, 0xffffff81, v2
	v_cndmask_b32_e32 v4, 0, v4, vcc
	v_cmp_eq_u32_e32 vcc, 0, v2
	v_mov_b32_e32 v2, 0xffffff82
	v_cndmask_b32_e32 v34, v3, v2, vcc
	v_mov_b32_e32 v2, 0x78
	v_or_b32_e32 v5, 0x800000, v52
	v_cndmask_b32_e32 v4, v4, v2, vcc
	v_cndmask_b32_e32 v52, v5, v52, vcc
	v_add_u32_e32 v2, 20, v4
	v_lshlrev_b64 v[2:3], v2, -1
	v_add_u32_e32 v5, 19, v4
	v_lshrrev_b64 v[8:9], v4, v[52:53]
	v_not_b32_e32 v3, v3
	v_not_b32_e32 v2, v2
	v_lshlrev_b64 v[6:7], v5, 1
	v_lshrrev_b32_e32 v5, 23, v8
	v_and_b32_e32 v3, 0, v3
	v_and_b32_e32 v2, v52, v2
	v_add3_u32 v4, v4, v34, v5
	v_bfe_u32 v5, v8, 20, 1
	v_add_u32_e32 v5, -1, v5
	v_cmp_eq_u64_e32 vcc, v[2:3], v[6:7]
	v_cndmask_b32_e32 v2, 0, v5, vcc
	v_add_u32_e32 v2, v2, v8
	v_and_b32_e32 v2, 0xfffff, v2
	v_add_co_u32_e32 v2, vcc, v2, v8
	v_add_u32_e32 v34, 6, v4
	v_addc_co_u32_e32 v3, vcc, 0, v9, vcc
	v_cmp_ne_u32_e32 vcc, 0, v34
                                        ; implicit-def: $vgpr35
	s_and_saveexec_b64 s[20:21], vcc
	s_xor_b64 s[20:21], exec, s[20:21]
; %bb.4712:                             ;   in Loop: Header=BB4_4548 Depth=2
	v_add_u32_e32 v4, 7, v4
	v_cmp_lt_u64_e32 vcc, s[46:47], v[2:3]
	v_cndmask_b32_e32 v35, v34, v4, vcc
	v_cndmask_b32_e64 v4, 0, 1, vcc
	v_lshrrev_b64 v[2:3], v4, v[2:3]
; %bb.4713:                             ;   in Loop: Header=BB4_4548 Depth=2
	s_andn2_saveexec_b64 s[20:21], s[20:21]
; %bb.4714:                             ;   in Loop: Header=BB4_4548 Depth=2
	v_bfe_u32 v35, v2, 23, 1
; %bb.4715:                             ;   in Loop: Header=BB4_4548 Depth=2
	s_or_b64 exec, exec, s[20:21]
	v_lshrrev_b64 v[2:3], 20, v[2:3]
	v_cmp_gt_i32_e32 vcc, 16, v35
	v_cndmask_b32_e32 v3, 0, v3, vcc
	v_cndmask_b32_e32 v2, 7, v2, vcc
	v_cmp_ne_u32_e32 vcc, 0, v35
	v_cmp_ne_u64_e64 s[20:21], 0, v[2:3]
	s_or_b64 s[20:21], vcc, s[20:21]
                                        ; implicit-def: $vgpr34
	s_and_saveexec_b64 vcc, s[20:21]
	s_xor_b64 s[20:21], exec, vcc
; %bb.4716:                             ;   in Loop: Header=BB4_4548 Depth=2
	v_min_i32_e32 v3, 15, v35
	v_lshl_or_b32 v3, v3, 3, v16
	v_and_or_b32 v34, v2, 7, v3
                                        ; implicit-def: $vgpr16
; %bb.4717:                             ;   in Loop: Header=BB4_4548 Depth=2
	s_andn2_saveexec_b64 s[20:21], s[20:21]
; %bb.4718:                             ;   in Loop: Header=BB4_4548 Depth=2
	v_mov_b32_e32 v34, v16
; %bb.4719:                             ;   in Loop: Header=BB4_4548 Depth=2
	s_or_b64 exec, exec, s[20:21]
.LBB4_4720:                             ;   in Loop: Header=BB4_4548 Depth=2
	s_or_b64 exec, exec, s[62:63]
.LBB4_4721:                             ;   in Loop: Header=BB4_4548 Depth=2
	s_andn2_saveexec_b64 s[20:21], s[60:61]
	s_or_b64 exec, exec, s[20:21]
                                        ; implicit-def: $vgpr3
.LBB4_4722:                             ;   in Loop: Header=BB4_4548 Depth=2
	s_andn2_saveexec_b64 s[20:21], s[58:59]
; %bb.4723:                             ;   in Loop: Header=BB4_4548 Depth=2
	v_or_b32_sdwa v2, v3, s71 dst_sel:DWORD dst_unused:UNUSED_PAD src0_sel:BYTE_3 src1_sel:DWORD
	v_cmp_eq_u64_e32 vcc, 0, v[52:53]
	v_cndmask_b32_e32 v34, v2, v34, vcc
; %bb.4724:                             ;   in Loop: Header=BB4_4548 Depth=2
	s_or_b64 exec, exec, s[20:21]
	v_and_b32_e32 v2, 0xff, v31
	s_and_b64 vcc, exec, s[18:19]
	v_cmp_ne_u16_e64 s[20:21], 0, v2
	s_cbranch_vccnz .LBB4_4738
; %bb.4725:                             ;   in Loop: Header=BB4_4548 Depth=2
	v_mov_b32_e32 v35, 0
	v_mov_b32_e32 v3, 0
	s_and_saveexec_b64 s[58:59], s[20:21]
	s_cbranch_execz .LBB4_4731
; %bb.4726:                             ;   in Loop: Header=BB4_4548 Depth=2
	v_cmp_ne_u16_e32 vcc, s69, v2
	v_bfrev_b32_e32 v3, 1
	s_and_saveexec_b64 s[60:61], vcc
	s_cbranch_execz .LBB4_4730
; %bb.4727:                             ;   in Loop: Header=BB4_4548 Depth=2
	v_and_b32_e32 v4, 0x7f, v31
	v_cmp_ne_u32_e32 vcc, s71, v4
	v_mov_b32_e32 v3, 0x7f800001
	s_and_saveexec_b64 s[62:63], vcc
	s_cbranch_execz .LBB4_4729
; %bb.4728:                             ;   in Loop: Header=BB4_4548 Depth=2
	v_and_b32_e32 v3, 7, v2
	v_ffbh_u32_e32 v6, v3
	v_min_u32_e32 v8, 32, v6
	v_subrev_u32_e32 v6, 28, v8
	v_lshlrev_b64 v[6:7], v6, v[2:3]
	v_lshrrev_b32_e32 v5, 3, v4
	v_sub_u32_e32 v7, 29, v8
	v_and_b32_e32 v6, 7, v6
	v_cmp_gt_u32_e32 vcc, 8, v4
	v_cndmask_b32_e32 v4, v5, v7, vcc
	v_cndmask_b32_e32 v3, v3, v6, vcc
	v_lshlrev_b32_e32 v5, 24, v31
	v_lshlrev_b32_e32 v3, 20, v3
	v_and_b32_e32 v5, 0x80000000, v5
	v_lshl_add_u32 v4, v4, 23, v51
	v_or3_b32 v3, v5, v4, v3
.LBB4_4729:                             ;   in Loop: Header=BB4_4548 Depth=2
	s_or_b64 exec, exec, s[62:63]
.LBB4_4730:                             ;   in Loop: Header=BB4_4548 Depth=2
	s_or_b64 exec, exec, s[60:61]
.LBB4_4731:                             ;   in Loop: Header=BB4_4548 Depth=2
	s_or_b64 exec, exec, s[58:59]
	v_and_b32_e32 v16, 0xff, v1
	v_cmp_ne_u16_e32 vcc, 0, v16
	s_and_saveexec_b64 s[58:59], vcc
	s_cbranch_execz .LBB4_4737
; %bb.4732:                             ;   in Loop: Header=BB4_4548 Depth=2
	v_cmp_ne_u16_e32 vcc, s69, v16
	v_bfrev_b32_e32 v35, 1
	s_and_saveexec_b64 s[60:61], vcc
	s_cbranch_execz .LBB4_4736
; %bb.4733:                             ;   in Loop: Header=BB4_4548 Depth=2
	v_and_b32_e32 v4, 0x7f, v1
	v_cmp_ne_u32_e32 vcc, s71, v4
	v_mov_b32_e32 v35, 0x7f800001
	s_and_saveexec_b64 s[62:63], vcc
	s_cbranch_execz .LBB4_4735
; %bb.4734:                             ;   in Loop: Header=BB4_4548 Depth=2
	v_and_b32_e32 v5, 7, v16
	v_ffbh_u32_e32 v6, v5
	v_min_u32_e32 v9, 32, v6
	v_subrev_u32_e32 v6, 28, v9
	v_lshlrev_b64 v[6:7], v6, v[16:17]
	v_lshrrev_b32_e32 v8, 3, v4
	v_sub_u32_e32 v7, 29, v9
	v_and_b32_e32 v6, 7, v6
	v_cmp_gt_u32_e32 vcc, 8, v4
	v_cndmask_b32_e32 v4, v8, v7, vcc
	v_cndmask_b32_e32 v5, v5, v6, vcc
	v_lshlrev_b32_e32 v6, 24, v1
	v_lshlrev_b32_e32 v5, 20, v5
	v_and_b32_e32 v6, 0x80000000, v6
	v_lshl_add_u32 v4, v4, 23, v51
	v_or3_b32 v35, v6, v4, v5
.LBB4_4735:                             ;   in Loop: Header=BB4_4548 Depth=2
	s_or_b64 exec, exec, s[62:63]
.LBB4_4736:                             ;   in Loop: Header=BB4_4548 Depth=2
	s_or_b64 exec, exec, s[60:61]
.LBB4_4737:                             ;   in Loop: Header=BB4_4548 Depth=2
	s_or_b64 exec, exec, s[58:59]
	v_max_f32_e32 v4, v35, v35
	v_max_f32_e32 v3, v3, v3
	;; [unrolled: 1-line block ×3, first 2 shown]
	s_branch .LBB4_4752
.LBB4_4738:                             ;   in Loop: Header=BB4_4548 Depth=2
                                        ; implicit-def: $vgpr3
	s_cbranch_execz .LBB4_4752
; %bb.4739:                             ;   in Loop: Header=BB4_4548 Depth=2
	v_mov_b32_e32 v16, 0
	v_mov_b32_e32 v3, 0
	s_and_saveexec_b64 s[58:59], s[20:21]
	s_cbranch_execz .LBB4_4745
; %bb.4740:                             ;   in Loop: Header=BB4_4548 Depth=2
	v_cmp_ne_u16_e32 vcc, s69, v2
	v_bfrev_b32_e32 v3, 1
	s_and_saveexec_b64 s[20:21], vcc
	s_cbranch_execz .LBB4_4744
; %bb.4741:                             ;   in Loop: Header=BB4_4548 Depth=2
	v_and_b32_e32 v4, 0x7f, v31
	v_cmp_ne_u32_e32 vcc, s71, v4
	v_mov_b32_e32 v3, 0x7f800001
	s_and_saveexec_b64 s[60:61], vcc
	s_cbranch_execz .LBB4_4743
; %bb.4742:                             ;   in Loop: Header=BB4_4548 Depth=2
	v_and_b32_e32 v5, 7, v2
	v_ffbh_u32_e32 v3, v5
	v_min_u32_e32 v7, 32, v3
	v_subrev_u32_e32 v3, 28, v7
	v_lshlrev_b64 v[2:3], v3, v[2:3]
	v_lshrrev_b32_e32 v6, 3, v4
	v_sub_u32_e32 v3, 29, v7
	v_and_b32_e32 v2, 7, v2
	v_cmp_gt_u32_e32 vcc, 8, v4
	v_cndmask_b32_e32 v3, v6, v3, vcc
	v_cndmask_b32_e32 v2, v5, v2, vcc
	v_lshlrev_b32_e32 v4, 24, v31
	v_lshlrev_b32_e32 v2, 20, v2
	v_and_b32_e32 v4, 0x80000000, v4
	v_lshl_add_u32 v3, v3, 23, v51
	v_or3_b32 v3, v4, v3, v2
.LBB4_4743:                             ;   in Loop: Header=BB4_4548 Depth=2
	s_or_b64 exec, exec, s[60:61]
.LBB4_4744:                             ;   in Loop: Header=BB4_4548 Depth=2
	s_or_b64 exec, exec, s[20:21]
.LBB4_4745:                             ;   in Loop: Header=BB4_4548 Depth=2
	s_or_b64 exec, exec, s[58:59]
	v_and_b32_e32 v2, 0xff, v1
	v_cmp_ne_u16_e32 vcc, 0, v2
	s_and_saveexec_b64 s[20:21], vcc
	s_cbranch_execz .LBB4_4751
; %bb.4746:                             ;   in Loop: Header=BB4_4548 Depth=2
	v_cmp_ne_u16_e32 vcc, s69, v2
	v_bfrev_b32_e32 v16, 1
	s_and_saveexec_b64 s[58:59], vcc
	s_cbranch_execz .LBB4_4750
; %bb.4747:                             ;   in Loop: Header=BB4_4548 Depth=2
	v_and_b32_e32 v4, 0x7f, v1
	v_cmp_ne_u32_e32 vcc, s71, v4
	v_mov_b32_e32 v16, 0x7f800001
	s_and_saveexec_b64 s[60:61], vcc
	s_cbranch_execz .LBB4_4749
; %bb.4748:                             ;   in Loop: Header=BB4_4548 Depth=2
	v_and_b32_e32 v5, 7, v2
	v_ffbh_u32_e32 v6, v5
	v_min_u32_e32 v9, 32, v6
	v_subrev_u32_e32 v6, 28, v9
	v_lshlrev_b64 v[6:7], v6, v[2:3]
	v_lshrrev_b32_e32 v8, 3, v4
	v_sub_u32_e32 v2, 29, v9
	v_and_b32_e32 v6, 7, v6
	v_cmp_gt_u32_e32 vcc, 8, v4
	v_cndmask_b32_e32 v2, v8, v2, vcc
	v_cndmask_b32_e32 v4, v5, v6, vcc
	v_lshlrev_b32_e32 v1, 24, v1
	v_lshlrev_b32_e32 v4, 20, v4
	v_and_b32_e32 v1, 0x80000000, v1
	v_lshl_add_u32 v2, v2, 23, v51
	v_or3_b32 v16, v1, v2, v4
.LBB4_4749:                             ;   in Loop: Header=BB4_4548 Depth=2
	s_or_b64 exec, exec, s[60:61]
.LBB4_4750:                             ;   in Loop: Header=BB4_4548 Depth=2
	s_or_b64 exec, exec, s[58:59]
.LBB4_4751:                             ;   in Loop: Header=BB4_4548 Depth=2
	s_or_b64 exec, exec, s[20:21]
	v_max_f32_e32 v1, v16, v16
	v_max_f32_e32 v2, v3, v3
	v_min_f32_e32 v3, v2, v1
.LBB4_4752:                             ;   in Loop: Header=BB4_4548 Depth=2
	v_and_b32_sdwa v16, v3, s69 dst_sel:DWORD dst_unused:UNUSED_PAD src0_sel:BYTE_3 src1_sel:DWORD
	v_and_b32_e32 v4, 0x7f800000, v3
	v_mov_b32_e32 v5, v53
	v_and_b32_e32 v52, 0x7fffff, v3
	v_or_b32_e32 v1, 0x7e, v16
	v_cmp_ne_u64_e32 vcc, s[40:41], v[4:5]
	s_and_saveexec_b64 s[20:21], vcc
	s_xor_b64 s[58:59], exec, s[20:21]
	s_cbranch_execz .LBB4_4766
; %bb.4753:                             ;   in Loop: Header=BB4_4548 Depth=2
	v_and_b32_e32 v4, 0x7fffffff, v3
	v_mov_b32_e32 v5, v53
	v_cmp_gt_u64_e32 vcc, s[42:43], v[4:5]
	s_and_saveexec_b64 s[20:21], vcc
	s_xor_b64 s[60:61], exec, s[20:21]
	s_cbranch_execz .LBB4_4765
; %bb.4754:                             ;   in Loop: Header=BB4_4548 Depth=2
	v_cmp_ne_u32_e32 vcc, 0, v3
	v_mov_b32_e32 v1, 0
	s_and_saveexec_b64 s[62:63], vcc
	s_cbranch_execz .LBB4_4764
; %bb.4755:                             ;   in Loop: Header=BB4_4548 Depth=2
	v_bfe_u32 v1, v3, 23, 8
	v_sub_u32_e32 v3, 0x79, v1
	v_cmp_gt_u32_e32 vcc, s73, v1
	v_add_u32_e32 v2, 0xffffff81, v1
	v_cndmask_b32_e32 v3, 0, v3, vcc
	v_cmp_eq_u32_e32 vcc, 0, v1
	v_mov_b32_e32 v1, 0xffffff82
	v_cndmask_b32_e32 v1, v2, v1, vcc
	v_mov_b32_e32 v2, 0x78
	v_or_b32_e32 v4, 0x800000, v52
	v_cndmask_b32_e32 v5, v3, v2, vcc
	v_cndmask_b32_e32 v52, v4, v52, vcc
	v_add_u32_e32 v2, 20, v5
	v_lshlrev_b64 v[2:3], v2, -1
	v_add_u32_e32 v4, 19, v5
	v_lshrrev_b64 v[8:9], v5, v[52:53]
	v_not_b32_e32 v3, v3
	v_not_b32_e32 v2, v2
	v_lshlrev_b64 v[6:7], v4, 1
	v_lshrrev_b32_e32 v4, 23, v8
	v_and_b32_e32 v3, 0, v3
	v_and_b32_e32 v2, v52, v2
	v_add3_u32 v4, v5, v1, v4
	v_bfe_u32 v5, v8, 20, 1
	v_add_u32_e32 v5, -1, v5
	v_cmp_eq_u64_e32 vcc, v[2:3], v[6:7]
	v_cndmask_b32_e32 v2, 0, v5, vcc
	v_add_u32_e32 v2, v2, v8
	v_and_b32_e32 v2, 0xfffff, v2
	v_add_co_u32_e32 v2, vcc, v2, v8
	v_add_u32_e32 v1, 6, v4
	v_addc_co_u32_e32 v3, vcc, 0, v9, vcc
	v_cmp_ne_u32_e32 vcc, 0, v1
                                        ; implicit-def: $vgpr31
	s_and_saveexec_b64 s[20:21], vcc
	s_xor_b64 s[20:21], exec, s[20:21]
; %bb.4756:                             ;   in Loop: Header=BB4_4548 Depth=2
	v_add_u32_e32 v4, 7, v4
	v_cmp_lt_u64_e32 vcc, s[46:47], v[2:3]
	v_cndmask_b32_e32 v31, v1, v4, vcc
	v_cndmask_b32_e64 v1, 0, 1, vcc
	v_lshrrev_b64 v[2:3], v1, v[2:3]
; %bb.4757:                             ;   in Loop: Header=BB4_4548 Depth=2
	s_andn2_saveexec_b64 s[20:21], s[20:21]
; %bb.4758:                             ;   in Loop: Header=BB4_4548 Depth=2
	v_bfe_u32 v31, v2, 23, 1
; %bb.4759:                             ;   in Loop: Header=BB4_4548 Depth=2
	s_or_b64 exec, exec, s[20:21]
	v_lshrrev_b64 v[2:3], 20, v[2:3]
	v_cmp_gt_i32_e32 vcc, 16, v31
	v_cndmask_b32_e32 v3, 0, v3, vcc
	v_cndmask_b32_e32 v2, 7, v2, vcc
	v_cmp_ne_u32_e32 vcc, 0, v31
	v_cmp_ne_u64_e64 s[20:21], 0, v[2:3]
	s_or_b64 s[20:21], vcc, s[20:21]
                                        ; implicit-def: $vgpr1
	s_and_saveexec_b64 vcc, s[20:21]
	s_xor_b64 s[20:21], exec, vcc
; %bb.4760:                             ;   in Loop: Header=BB4_4548 Depth=2
	v_min_i32_e32 v1, 15, v31
	v_lshl_or_b32 v1, v1, 3, v16
	v_and_or_b32 v1, v2, 7, v1
                                        ; implicit-def: $vgpr16
; %bb.4761:                             ;   in Loop: Header=BB4_4548 Depth=2
	s_andn2_saveexec_b64 s[20:21], s[20:21]
; %bb.4762:                             ;   in Loop: Header=BB4_4548 Depth=2
	v_mov_b32_e32 v1, v16
; %bb.4763:                             ;   in Loop: Header=BB4_4548 Depth=2
	s_or_b64 exec, exec, s[20:21]
.LBB4_4764:                             ;   in Loop: Header=BB4_4548 Depth=2
	s_or_b64 exec, exec, s[62:63]
.LBB4_4765:                             ;   in Loop: Header=BB4_4548 Depth=2
	s_andn2_saveexec_b64 s[20:21], s[60:61]
	s_or_b64 exec, exec, s[20:21]
                                        ; implicit-def: $vgpr3
.LBB4_4766:                             ;   in Loop: Header=BB4_4548 Depth=2
	s_andn2_saveexec_b64 s[20:21], s[58:59]
; %bb.4767:                             ;   in Loop: Header=BB4_4548 Depth=2
	v_or_b32_sdwa v2, v3, s71 dst_sel:DWORD dst_unused:UNUSED_PAD src0_sel:BYTE_3 src1_sel:DWORD
	v_cmp_eq_u64_e32 vcc, 0, v[52:53]
	v_cndmask_b32_e32 v1, v2, v1, vcc
; %bb.4768:                             ;   in Loop: Header=BB4_4548 Depth=2
	s_or_b64 exec, exec, s[20:21]
	v_and_b32_e32 v2, 0xff, v29
	s_and_b64 vcc, exec, s[18:19]
	v_cmp_ne_u16_e64 s[20:21], 0, v2
	s_cbranch_vccnz .LBB4_4782
; %bb.4769:                             ;   in Loop: Header=BB4_4548 Depth=2
	v_mov_b32_e32 v31, 0
	v_mov_b32_e32 v3, 0
	s_and_saveexec_b64 s[58:59], s[20:21]
	s_cbranch_execz .LBB4_4775
; %bb.4770:                             ;   in Loop: Header=BB4_4548 Depth=2
	v_cmp_ne_u16_e32 vcc, s69, v2
	v_bfrev_b32_e32 v3, 1
	s_and_saveexec_b64 s[60:61], vcc
	s_cbranch_execz .LBB4_4774
; %bb.4771:                             ;   in Loop: Header=BB4_4548 Depth=2
	v_and_b32_e32 v4, 0x7f, v29
	v_cmp_ne_u32_e32 vcc, s71, v4
	v_mov_b32_e32 v3, 0x7f800001
	s_and_saveexec_b64 s[62:63], vcc
	s_cbranch_execz .LBB4_4773
; %bb.4772:                             ;   in Loop: Header=BB4_4548 Depth=2
	v_and_b32_e32 v3, 7, v2
	v_ffbh_u32_e32 v6, v3
	v_min_u32_e32 v8, 32, v6
	v_subrev_u32_e32 v6, 28, v8
	v_lshlrev_b64 v[6:7], v6, v[2:3]
	v_lshrrev_b32_e32 v5, 3, v4
	v_sub_u32_e32 v7, 29, v8
	v_and_b32_e32 v6, 7, v6
	v_cmp_gt_u32_e32 vcc, 8, v4
	v_cndmask_b32_e32 v4, v5, v7, vcc
	v_cndmask_b32_e32 v3, v3, v6, vcc
	v_lshlrev_b32_e32 v5, 24, v29
	v_lshlrev_b32_e32 v3, 20, v3
	v_and_b32_e32 v5, 0x80000000, v5
	v_lshl_add_u32 v4, v4, 23, v51
	v_or3_b32 v3, v5, v4, v3
.LBB4_4773:                             ;   in Loop: Header=BB4_4548 Depth=2
	s_or_b64 exec, exec, s[62:63]
.LBB4_4774:                             ;   in Loop: Header=BB4_4548 Depth=2
	s_or_b64 exec, exec, s[60:61]
.LBB4_4775:                             ;   in Loop: Header=BB4_4548 Depth=2
	s_or_b64 exec, exec, s[58:59]
	v_and_b32_e32 v16, 0xff, v28
	v_cmp_ne_u16_e32 vcc, 0, v16
	s_and_saveexec_b64 s[58:59], vcc
	s_cbranch_execz .LBB4_4781
; %bb.4776:                             ;   in Loop: Header=BB4_4548 Depth=2
	v_cmp_ne_u16_e32 vcc, s69, v16
	v_bfrev_b32_e32 v31, 1
	s_and_saveexec_b64 s[60:61], vcc
	s_cbranch_execz .LBB4_4780
; %bb.4777:                             ;   in Loop: Header=BB4_4548 Depth=2
	v_and_b32_e32 v4, 0x7f, v28
	v_cmp_ne_u32_e32 vcc, s71, v4
	v_mov_b32_e32 v31, 0x7f800001
	s_and_saveexec_b64 s[62:63], vcc
	s_cbranch_execz .LBB4_4779
; %bb.4778:                             ;   in Loop: Header=BB4_4548 Depth=2
	v_and_b32_e32 v5, 7, v16
	v_ffbh_u32_e32 v6, v5
	v_min_u32_e32 v9, 32, v6
	v_subrev_u32_e32 v6, 28, v9
	v_lshlrev_b64 v[6:7], v6, v[16:17]
	v_lshrrev_b32_e32 v8, 3, v4
	v_sub_u32_e32 v7, 29, v9
	v_and_b32_e32 v6, 7, v6
	v_cmp_gt_u32_e32 vcc, 8, v4
	v_cndmask_b32_e32 v4, v8, v7, vcc
	v_cndmask_b32_e32 v5, v5, v6, vcc
	v_lshlrev_b32_e32 v6, 24, v28
	v_lshlrev_b32_e32 v5, 20, v5
	v_and_b32_e32 v6, 0x80000000, v6
	v_lshl_add_u32 v4, v4, 23, v51
	v_or3_b32 v31, v6, v4, v5
.LBB4_4779:                             ;   in Loop: Header=BB4_4548 Depth=2
	s_or_b64 exec, exec, s[62:63]
.LBB4_4780:                             ;   in Loop: Header=BB4_4548 Depth=2
	s_or_b64 exec, exec, s[60:61]
.LBB4_4781:                             ;   in Loop: Header=BB4_4548 Depth=2
	s_or_b64 exec, exec, s[58:59]
	v_max_f32_e32 v4, v31, v31
	v_max_f32_e32 v3, v3, v3
	;; [unrolled: 1-line block ×3, first 2 shown]
	s_branch .LBB4_4796
.LBB4_4782:                             ;   in Loop: Header=BB4_4548 Depth=2
                                        ; implicit-def: $vgpr3
	s_cbranch_execz .LBB4_4796
; %bb.4783:                             ;   in Loop: Header=BB4_4548 Depth=2
	v_mov_b32_e32 v16, 0
	v_mov_b32_e32 v3, 0
	s_and_saveexec_b64 s[58:59], s[20:21]
	s_cbranch_execz .LBB4_4789
; %bb.4784:                             ;   in Loop: Header=BB4_4548 Depth=2
	v_cmp_ne_u16_e32 vcc, s69, v2
	v_bfrev_b32_e32 v3, 1
	s_and_saveexec_b64 s[20:21], vcc
	s_cbranch_execz .LBB4_4788
; %bb.4785:                             ;   in Loop: Header=BB4_4548 Depth=2
	v_and_b32_e32 v4, 0x7f, v29
	v_cmp_ne_u32_e32 vcc, s71, v4
	v_mov_b32_e32 v3, 0x7f800001
	s_and_saveexec_b64 s[60:61], vcc
	s_cbranch_execz .LBB4_4787
; %bb.4786:                             ;   in Loop: Header=BB4_4548 Depth=2
	v_and_b32_e32 v5, 7, v2
	v_ffbh_u32_e32 v3, v5
	v_min_u32_e32 v7, 32, v3
	v_subrev_u32_e32 v3, 28, v7
	v_lshlrev_b64 v[2:3], v3, v[2:3]
	v_lshrrev_b32_e32 v6, 3, v4
	v_sub_u32_e32 v3, 29, v7
	v_and_b32_e32 v2, 7, v2
	v_cmp_gt_u32_e32 vcc, 8, v4
	v_cndmask_b32_e32 v3, v6, v3, vcc
	v_cndmask_b32_e32 v2, v5, v2, vcc
	v_lshlrev_b32_e32 v4, 24, v29
	v_lshlrev_b32_e32 v2, 20, v2
	v_and_b32_e32 v4, 0x80000000, v4
	v_lshl_add_u32 v3, v3, 23, v51
	v_or3_b32 v3, v4, v3, v2
.LBB4_4787:                             ;   in Loop: Header=BB4_4548 Depth=2
	s_or_b64 exec, exec, s[60:61]
.LBB4_4788:                             ;   in Loop: Header=BB4_4548 Depth=2
	s_or_b64 exec, exec, s[20:21]
.LBB4_4789:                             ;   in Loop: Header=BB4_4548 Depth=2
	s_or_b64 exec, exec, s[58:59]
	v_and_b32_e32 v2, 0xff, v28
	v_cmp_ne_u16_e32 vcc, 0, v2
	s_and_saveexec_b64 s[20:21], vcc
	s_cbranch_execz .LBB4_4795
; %bb.4790:                             ;   in Loop: Header=BB4_4548 Depth=2
	v_cmp_ne_u16_e32 vcc, s69, v2
	v_bfrev_b32_e32 v16, 1
	s_and_saveexec_b64 s[58:59], vcc
	s_cbranch_execz .LBB4_4794
; %bb.4791:                             ;   in Loop: Header=BB4_4548 Depth=2
	v_and_b32_e32 v4, 0x7f, v28
	v_cmp_ne_u32_e32 vcc, s71, v4
	v_mov_b32_e32 v16, 0x7f800001
	s_and_saveexec_b64 s[60:61], vcc
	s_cbranch_execz .LBB4_4793
; %bb.4792:                             ;   in Loop: Header=BB4_4548 Depth=2
	v_and_b32_e32 v5, 7, v2
	v_ffbh_u32_e32 v6, v5
	v_min_u32_e32 v9, 32, v6
	v_subrev_u32_e32 v6, 28, v9
	v_lshlrev_b64 v[6:7], v6, v[2:3]
	v_lshrrev_b32_e32 v8, 3, v4
	v_sub_u32_e32 v2, 29, v9
	v_and_b32_e32 v6, 7, v6
	v_cmp_gt_u32_e32 vcc, 8, v4
	v_cndmask_b32_e32 v2, v8, v2, vcc
	v_cndmask_b32_e32 v4, v5, v6, vcc
	v_lshlrev_b32_e32 v5, 24, v28
	v_lshlrev_b32_e32 v4, 20, v4
	v_and_b32_e32 v5, 0x80000000, v5
	v_lshl_add_u32 v2, v2, 23, v51
	v_or3_b32 v16, v5, v2, v4
.LBB4_4793:                             ;   in Loop: Header=BB4_4548 Depth=2
	s_or_b64 exec, exec, s[60:61]
.LBB4_4794:                             ;   in Loop: Header=BB4_4548 Depth=2
	s_or_b64 exec, exec, s[58:59]
.LBB4_4795:                             ;   in Loop: Header=BB4_4548 Depth=2
	s_or_b64 exec, exec, s[20:21]
	v_max_f32_e32 v2, v16, v16
	v_max_f32_e32 v3, v3, v3
	v_min_f32_e32 v3, v3, v2
.LBB4_4796:                             ;   in Loop: Header=BB4_4548 Depth=2
	v_and_b32_sdwa v16, v3, s69 dst_sel:DWORD dst_unused:UNUSED_PAD src0_sel:BYTE_3 src1_sel:DWORD
	v_and_b32_e32 v4, 0x7f800000, v3
	v_mov_b32_e32 v5, v53
	v_and_b32_e32 v52, 0x7fffff, v3
	v_or_b32_e32 v28, 0x7e, v16
	v_cmp_ne_u64_e32 vcc, s[40:41], v[4:5]
	s_and_saveexec_b64 s[20:21], vcc
	s_xor_b64 s[58:59], exec, s[20:21]
	s_cbranch_execz .LBB4_4810
; %bb.4797:                             ;   in Loop: Header=BB4_4548 Depth=2
	v_and_b32_e32 v4, 0x7fffffff, v3
	v_mov_b32_e32 v5, v53
	v_cmp_gt_u64_e32 vcc, s[42:43], v[4:5]
	s_and_saveexec_b64 s[20:21], vcc
	s_xor_b64 s[60:61], exec, s[20:21]
	s_cbranch_execz .LBB4_4809
; %bb.4798:                             ;   in Loop: Header=BB4_4548 Depth=2
	v_cmp_ne_u32_e32 vcc, 0, v3
	v_mov_b32_e32 v28, 0
	s_and_saveexec_b64 s[62:63], vcc
	s_cbranch_execz .LBB4_4808
; %bb.4799:                             ;   in Loop: Header=BB4_4548 Depth=2
	v_bfe_u32 v2, v3, 23, 8
	v_sub_u32_e32 v4, 0x79, v2
	v_cmp_gt_u32_e32 vcc, s73, v2
	v_add_u32_e32 v3, 0xffffff81, v2
	v_cndmask_b32_e32 v4, 0, v4, vcc
	v_cmp_eq_u32_e32 vcc, 0, v2
	v_mov_b32_e32 v2, 0xffffff82
	v_cndmask_b32_e32 v28, v3, v2, vcc
	v_mov_b32_e32 v2, 0x78
	v_or_b32_e32 v5, 0x800000, v52
	v_cndmask_b32_e32 v4, v4, v2, vcc
	v_cndmask_b32_e32 v52, v5, v52, vcc
	v_add_u32_e32 v2, 20, v4
	v_lshlrev_b64 v[2:3], v2, -1
	v_add_u32_e32 v5, 19, v4
	v_lshrrev_b64 v[8:9], v4, v[52:53]
	v_not_b32_e32 v3, v3
	v_not_b32_e32 v2, v2
	v_lshlrev_b64 v[6:7], v5, 1
	v_lshrrev_b32_e32 v5, 23, v8
	v_and_b32_e32 v3, 0, v3
	v_and_b32_e32 v2, v52, v2
	v_add3_u32 v4, v4, v28, v5
	v_bfe_u32 v5, v8, 20, 1
	v_add_u32_e32 v5, -1, v5
	v_cmp_eq_u64_e32 vcc, v[2:3], v[6:7]
	v_cndmask_b32_e32 v2, 0, v5, vcc
	v_add_u32_e32 v2, v2, v8
	v_and_b32_e32 v2, 0xfffff, v2
	v_add_co_u32_e32 v2, vcc, v2, v8
	v_add_u32_e32 v28, 6, v4
	v_addc_co_u32_e32 v3, vcc, 0, v9, vcc
	v_cmp_ne_u32_e32 vcc, 0, v28
                                        ; implicit-def: $vgpr29
	s_and_saveexec_b64 s[20:21], vcc
	s_xor_b64 s[20:21], exec, s[20:21]
; %bb.4800:                             ;   in Loop: Header=BB4_4548 Depth=2
	v_add_u32_e32 v4, 7, v4
	v_cmp_lt_u64_e32 vcc, s[46:47], v[2:3]
	v_cndmask_b32_e32 v29, v28, v4, vcc
	v_cndmask_b32_e64 v4, 0, 1, vcc
	v_lshrrev_b64 v[2:3], v4, v[2:3]
; %bb.4801:                             ;   in Loop: Header=BB4_4548 Depth=2
	s_andn2_saveexec_b64 s[20:21], s[20:21]
; %bb.4802:                             ;   in Loop: Header=BB4_4548 Depth=2
	v_bfe_u32 v29, v2, 23, 1
; %bb.4803:                             ;   in Loop: Header=BB4_4548 Depth=2
	s_or_b64 exec, exec, s[20:21]
	v_lshrrev_b64 v[2:3], 20, v[2:3]
	v_cmp_gt_i32_e32 vcc, 16, v29
	v_cndmask_b32_e32 v3, 0, v3, vcc
	v_cndmask_b32_e32 v2, 7, v2, vcc
	v_cmp_ne_u32_e32 vcc, 0, v29
	v_cmp_ne_u64_e64 s[20:21], 0, v[2:3]
	s_or_b64 s[20:21], vcc, s[20:21]
                                        ; implicit-def: $vgpr28
	s_and_saveexec_b64 vcc, s[20:21]
	s_xor_b64 s[20:21], exec, vcc
; %bb.4804:                             ;   in Loop: Header=BB4_4548 Depth=2
	v_min_i32_e32 v3, 15, v29
	v_lshl_or_b32 v3, v3, 3, v16
	v_and_or_b32 v28, v2, 7, v3
                                        ; implicit-def: $vgpr16
; %bb.4805:                             ;   in Loop: Header=BB4_4548 Depth=2
	s_andn2_saveexec_b64 s[20:21], s[20:21]
; %bb.4806:                             ;   in Loop: Header=BB4_4548 Depth=2
	v_mov_b32_e32 v28, v16
; %bb.4807:                             ;   in Loop: Header=BB4_4548 Depth=2
	s_or_b64 exec, exec, s[20:21]
.LBB4_4808:                             ;   in Loop: Header=BB4_4548 Depth=2
	s_or_b64 exec, exec, s[62:63]
.LBB4_4809:                             ;   in Loop: Header=BB4_4548 Depth=2
	s_andn2_saveexec_b64 s[20:21], s[60:61]
	s_or_b64 exec, exec, s[20:21]
                                        ; implicit-def: $vgpr3
.LBB4_4810:                             ;   in Loop: Header=BB4_4548 Depth=2
	s_andn2_saveexec_b64 s[20:21], s[58:59]
; %bb.4811:                             ;   in Loop: Header=BB4_4548 Depth=2
	v_or_b32_sdwa v2, v3, s71 dst_sel:DWORD dst_unused:UNUSED_PAD src0_sel:BYTE_3 src1_sel:DWORD
	v_cmp_eq_u64_e32 vcc, 0, v[52:53]
	v_cndmask_b32_e32 v28, v2, v28, vcc
; %bb.4812:                             ;   in Loop: Header=BB4_4548 Depth=2
	s_or_b64 exec, exec, s[20:21]
	v_and_b32_e32 v2, 0xff, v26
	s_and_b64 vcc, exec, s[18:19]
	v_cmp_ne_u16_e64 s[20:21], 0, v2
	s_cbranch_vccnz .LBB4_4826
; %bb.4813:                             ;   in Loop: Header=BB4_4548 Depth=2
	v_mov_b32_e32 v29, 0
	v_mov_b32_e32 v3, 0
	s_and_saveexec_b64 s[58:59], s[20:21]
	s_cbranch_execz .LBB4_4819
; %bb.4814:                             ;   in Loop: Header=BB4_4548 Depth=2
	v_cmp_ne_u16_e32 vcc, s69, v2
	v_bfrev_b32_e32 v3, 1
	s_and_saveexec_b64 s[60:61], vcc
	s_cbranch_execz .LBB4_4818
; %bb.4815:                             ;   in Loop: Header=BB4_4548 Depth=2
	v_and_b32_e32 v4, 0x7f, v26
	v_cmp_ne_u32_e32 vcc, s71, v4
	v_mov_b32_e32 v3, 0x7f800001
	s_and_saveexec_b64 s[62:63], vcc
	s_cbranch_execz .LBB4_4817
; %bb.4816:                             ;   in Loop: Header=BB4_4548 Depth=2
	v_and_b32_e32 v3, 7, v2
	v_ffbh_u32_e32 v6, v3
	v_min_u32_e32 v8, 32, v6
	v_subrev_u32_e32 v6, 28, v8
	v_lshlrev_b64 v[6:7], v6, v[2:3]
	v_lshrrev_b32_e32 v5, 3, v4
	v_sub_u32_e32 v7, 29, v8
	v_and_b32_e32 v6, 7, v6
	v_cmp_gt_u32_e32 vcc, 8, v4
	v_cndmask_b32_e32 v4, v5, v7, vcc
	v_cndmask_b32_e32 v3, v3, v6, vcc
	v_lshlrev_b32_e32 v5, 24, v26
	v_lshlrev_b32_e32 v3, 20, v3
	v_and_b32_e32 v5, 0x80000000, v5
	v_lshl_add_u32 v4, v4, 23, v51
	v_or3_b32 v3, v5, v4, v3
.LBB4_4817:                             ;   in Loop: Header=BB4_4548 Depth=2
	s_or_b64 exec, exec, s[62:63]
.LBB4_4818:                             ;   in Loop: Header=BB4_4548 Depth=2
	s_or_b64 exec, exec, s[60:61]
.LBB4_4819:                             ;   in Loop: Header=BB4_4548 Depth=2
	s_or_b64 exec, exec, s[58:59]
	v_and_b32_e32 v16, 0xff, v25
	v_cmp_ne_u16_e32 vcc, 0, v16
	s_and_saveexec_b64 s[58:59], vcc
	s_cbranch_execz .LBB4_4825
; %bb.4820:                             ;   in Loop: Header=BB4_4548 Depth=2
	v_cmp_ne_u16_e32 vcc, s69, v16
	v_bfrev_b32_e32 v29, 1
	s_and_saveexec_b64 s[60:61], vcc
	s_cbranch_execz .LBB4_4824
; %bb.4821:                             ;   in Loop: Header=BB4_4548 Depth=2
	v_and_b32_e32 v4, 0x7f, v25
	v_cmp_ne_u32_e32 vcc, s71, v4
	v_mov_b32_e32 v29, 0x7f800001
	s_and_saveexec_b64 s[62:63], vcc
	s_cbranch_execz .LBB4_4823
; %bb.4822:                             ;   in Loop: Header=BB4_4548 Depth=2
	v_and_b32_e32 v5, 7, v16
	v_ffbh_u32_e32 v6, v5
	v_min_u32_e32 v9, 32, v6
	v_subrev_u32_e32 v6, 28, v9
	v_lshlrev_b64 v[6:7], v6, v[16:17]
	v_lshrrev_b32_e32 v8, 3, v4
	v_sub_u32_e32 v7, 29, v9
	v_and_b32_e32 v6, 7, v6
	v_cmp_gt_u32_e32 vcc, 8, v4
	v_cndmask_b32_e32 v4, v8, v7, vcc
	v_cndmask_b32_e32 v5, v5, v6, vcc
	v_lshlrev_b32_e32 v6, 24, v25
	v_lshlrev_b32_e32 v5, 20, v5
	v_and_b32_e32 v6, 0x80000000, v6
	v_lshl_add_u32 v4, v4, 23, v51
	v_or3_b32 v29, v6, v4, v5
.LBB4_4823:                             ;   in Loop: Header=BB4_4548 Depth=2
	s_or_b64 exec, exec, s[62:63]
.LBB4_4824:                             ;   in Loop: Header=BB4_4548 Depth=2
	s_or_b64 exec, exec, s[60:61]
.LBB4_4825:                             ;   in Loop: Header=BB4_4548 Depth=2
	s_or_b64 exec, exec, s[58:59]
	v_max_f32_e32 v4, v29, v29
	v_max_f32_e32 v3, v3, v3
	;; [unrolled: 1-line block ×3, first 2 shown]
	s_branch .LBB4_4840
.LBB4_4826:                             ;   in Loop: Header=BB4_4548 Depth=2
                                        ; implicit-def: $vgpr3
	s_cbranch_execz .LBB4_4840
; %bb.4827:                             ;   in Loop: Header=BB4_4548 Depth=2
	v_mov_b32_e32 v16, 0
	v_mov_b32_e32 v3, 0
	s_and_saveexec_b64 s[58:59], s[20:21]
	s_cbranch_execz .LBB4_4833
; %bb.4828:                             ;   in Loop: Header=BB4_4548 Depth=2
	v_cmp_ne_u16_e32 vcc, s69, v2
	v_bfrev_b32_e32 v3, 1
	s_and_saveexec_b64 s[20:21], vcc
	s_cbranch_execz .LBB4_4832
; %bb.4829:                             ;   in Loop: Header=BB4_4548 Depth=2
	v_and_b32_e32 v4, 0x7f, v26
	v_cmp_ne_u32_e32 vcc, s71, v4
	v_mov_b32_e32 v3, 0x7f800001
	s_and_saveexec_b64 s[60:61], vcc
	s_cbranch_execz .LBB4_4831
; %bb.4830:                             ;   in Loop: Header=BB4_4548 Depth=2
	v_and_b32_e32 v5, 7, v2
	v_ffbh_u32_e32 v3, v5
	v_min_u32_e32 v7, 32, v3
	v_subrev_u32_e32 v3, 28, v7
	v_lshlrev_b64 v[2:3], v3, v[2:3]
	v_lshrrev_b32_e32 v6, 3, v4
	v_sub_u32_e32 v3, 29, v7
	v_and_b32_e32 v2, 7, v2
	v_cmp_gt_u32_e32 vcc, 8, v4
	v_cndmask_b32_e32 v3, v6, v3, vcc
	v_cndmask_b32_e32 v2, v5, v2, vcc
	v_lshlrev_b32_e32 v4, 24, v26
	v_lshlrev_b32_e32 v2, 20, v2
	v_and_b32_e32 v4, 0x80000000, v4
	v_lshl_add_u32 v3, v3, 23, v51
	v_or3_b32 v3, v4, v3, v2
.LBB4_4831:                             ;   in Loop: Header=BB4_4548 Depth=2
	s_or_b64 exec, exec, s[60:61]
.LBB4_4832:                             ;   in Loop: Header=BB4_4548 Depth=2
	s_or_b64 exec, exec, s[20:21]
.LBB4_4833:                             ;   in Loop: Header=BB4_4548 Depth=2
	s_or_b64 exec, exec, s[58:59]
	v_and_b32_e32 v2, 0xff, v25
	v_cmp_ne_u16_e32 vcc, 0, v2
	s_and_saveexec_b64 s[20:21], vcc
	s_cbranch_execz .LBB4_4839
; %bb.4834:                             ;   in Loop: Header=BB4_4548 Depth=2
	v_cmp_ne_u16_e32 vcc, s69, v2
	v_bfrev_b32_e32 v16, 1
	s_and_saveexec_b64 s[58:59], vcc
	s_cbranch_execz .LBB4_4838
; %bb.4835:                             ;   in Loop: Header=BB4_4548 Depth=2
	v_and_b32_e32 v4, 0x7f, v25
	v_cmp_ne_u32_e32 vcc, s71, v4
	v_mov_b32_e32 v16, 0x7f800001
	s_and_saveexec_b64 s[60:61], vcc
	s_cbranch_execz .LBB4_4837
; %bb.4836:                             ;   in Loop: Header=BB4_4548 Depth=2
	v_and_b32_e32 v5, 7, v2
	v_ffbh_u32_e32 v6, v5
	v_min_u32_e32 v9, 32, v6
	v_subrev_u32_e32 v6, 28, v9
	v_lshlrev_b64 v[6:7], v6, v[2:3]
	v_lshrrev_b32_e32 v8, 3, v4
	v_sub_u32_e32 v2, 29, v9
	v_and_b32_e32 v6, 7, v6
	v_cmp_gt_u32_e32 vcc, 8, v4
	v_cndmask_b32_e32 v2, v8, v2, vcc
	v_cndmask_b32_e32 v4, v5, v6, vcc
	v_lshlrev_b32_e32 v5, 24, v25
	v_lshlrev_b32_e32 v4, 20, v4
	v_and_b32_e32 v5, 0x80000000, v5
	v_lshl_add_u32 v2, v2, 23, v51
	v_or3_b32 v16, v5, v2, v4
.LBB4_4837:                             ;   in Loop: Header=BB4_4548 Depth=2
	s_or_b64 exec, exec, s[60:61]
.LBB4_4838:                             ;   in Loop: Header=BB4_4548 Depth=2
	s_or_b64 exec, exec, s[58:59]
.LBB4_4839:                             ;   in Loop: Header=BB4_4548 Depth=2
	s_or_b64 exec, exec, s[20:21]
	v_max_f32_e32 v2, v16, v16
	v_max_f32_e32 v3, v3, v3
	v_min_f32_e32 v3, v3, v2
.LBB4_4840:                             ;   in Loop: Header=BB4_4548 Depth=2
	v_and_b32_sdwa v16, v3, s69 dst_sel:DWORD dst_unused:UNUSED_PAD src0_sel:BYTE_3 src1_sel:DWORD
	v_and_b32_e32 v4, 0x7f800000, v3
	v_mov_b32_e32 v5, v53
	v_and_b32_e32 v52, 0x7fffff, v3
	v_or_b32_e32 v25, 0x7e, v16
	v_cmp_ne_u64_e32 vcc, s[40:41], v[4:5]
	s_and_saveexec_b64 s[20:21], vcc
	s_xor_b64 s[58:59], exec, s[20:21]
	s_cbranch_execz .LBB4_4854
; %bb.4841:                             ;   in Loop: Header=BB4_4548 Depth=2
	v_and_b32_e32 v4, 0x7fffffff, v3
	v_mov_b32_e32 v5, v53
	v_cmp_gt_u64_e32 vcc, s[42:43], v[4:5]
	s_and_saveexec_b64 s[20:21], vcc
	s_xor_b64 s[60:61], exec, s[20:21]
	s_cbranch_execz .LBB4_4853
; %bb.4842:                             ;   in Loop: Header=BB4_4548 Depth=2
	v_cmp_ne_u32_e32 vcc, 0, v3
	v_mov_b32_e32 v25, 0
	s_and_saveexec_b64 s[62:63], vcc
	s_cbranch_execz .LBB4_4852
; %bb.4843:                             ;   in Loop: Header=BB4_4548 Depth=2
	v_bfe_u32 v2, v3, 23, 8
	v_sub_u32_e32 v4, 0x79, v2
	v_cmp_gt_u32_e32 vcc, s73, v2
	v_add_u32_e32 v3, 0xffffff81, v2
	v_cndmask_b32_e32 v4, 0, v4, vcc
	v_cmp_eq_u32_e32 vcc, 0, v2
	v_mov_b32_e32 v2, 0xffffff82
	v_cndmask_b32_e32 v25, v3, v2, vcc
	v_mov_b32_e32 v2, 0x78
	v_or_b32_e32 v5, 0x800000, v52
	v_cndmask_b32_e32 v4, v4, v2, vcc
	v_cndmask_b32_e32 v52, v5, v52, vcc
	v_add_u32_e32 v2, 20, v4
	v_lshlrev_b64 v[2:3], v2, -1
	v_add_u32_e32 v5, 19, v4
	v_lshrrev_b64 v[8:9], v4, v[52:53]
	v_not_b32_e32 v3, v3
	v_not_b32_e32 v2, v2
	v_lshlrev_b64 v[6:7], v5, 1
	v_lshrrev_b32_e32 v5, 23, v8
	v_and_b32_e32 v3, 0, v3
	v_and_b32_e32 v2, v52, v2
	v_add3_u32 v4, v4, v25, v5
	v_bfe_u32 v5, v8, 20, 1
	v_add_u32_e32 v5, -1, v5
	v_cmp_eq_u64_e32 vcc, v[2:3], v[6:7]
	v_cndmask_b32_e32 v2, 0, v5, vcc
	v_add_u32_e32 v2, v2, v8
	v_and_b32_e32 v2, 0xfffff, v2
	v_add_co_u32_e32 v2, vcc, v2, v8
	v_add_u32_e32 v25, 6, v4
	v_addc_co_u32_e32 v3, vcc, 0, v9, vcc
	v_cmp_ne_u32_e32 vcc, 0, v25
                                        ; implicit-def: $vgpr26
	s_and_saveexec_b64 s[20:21], vcc
	s_xor_b64 s[20:21], exec, s[20:21]
; %bb.4844:                             ;   in Loop: Header=BB4_4548 Depth=2
	v_add_u32_e32 v4, 7, v4
	v_cmp_lt_u64_e32 vcc, s[46:47], v[2:3]
	v_cndmask_b32_e32 v26, v25, v4, vcc
	v_cndmask_b32_e64 v4, 0, 1, vcc
	v_lshrrev_b64 v[2:3], v4, v[2:3]
; %bb.4845:                             ;   in Loop: Header=BB4_4548 Depth=2
	s_andn2_saveexec_b64 s[20:21], s[20:21]
; %bb.4846:                             ;   in Loop: Header=BB4_4548 Depth=2
	v_bfe_u32 v26, v2, 23, 1
; %bb.4847:                             ;   in Loop: Header=BB4_4548 Depth=2
	s_or_b64 exec, exec, s[20:21]
	v_lshrrev_b64 v[2:3], 20, v[2:3]
	v_cmp_gt_i32_e32 vcc, 16, v26
	v_cndmask_b32_e32 v3, 0, v3, vcc
	v_cndmask_b32_e32 v2, 7, v2, vcc
	v_cmp_ne_u32_e32 vcc, 0, v26
	v_cmp_ne_u64_e64 s[20:21], 0, v[2:3]
	s_or_b64 s[20:21], vcc, s[20:21]
                                        ; implicit-def: $vgpr25
	s_and_saveexec_b64 vcc, s[20:21]
	s_xor_b64 s[20:21], exec, vcc
; %bb.4848:                             ;   in Loop: Header=BB4_4548 Depth=2
	v_min_i32_e32 v3, 15, v26
	v_lshl_or_b32 v3, v3, 3, v16
	v_and_or_b32 v25, v2, 7, v3
                                        ; implicit-def: $vgpr16
; %bb.4849:                             ;   in Loop: Header=BB4_4548 Depth=2
	s_andn2_saveexec_b64 s[20:21], s[20:21]
; %bb.4850:                             ;   in Loop: Header=BB4_4548 Depth=2
	v_mov_b32_e32 v25, v16
; %bb.4851:                             ;   in Loop: Header=BB4_4548 Depth=2
	s_or_b64 exec, exec, s[20:21]
.LBB4_4852:                             ;   in Loop: Header=BB4_4548 Depth=2
	s_or_b64 exec, exec, s[62:63]
.LBB4_4853:                             ;   in Loop: Header=BB4_4548 Depth=2
	s_andn2_saveexec_b64 s[20:21], s[60:61]
	s_or_b64 exec, exec, s[20:21]
                                        ; implicit-def: $vgpr3
.LBB4_4854:                             ;   in Loop: Header=BB4_4548 Depth=2
	s_andn2_saveexec_b64 s[20:21], s[58:59]
; %bb.4855:                             ;   in Loop: Header=BB4_4548 Depth=2
	v_or_b32_sdwa v2, v3, s71 dst_sel:DWORD dst_unused:UNUSED_PAD src0_sel:BYTE_3 src1_sel:DWORD
	v_cmp_eq_u64_e32 vcc, 0, v[52:53]
	v_cndmask_b32_e32 v25, v2, v25, vcc
; %bb.4856:                             ;   in Loop: Header=BB4_4548 Depth=2
	s_or_b64 exec, exec, s[20:21]
	v_and_b32_e32 v2, 0xff, v23
	s_and_b64 vcc, exec, s[18:19]
	v_cmp_ne_u16_e64 s[18:19], 0, v2
	s_cbranch_vccnz .LBB4_4870
; %bb.4857:                             ;   in Loop: Header=BB4_4548 Depth=2
	v_mov_b32_e32 v26, 0
	v_mov_b32_e32 v3, 0
	s_and_saveexec_b64 s[20:21], s[18:19]
	s_cbranch_execz .LBB4_4863
; %bb.4858:                             ;   in Loop: Header=BB4_4548 Depth=2
	v_cmp_ne_u16_e32 vcc, s69, v2
	v_bfrev_b32_e32 v3, 1
	s_and_saveexec_b64 s[58:59], vcc
	s_cbranch_execz .LBB4_4862
; %bb.4859:                             ;   in Loop: Header=BB4_4548 Depth=2
	v_and_b32_e32 v4, 0x7f, v23
	v_cmp_ne_u32_e32 vcc, s71, v4
	v_mov_b32_e32 v3, 0x7f800001
	s_and_saveexec_b64 s[60:61], vcc
	s_cbranch_execz .LBB4_4861
; %bb.4860:                             ;   in Loop: Header=BB4_4548 Depth=2
	v_and_b32_e32 v3, 7, v2
	v_ffbh_u32_e32 v6, v3
	v_min_u32_e32 v8, 32, v6
	v_subrev_u32_e32 v6, 28, v8
	v_lshlrev_b64 v[6:7], v6, v[2:3]
	v_lshrrev_b32_e32 v5, 3, v4
	v_sub_u32_e32 v7, 29, v8
	v_and_b32_e32 v6, 7, v6
	v_cmp_gt_u32_e32 vcc, 8, v4
	v_cndmask_b32_e32 v4, v5, v7, vcc
	v_cndmask_b32_e32 v3, v3, v6, vcc
	v_lshlrev_b32_e32 v5, 24, v23
	v_lshlrev_b32_e32 v3, 20, v3
	v_and_b32_e32 v5, 0x80000000, v5
	v_lshl_add_u32 v4, v4, 23, v51
	v_or3_b32 v3, v5, v4, v3
.LBB4_4861:                             ;   in Loop: Header=BB4_4548 Depth=2
	s_or_b64 exec, exec, s[60:61]
.LBB4_4862:                             ;   in Loop: Header=BB4_4548 Depth=2
	s_or_b64 exec, exec, s[58:59]
.LBB4_4863:                             ;   in Loop: Header=BB4_4548 Depth=2
	s_or_b64 exec, exec, s[20:21]
	v_and_b32_e32 v16, 0xff, v22
	v_cmp_ne_u16_e32 vcc, 0, v16
	s_and_saveexec_b64 s[20:21], vcc
	s_cbranch_execz .LBB4_4869
; %bb.4864:                             ;   in Loop: Header=BB4_4548 Depth=2
	v_cmp_ne_u16_e32 vcc, s69, v16
	v_bfrev_b32_e32 v26, 1
	s_and_saveexec_b64 s[58:59], vcc
	s_cbranch_execz .LBB4_4868
; %bb.4865:                             ;   in Loop: Header=BB4_4548 Depth=2
	v_and_b32_e32 v4, 0x7f, v22
	v_cmp_ne_u32_e32 vcc, s71, v4
	v_mov_b32_e32 v26, 0x7f800001
	s_and_saveexec_b64 s[60:61], vcc
	s_cbranch_execz .LBB4_4867
; %bb.4866:                             ;   in Loop: Header=BB4_4548 Depth=2
	v_and_b32_e32 v5, 7, v16
	v_ffbh_u32_e32 v6, v5
	v_min_u32_e32 v9, 32, v6
	v_subrev_u32_e32 v6, 28, v9
	v_lshlrev_b64 v[6:7], v6, v[16:17]
	v_lshrrev_b32_e32 v8, 3, v4
	v_sub_u32_e32 v7, 29, v9
	v_and_b32_e32 v6, 7, v6
	v_cmp_gt_u32_e32 vcc, 8, v4
	v_cndmask_b32_e32 v4, v8, v7, vcc
	v_cndmask_b32_e32 v5, v5, v6, vcc
	v_lshlrev_b32_e32 v6, 24, v22
	v_lshlrev_b32_e32 v5, 20, v5
	v_and_b32_e32 v6, 0x80000000, v6
	v_lshl_add_u32 v4, v4, 23, v51
	v_or3_b32 v26, v6, v4, v5
.LBB4_4867:                             ;   in Loop: Header=BB4_4548 Depth=2
	s_or_b64 exec, exec, s[60:61]
.LBB4_4868:                             ;   in Loop: Header=BB4_4548 Depth=2
	s_or_b64 exec, exec, s[58:59]
.LBB4_4869:                             ;   in Loop: Header=BB4_4548 Depth=2
	s_or_b64 exec, exec, s[20:21]
	v_max_f32_e32 v4, v26, v26
	v_max_f32_e32 v3, v3, v3
	;; [unrolled: 1-line block ×3, first 2 shown]
	s_branch .LBB4_4884
.LBB4_4870:                             ;   in Loop: Header=BB4_4548 Depth=2
                                        ; implicit-def: $vgpr26
	s_cbranch_execz .LBB4_4884
; %bb.4871:                             ;   in Loop: Header=BB4_4548 Depth=2
	v_mov_b32_e32 v16, 0
	v_mov_b32_e32 v3, 0
	s_and_saveexec_b64 s[20:21], s[18:19]
	s_cbranch_execz .LBB4_4877
; %bb.4872:                             ;   in Loop: Header=BB4_4548 Depth=2
	v_cmp_ne_u16_e32 vcc, s69, v2
	v_bfrev_b32_e32 v3, 1
	s_and_saveexec_b64 s[18:19], vcc
	s_cbranch_execz .LBB4_4876
; %bb.4873:                             ;   in Loop: Header=BB4_4548 Depth=2
	v_and_b32_e32 v4, 0x7f, v23
	v_cmp_ne_u32_e32 vcc, s71, v4
	v_mov_b32_e32 v3, 0x7f800001
	s_and_saveexec_b64 s[58:59], vcc
	s_cbranch_execz .LBB4_4875
; %bb.4874:                             ;   in Loop: Header=BB4_4548 Depth=2
	v_and_b32_e32 v5, 7, v2
	v_ffbh_u32_e32 v3, v5
	v_min_u32_e32 v7, 32, v3
	v_subrev_u32_e32 v3, 28, v7
	v_lshlrev_b64 v[2:3], v3, v[2:3]
	v_lshrrev_b32_e32 v6, 3, v4
	v_sub_u32_e32 v3, 29, v7
	v_and_b32_e32 v2, 7, v2
	v_cmp_gt_u32_e32 vcc, 8, v4
	v_cndmask_b32_e32 v3, v6, v3, vcc
	v_cndmask_b32_e32 v2, v5, v2, vcc
	v_lshlrev_b32_e32 v4, 24, v23
	v_lshlrev_b32_e32 v2, 20, v2
	v_and_b32_e32 v4, 0x80000000, v4
	v_lshl_add_u32 v3, v3, 23, v51
	v_or3_b32 v3, v4, v3, v2
.LBB4_4875:                             ;   in Loop: Header=BB4_4548 Depth=2
	s_or_b64 exec, exec, s[58:59]
.LBB4_4876:                             ;   in Loop: Header=BB4_4548 Depth=2
	s_or_b64 exec, exec, s[18:19]
.LBB4_4877:                             ;   in Loop: Header=BB4_4548 Depth=2
	s_or_b64 exec, exec, s[20:21]
	v_and_b32_e32 v2, 0xff, v22
	v_cmp_ne_u16_e32 vcc, 0, v2
	s_and_saveexec_b64 s[18:19], vcc
	s_cbranch_execz .LBB4_4883
; %bb.4878:                             ;   in Loop: Header=BB4_4548 Depth=2
	v_cmp_ne_u16_e32 vcc, s69, v2
	v_bfrev_b32_e32 v16, 1
	s_and_saveexec_b64 s[20:21], vcc
	s_cbranch_execz .LBB4_4882
; %bb.4879:                             ;   in Loop: Header=BB4_4548 Depth=2
	v_and_b32_e32 v4, 0x7f, v22
	v_cmp_ne_u32_e32 vcc, s71, v4
	v_mov_b32_e32 v16, 0x7f800001
	s_and_saveexec_b64 s[58:59], vcc
	s_cbranch_execz .LBB4_4881
; %bb.4880:                             ;   in Loop: Header=BB4_4548 Depth=2
	v_and_b32_e32 v5, 7, v2
	v_ffbh_u32_e32 v6, v5
	v_min_u32_e32 v9, 32, v6
	v_subrev_u32_e32 v6, 28, v9
	v_lshlrev_b64 v[6:7], v6, v[2:3]
	v_lshrrev_b32_e32 v8, 3, v4
	v_sub_u32_e32 v2, 29, v9
	v_and_b32_e32 v6, 7, v6
	v_cmp_gt_u32_e32 vcc, 8, v4
	v_cndmask_b32_e32 v2, v8, v2, vcc
	v_cndmask_b32_e32 v4, v5, v6, vcc
	v_lshlrev_b32_e32 v5, 24, v22
	v_lshlrev_b32_e32 v4, 20, v4
	v_and_b32_e32 v5, 0x80000000, v5
	v_lshl_add_u32 v2, v2, 23, v51
	v_or3_b32 v16, v5, v2, v4
.LBB4_4881:                             ;   in Loop: Header=BB4_4548 Depth=2
	s_or_b64 exec, exec, s[58:59]
.LBB4_4882:                             ;   in Loop: Header=BB4_4548 Depth=2
	s_or_b64 exec, exec, s[20:21]
.LBB4_4883:                             ;   in Loop: Header=BB4_4548 Depth=2
	s_or_b64 exec, exec, s[18:19]
	v_max_f32_e32 v2, v16, v16
	v_max_f32_e32 v3, v3, v3
	v_min_f32_e32 v26, v3, v2
.LBB4_4884:                             ;   in Loop: Header=BB4_4548 Depth=2
	v_and_b32_sdwa v16, v26, s69 dst_sel:DWORD dst_unused:UNUSED_PAD src0_sel:BYTE_3 src1_sel:DWORD
	v_and_b32_e32 v4, 0x7f800000, v26
	v_mov_b32_e32 v5, v53
	v_and_b32_e32 v52, 0x7fffff, v26
	v_or_b32_e32 v3, 0x7e, v16
	v_cmp_ne_u64_e32 vcc, s[40:41], v[4:5]
	s_and_saveexec_b64 s[18:19], vcc
	s_xor_b64 s[20:21], exec, s[18:19]
	s_cbranch_execz .LBB4_4898
; %bb.4885:                             ;   in Loop: Header=BB4_4548 Depth=2
	v_and_b32_e32 v4, 0x7fffffff, v26
	v_mov_b32_e32 v5, v53
	v_cmp_gt_u64_e32 vcc, s[42:43], v[4:5]
	s_and_saveexec_b64 s[18:19], vcc
	s_xor_b64 s[58:59], exec, s[18:19]
	s_cbranch_execz .LBB4_4897
; %bb.4886:                             ;   in Loop: Header=BB4_4548 Depth=2
	v_cmp_ne_u32_e32 vcc, 0, v26
	v_mov_b32_e32 v3, 0
	s_and_saveexec_b64 s[60:61], vcc
	s_cbranch_execz .LBB4_4896
; %bb.4887:                             ;   in Loop: Header=BB4_4548 Depth=2
	v_bfe_u32 v2, v26, 23, 8
	v_sub_u32_e32 v4, 0x79, v2
	v_cmp_gt_u32_e32 vcc, s73, v2
	v_add_u32_e32 v3, 0xffffff81, v2
	v_cndmask_b32_e32 v4, 0, v4, vcc
	v_cmp_eq_u32_e32 vcc, 0, v2
	v_mov_b32_e32 v2, 0xffffff82
	v_cndmask_b32_e32 v22, v3, v2, vcc
	v_mov_b32_e32 v2, 0x78
	v_or_b32_e32 v5, 0x800000, v52
	v_cndmask_b32_e32 v4, v4, v2, vcc
	v_cndmask_b32_e32 v52, v5, v52, vcc
	v_add_u32_e32 v2, 20, v4
	v_lshlrev_b64 v[2:3], v2, -1
	v_add_u32_e32 v5, 19, v4
	v_lshrrev_b64 v[8:9], v4, v[52:53]
	v_not_b32_e32 v3, v3
	v_not_b32_e32 v2, v2
	v_lshlrev_b64 v[6:7], v5, 1
	v_lshrrev_b32_e32 v5, 23, v8
	v_and_b32_e32 v3, 0, v3
	v_and_b32_e32 v2, v52, v2
	v_add3_u32 v4, v4, v22, v5
	v_bfe_u32 v5, v8, 20, 1
	v_add_u32_e32 v5, -1, v5
	v_cmp_eq_u64_e32 vcc, v[2:3], v[6:7]
	v_cndmask_b32_e32 v2, 0, v5, vcc
	v_add_u32_e32 v2, v2, v8
	v_and_b32_e32 v2, 0xfffff, v2
	v_add_co_u32_e32 v2, vcc, v2, v8
	v_add_u32_e32 v23, 6, v4
	v_addc_co_u32_e32 v3, vcc, 0, v9, vcc
	v_cmp_ne_u32_e32 vcc, 0, v23
                                        ; implicit-def: $vgpr22
	s_and_saveexec_b64 s[18:19], vcc
	s_xor_b64 s[18:19], exec, s[18:19]
; %bb.4888:                             ;   in Loop: Header=BB4_4548 Depth=2
	v_add_u32_e32 v4, 7, v4
	v_cmp_lt_u64_e32 vcc, s[46:47], v[2:3]
	v_cndmask_b32_e32 v22, v23, v4, vcc
	v_cndmask_b32_e64 v4, 0, 1, vcc
	v_lshrrev_b64 v[2:3], v4, v[2:3]
; %bb.4889:                             ;   in Loop: Header=BB4_4548 Depth=2
	s_andn2_saveexec_b64 s[18:19], s[18:19]
; %bb.4890:                             ;   in Loop: Header=BB4_4548 Depth=2
	v_bfe_u32 v22, v2, 23, 1
; %bb.4891:                             ;   in Loop: Header=BB4_4548 Depth=2
	s_or_b64 exec, exec, s[18:19]
	v_lshrrev_b64 v[2:3], 20, v[2:3]
	v_cmp_gt_i32_e32 vcc, 16, v22
	v_cndmask_b32_e32 v3, 0, v3, vcc
	v_cndmask_b32_e32 v2, 7, v2, vcc
	v_cmp_ne_u32_e32 vcc, 0, v22
	v_cmp_ne_u64_e64 s[18:19], 0, v[2:3]
	s_or_b64 s[18:19], vcc, s[18:19]
                                        ; implicit-def: $vgpr3
	s_and_saveexec_b64 vcc, s[18:19]
	s_xor_b64 s[18:19], exec, vcc
; %bb.4892:                             ;   in Loop: Header=BB4_4548 Depth=2
	v_min_i32_e32 v3, 15, v22
	v_lshl_or_b32 v3, v3, 3, v16
	v_and_or_b32 v3, v2, 7, v3
                                        ; implicit-def: $vgpr16
; %bb.4893:                             ;   in Loop: Header=BB4_4548 Depth=2
	s_andn2_saveexec_b64 s[18:19], s[18:19]
; %bb.4894:                             ;   in Loop: Header=BB4_4548 Depth=2
	v_mov_b32_e32 v3, v16
; %bb.4895:                             ;   in Loop: Header=BB4_4548 Depth=2
	s_or_b64 exec, exec, s[18:19]
.LBB4_4896:                             ;   in Loop: Header=BB4_4548 Depth=2
	s_or_b64 exec, exec, s[60:61]
.LBB4_4897:                             ;   in Loop: Header=BB4_4548 Depth=2
	s_andn2_saveexec_b64 s[18:19], s[58:59]
	s_or_b64 exec, exec, s[18:19]
                                        ; implicit-def: $vgpr26
.LBB4_4898:                             ;   in Loop: Header=BB4_4548 Depth=2
	s_andn2_saveexec_b64 s[18:19], s[20:21]
	s_cbranch_execz .LBB4_4547
; %bb.4899:                             ;   in Loop: Header=BB4_4548 Depth=2
	v_or_b32_sdwa v2, v26, s71 dst_sel:DWORD dst_unused:UNUSED_PAD src0_sel:BYTE_3 src1_sel:DWORD
	v_cmp_eq_u64_e32 vcc, 0, v[52:53]
	v_cndmask_b32_e32 v3, v2, v3, vcc
	s_branch .LBB4_4547
.LBB4_4900:                             ;   in Loop: Header=BB4_2542 Depth=1
	s_or_b64 exec, exec, s[56:57]
.LBB4_4901:                             ;   in Loop: Header=BB4_2542 Depth=1
	s_or_b64 exec, exec, s[22:23]
	v_lshlrev_b32_e32 v1, 9, v21
	v_cmp_ne_u32_e32 vcc, v17, v1
	s_and_b64 exec, exec, vcc
	s_cbranch_execz .LBB4_4949
; %bb.4902:                             ;   in Loop: Header=BB4_2542 Depth=1
	v_add_u32_e32 v2, v18, v20
	v_and_b32_e32 v2, 0xffffffc0, v2
	v_sub_u32_e32 v2, v18, v2
	v_lshlrev_b32_e32 v3, 6, v19
	v_sub_u32_e32 v2, v2, v3
	v_add_u32_e32 v2, v1, v2
	v_sub_u32_e32 v1, v17, v2
	v_cmp_lt_i32_e32 vcc, 0, v1
	s_and_b64 exec, exec, vcc
	s_cbranch_execz .LBB4_4949
; %bb.4903:                             ;   in Loop: Header=BB4_2542 Depth=1
	s_trap 2
	ds_read_b128 v[10:13], v0
	v_add_u32_e32 v0, v2, v0
	ds_read_b64 v[4:5], v0
	v_ashrrev_i32_e32 v6, 31, v0
	s_bitcmp1_b32 s64, 0
	s_waitcnt lgkmcnt(0)
	v_add_co_u32_e32 v2, vcc, v10, v0
	v_addc_co_u32_e32 v3, vcc, v11, v6, vcc
	v_add_co_u32_e32 v10, vcc, v12, v0
	v_addc_co_u32_e32 v11, vcc, v13, v6, vcc
	v_add_co_u32_e32 v12, vcc, v4, v0
	v_addc_co_u32_e32 v13, vcc, v5, v6, vcc
	s_mov_b64 s[54:55], 0
	s_cselect_b64 s[56:57], -1, 0
	s_branch .LBB4_4905
.LBB4_4904:                             ;   in Loop: Header=BB4_4905 Depth=2
	s_or_b64 exec, exec, s[18:19]
	v_accvgpr_read_b32 v0, a36
	v_add_co_u32_e32 v2, vcc, v2, v0
	v_accvgpr_read_b32 v5, a35
	v_addc_co_u32_e32 v3, vcc, v3, v5, vcc
	v_add_co_u32_e32 v10, vcc, v10, v0
	v_addc_co_u32_e32 v11, vcc, v11, v5, vcc
	v_sub_u32_e32 v1, v1, v0
	v_cmp_gt_i32_e32 vcc, 1, v1
	flat_store_byte v[12:13], v15 glc slc
	s_or_b64 s[54:55], vcc, s[54:55]
	v_add_co_u32_e32 v12, vcc, v12, v0
	v_addc_co_u32_e32 v13, vcc, v13, v5, vcc
	s_andn2_b64 exec, exec, s[54:55]
	s_cbranch_execz .LBB4_4949
.LBB4_4905:                             ;   Parent Loop BB4_2542 Depth=1
                                        ; =>  This Inner Loop Header: Depth=2
	flat_load_ubyte v15, v[10:11] glc slc
	flat_load_ubyte v16, v[2:3] glc slc
	s_and_b64 vcc, exec, s[56:57]
	s_waitcnt vmcnt(0) lgkmcnt(0)
	v_cmp_ne_u16_e64 s[20:21], 0, v15
	v_cmp_ne_u16_e64 s[18:19], s69, v15
	v_and_b32_sdwa v0, sext(v15), s72 dst_sel:DWORD dst_unused:UNUSED_PAD src0_sel:BYTE_0 src1_sel:DWORD
	v_cmp_ne_u16_e64 s[22:23], 0, v16
	s_cbranch_vccz .LBB4_4919
; %bb.4906:                             ;   in Loop: Header=BB4_4905 Depth=2
	v_mov_b32_e32 v17, 0
	v_mov_b32_e32 v18, 0
	s_and_saveexec_b64 s[58:59], s[22:23]
	s_cbranch_execz .LBB4_4912
; %bb.4907:                             ;   in Loop: Header=BB4_4905 Depth=2
	v_cmp_ne_u16_e32 vcc, s69, v16
	v_bfrev_b32_e32 v18, 1
	s_and_saveexec_b64 s[60:61], vcc
	s_cbranch_execz .LBB4_4911
; %bb.4908:                             ;   in Loop: Header=BB4_4905 Depth=2
	v_and_b32_e32 v14, 0xffff, v16
	v_and_b32_e32 v4, 0x7f, v14
	v_cmp_ne_u32_e32 vcc, s71, v4
	v_mov_b32_e32 v18, 0x7f800001
	s_and_saveexec_b64 s[62:63], vcc
	s_cbranch_execz .LBB4_4910
; %bb.4909:                             ;   in Loop: Header=BB4_4905 Depth=2
	v_and_b32_e32 v5, 7, v14
	v_ffbh_u32_e32 v6, v5
	v_min_u32_e32 v9, 32, v6
	v_subrev_u32_e32 v6, 28, v9
	v_lshlrev_b64 v[6:7], v6, v[14:15]
	v_lshrrev_b32_e32 v8, 3, v4
	v_sub_u32_e32 v7, 29, v9
	v_and_b32_e32 v6, 7, v6
	v_cmp_gt_u32_e32 vcc, 8, v4
	v_cndmask_b32_e32 v4, v8, v7, vcc
	v_cndmask_b32_e32 v5, v5, v6, vcc
	v_lshlrev_b32_e32 v6, 24, v16
	v_lshlrev_b32_e32 v5, 20, v5
	v_and_b32_e32 v6, 0x80000000, v6
	v_lshl_add_u32 v4, v4, 23, v51
	v_or3_b32 v18, v6, v4, v5
.LBB4_4910:                             ;   in Loop: Header=BB4_4905 Depth=2
	s_or_b64 exec, exec, s[62:63]
.LBB4_4911:                             ;   in Loop: Header=BB4_4905 Depth=2
	s_or_b64 exec, exec, s[60:61]
.LBB4_4912:                             ;   in Loop: Header=BB4_4905 Depth=2
	s_or_b64 exec, exec, s[58:59]
	s_and_saveexec_b64 s[58:59], s[20:21]
	s_cbranch_execz .LBB4_4918
; %bb.4913:                             ;   in Loop: Header=BB4_4905 Depth=2
	v_bfrev_b32_e32 v17, 1
	s_and_saveexec_b64 s[60:61], s[18:19]
	s_cbranch_execz .LBB4_4917
; %bb.4914:                             ;   in Loop: Header=BB4_4905 Depth=2
	v_and_b32_e32 v14, 0xffff, v15
	v_and_b32_e32 v4, 0x7f, v14
	v_cmp_ne_u32_e32 vcc, s71, v4
	v_mov_b32_e32 v17, 0x7f800001
	s_and_saveexec_b64 s[62:63], vcc
	s_cbranch_execz .LBB4_4916
; %bb.4915:                             ;   in Loop: Header=BB4_4905 Depth=2
	v_and_b32_e32 v5, 7, v14
	v_ffbh_u32_e32 v6, v5
	v_min_u32_e32 v9, 32, v6
	v_subrev_u32_e32 v6, 28, v9
	v_lshlrev_b64 v[6:7], v6, v[14:15]
	v_and_b32_e32 v6, 7, v6
	v_cmp_gt_u32_e32 vcc, 8, v4
	v_lshrrev_b32_e32 v8, 3, v4
	v_sub_u32_e32 v7, 29, v9
	v_cndmask_b32_e32 v5, v5, v6, vcc
	v_cndmask_b32_e32 v4, v8, v7, vcc
	v_lshlrev_b32_e32 v5, 20, v5
	v_lshl_or_b32 v4, v4, 23, v5
	v_add_u32_e32 v4, 0x3c000000, v4
	v_or_b32_e32 v17, v4, v0
.LBB4_4916:                             ;   in Loop: Header=BB4_4905 Depth=2
	s_or_b64 exec, exec, s[62:63]
.LBB4_4917:                             ;   in Loop: Header=BB4_4905 Depth=2
	s_or_b64 exec, exec, s[60:61]
.LBB4_4918:                             ;   in Loop: Header=BB4_4905 Depth=2
	s_or_b64 exec, exec, s[58:59]
	v_max_f32_e32 v4, v17, v17
	v_max_f32_e32 v5, v18, v18
	v_max_f32_e32 v14, v5, v4
	s_branch .LBB4_4933
.LBB4_4919:                             ;   in Loop: Header=BB4_4905 Depth=2
                                        ; implicit-def: $vgpr14
	s_cbranch_execz .LBB4_4933
; %bb.4920:                             ;   in Loop: Header=BB4_4905 Depth=2
	v_mov_b32_e32 v17, 0
	v_mov_b32_e32 v18, 0
	s_and_saveexec_b64 s[58:59], s[22:23]
	s_cbranch_execz .LBB4_4926
; %bb.4921:                             ;   in Loop: Header=BB4_4905 Depth=2
	v_cmp_ne_u16_e32 vcc, s69, v16
	v_bfrev_b32_e32 v18, 1
	s_and_saveexec_b64 s[22:23], vcc
	s_cbranch_execz .LBB4_4925
; %bb.4922:                             ;   in Loop: Header=BB4_4905 Depth=2
	v_and_b32_e32 v14, 0xffff, v16
	v_and_b32_e32 v4, 0x7f, v14
	v_cmp_ne_u32_e32 vcc, s71, v4
	v_mov_b32_e32 v18, 0x7f800001
	s_and_saveexec_b64 s[60:61], vcc
	s_cbranch_execz .LBB4_4924
; %bb.4923:                             ;   in Loop: Header=BB4_4905 Depth=2
	v_and_b32_e32 v5, 7, v14
	v_ffbh_u32_e32 v6, v5
	v_min_u32_e32 v9, 32, v6
	v_subrev_u32_e32 v6, 28, v9
	v_lshlrev_b64 v[6:7], v6, v[14:15]
	v_lshrrev_b32_e32 v8, 3, v4
	v_sub_u32_e32 v7, 29, v9
	v_and_b32_e32 v6, 7, v6
	v_cmp_gt_u32_e32 vcc, 8, v4
	v_cndmask_b32_e32 v4, v8, v7, vcc
	v_cndmask_b32_e32 v5, v5, v6, vcc
	v_lshlrev_b32_e32 v6, 24, v16
	v_lshlrev_b32_e32 v5, 20, v5
	v_and_b32_e32 v6, 0x80000000, v6
	v_lshl_add_u32 v4, v4, 23, v51
	v_or3_b32 v18, v6, v4, v5
.LBB4_4924:                             ;   in Loop: Header=BB4_4905 Depth=2
	s_or_b64 exec, exec, s[60:61]
.LBB4_4925:                             ;   in Loop: Header=BB4_4905 Depth=2
	s_or_b64 exec, exec, s[22:23]
.LBB4_4926:                             ;   in Loop: Header=BB4_4905 Depth=2
	s_or_b64 exec, exec, s[58:59]
	s_and_saveexec_b64 s[22:23], s[20:21]
	s_cbranch_execz .LBB4_4932
; %bb.4927:                             ;   in Loop: Header=BB4_4905 Depth=2
	v_bfrev_b32_e32 v17, 1
	s_and_saveexec_b64 s[20:21], s[18:19]
	s_cbranch_execz .LBB4_4931
; %bb.4928:                             ;   in Loop: Header=BB4_4905 Depth=2
	v_and_b32_e32 v14, 0xffff, v15
	v_and_b32_e32 v4, 0x7f, v14
	v_cmp_ne_u32_e32 vcc, s71, v4
	v_mov_b32_e32 v17, 0x7f800001
	s_and_saveexec_b64 s[18:19], vcc
	s_cbranch_execz .LBB4_4930
; %bb.4929:                             ;   in Loop: Header=BB4_4905 Depth=2
	v_and_b32_e32 v5, 7, v14
	v_ffbh_u32_e32 v6, v5
	v_min_u32_e32 v9, 32, v6
	v_subrev_u32_e32 v6, 28, v9
	v_lshlrev_b64 v[6:7], v6, v[14:15]
	v_and_b32_e32 v6, 7, v6
	v_cmp_gt_u32_e32 vcc, 8, v4
	v_lshrrev_b32_e32 v8, 3, v4
	v_sub_u32_e32 v7, 29, v9
	v_cndmask_b32_e32 v5, v5, v6, vcc
	v_cndmask_b32_e32 v4, v8, v7, vcc
	v_lshlrev_b32_e32 v5, 20, v5
	v_lshl_or_b32 v4, v4, 23, v5
	v_add_u32_e32 v4, 0x3c000000, v4
	v_or_b32_e32 v17, v4, v0
.LBB4_4930:                             ;   in Loop: Header=BB4_4905 Depth=2
	s_or_b64 exec, exec, s[18:19]
.LBB4_4931:                             ;   in Loop: Header=BB4_4905 Depth=2
	s_or_b64 exec, exec, s[20:21]
.LBB4_4932:                             ;   in Loop: Header=BB4_4905 Depth=2
	s_or_b64 exec, exec, s[22:23]
	v_max_f32_e32 v0, v17, v17
	v_max_f32_e32 v4, v18, v18
	v_min_f32_e32 v14, v4, v0
.LBB4_4933:                             ;   in Loop: Header=BB4_4905 Depth=2
	v_and_b32_sdwa v0, v14, s69 dst_sel:DWORD dst_unused:UNUSED_PAD src0_sel:BYTE_3 src1_sel:DWORD
	v_and_b32_e32 v4, 0x7f800000, v14
	v_mov_b32_e32 v5, v53
	v_and_b32_e32 v52, 0x7fffff, v14
	v_or_b32_e32 v15, 0x7e, v0
	v_cmp_ne_u64_e32 vcc, s[40:41], v[4:5]
	s_and_saveexec_b64 s[18:19], vcc
	s_xor_b64 s[20:21], exec, s[18:19]
	s_cbranch_execz .LBB4_4947
; %bb.4934:                             ;   in Loop: Header=BB4_4905 Depth=2
	v_and_b32_e32 v4, 0x7fffffff, v14
	v_mov_b32_e32 v5, v53
	v_cmp_gt_u64_e32 vcc, s[42:43], v[4:5]
	s_and_saveexec_b64 s[18:19], vcc
	s_xor_b64 s[22:23], exec, s[18:19]
	s_cbranch_execz .LBB4_4946
; %bb.4935:                             ;   in Loop: Header=BB4_4905 Depth=2
	v_cmp_ne_u32_e32 vcc, 0, v14
	v_mov_b32_e32 v15, 0
	s_and_saveexec_b64 s[58:59], vcc
	s_cbranch_execz .LBB4_4945
; %bb.4936:                             ;   in Loop: Header=BB4_4905 Depth=2
	v_bfe_u32 v4, v14, 23, 8
	v_sub_u32_e32 v6, 0x79, v4
	v_cmp_gt_u32_e32 vcc, s73, v4
	v_add_u32_e32 v5, 0xffffff81, v4
	v_cndmask_b32_e32 v6, 0, v6, vcc
	v_cmp_eq_u32_e32 vcc, 0, v4
	v_mov_b32_e32 v4, 0xffffff82
	v_cndmask_b32_e32 v16, v5, v4, vcc
	v_mov_b32_e32 v4, 0x78
	v_cndmask_b32_e32 v17, v6, v4, vcc
	v_add_u32_e32 v4, 20, v17
	v_or_b32_e32 v7, 0x800000, v52
	v_lshlrev_b64 v[4:5], v4, -1
	v_cndmask_b32_e32 v52, v7, v52, vcc
	v_not_b32_e32 v4, v4
	v_not_b32_e32 v5, v5
	v_and_b32_e32 v6, v52, v4
	v_add_u32_e32 v4, 19, v17
	v_lshrrev_b64 v[14:15], v17, v[52:53]
	v_and_b32_e32 v7, 0, v5
	v_lshlrev_b64 v[8:9], v4, 1
	v_bfe_u32 v5, v14, 20, 1
	v_add_u32_e32 v5, -1, v5
	v_cmp_eq_u64_e32 vcc, v[6:7], v[8:9]
	v_cndmask_b32_e32 v5, 0, v5, vcc
	v_add_u32_e32 v5, v5, v14
	v_lshrrev_b32_e32 v4, 23, v14
	v_and_b32_e32 v5, 0xfffff, v5
	v_add3_u32 v4, v17, v16, v4
	v_add_co_u32_e32 v14, vcc, v5, v14
	v_add_u32_e32 v17, 6, v4
	v_addc_co_u32_e32 v15, vcc, 0, v15, vcc
	v_cmp_ne_u32_e32 vcc, 0, v17
                                        ; implicit-def: $vgpr16
	s_and_saveexec_b64 s[18:19], vcc
	s_xor_b64 s[18:19], exec, s[18:19]
; %bb.4937:                             ;   in Loop: Header=BB4_4905 Depth=2
	v_add_u32_e32 v4, 7, v4
	v_cmp_lt_u64_e32 vcc, s[46:47], v[14:15]
	v_cndmask_b32_e32 v16, v17, v4, vcc
	v_cndmask_b32_e64 v4, 0, 1, vcc
	v_lshrrev_b64 v[14:15], v4, v[14:15]
; %bb.4938:                             ;   in Loop: Header=BB4_4905 Depth=2
	s_andn2_saveexec_b64 s[18:19], s[18:19]
; %bb.4939:                             ;   in Loop: Header=BB4_4905 Depth=2
	v_bfe_u32 v16, v14, 23, 1
; %bb.4940:                             ;   in Loop: Header=BB4_4905 Depth=2
	s_or_b64 exec, exec, s[18:19]
	v_lshrrev_b64 v[4:5], 20, v[14:15]
	v_cmp_gt_i32_e32 vcc, 16, v16
	v_cndmask_b32_e32 v15, 0, v5, vcc
	v_cndmask_b32_e32 v14, 7, v4, vcc
	v_cmp_ne_u32_e32 vcc, 0, v16
	v_cmp_ne_u64_e64 s[18:19], 0, v[14:15]
	s_or_b64 s[18:19], vcc, s[18:19]
                                        ; implicit-def: $vgpr15
	s_and_saveexec_b64 vcc, s[18:19]
	s_xor_b64 s[18:19], exec, vcc
; %bb.4941:                             ;   in Loop: Header=BB4_4905 Depth=2
	v_min_i32_e32 v4, 15, v16
	v_lshl_or_b32 v0, v4, 3, v0
	v_and_or_b32 v15, v14, 7, v0
                                        ; implicit-def: $vgpr0
; %bb.4942:                             ;   in Loop: Header=BB4_4905 Depth=2
	s_andn2_saveexec_b64 s[18:19], s[18:19]
; %bb.4943:                             ;   in Loop: Header=BB4_4905 Depth=2
	v_mov_b32_e32 v15, v0
; %bb.4944:                             ;   in Loop: Header=BB4_4905 Depth=2
	s_or_b64 exec, exec, s[18:19]
.LBB4_4945:                             ;   in Loop: Header=BB4_4905 Depth=2
	s_or_b64 exec, exec, s[58:59]
.LBB4_4946:                             ;   in Loop: Header=BB4_4905 Depth=2
	s_andn2_saveexec_b64 s[18:19], s[22:23]
	s_or_b64 exec, exec, s[18:19]
                                        ; implicit-def: $vgpr14
.LBB4_4947:                             ;   in Loop: Header=BB4_4905 Depth=2
	s_andn2_saveexec_b64 s[18:19], s[20:21]
	s_cbranch_execz .LBB4_4904
; %bb.4948:                             ;   in Loop: Header=BB4_4905 Depth=2
	v_or_b32_sdwa v0, v14, s71 dst_sel:DWORD dst_unused:UNUSED_PAD src0_sel:BYTE_3 src1_sel:DWORD
	v_cmp_eq_u64_e32 vcc, 0, v[52:53]
	v_cndmask_b32_e32 v15, v0, v15, vcc
	s_branch .LBB4_4904
.LBB4_4949:                             ;   in Loop: Header=BB4_2542 Depth=1
	s_or_b64 exec, exec, s[52:53]
	v_accvgpr_read_b32 v0, a39
	v_accvgpr_read_b32 v16, a20
	;; [unrolled: 1-line block ×3, first 2 shown]
	v_cmp_ne_u32_e64 s[18:19], 0, v0
	v_accvgpr_read_b32 v17, a21
	v_accvgpr_read_b32 v21, a23
	;; [unrolled: 1-line block ×3, first 2 shown]
.LBB4_4950:                             ;   in Loop: Header=BB4_2542 Depth=1
	s_and_saveexec_b64 s[20:21], s[10:11]
	s_cbranch_execz .LBB4_4969
; %bb.4951:                             ;   in Loop: Header=BB4_2542 Depth=1
	s_and_saveexec_b64 s[22:23], s[34:35]
	s_xor_b64 s[22:23], exec, s[22:23]
	s_cbranch_execz .LBB4_4966
; %bb.4952:                             ;   in Loop: Header=BB4_2542 Depth=1
	s_and_saveexec_b64 s[52:53], s[12:13]
	s_cbranch_execz .LBB4_4965
; %bb.4953:                             ;   in Loop: Header=BB4_2542 Depth=1
	s_mov_b64 s[56:57], exec
	v_mbcnt_lo_u32_b32 v0, s56, 0
	v_mbcnt_hi_u32_b32 v0, s57, v0
	v_cmp_eq_u32_e32 vcc, 0, v0
	s_waitcnt vmcnt(0) lgkmcnt(0)
	buffer_wbinvl1_vol
	s_and_saveexec_b64 s[54:55], vcc
	s_cbranch_execz .LBB4_4955
; %bb.4954:                             ;   in Loop: Header=BB4_2542 Depth=1
	s_bcnt1_i32_b64 vcc_lo, s[56:57]
	v_mov_b32_e32 v52, vcc_lo
	ds_add_u64 v0, v[52:53]
	s_trap 2
.LBB4_4955:                             ;   in Loop: Header=BB4_2542 Depth=1
	s_or_b64 exec, exec, s[54:55]
	s_trap 2
	ds_read_b64 v[0:1], v0
	v_add_co_u32_e32 v16, vcc, v16, v60
	v_addc_co_u32_e32 v17, vcc, 0, v17, vcc
	s_waitcnt lgkmcnt(0)
	v_cmp_lt_u64_e32 vcc, v[0:1], v[16:17]
	s_and_saveexec_b64 s[54:55], vcc
	s_cbranch_execz .LBB4_4964
; %bb.4956:                             ;   in Loop: Header=BB4_2542 Depth=1
	s_mov_b32 s75, 0
	s_mov_b64 s[56:57], 0
                                        ; implicit-def: $sgpr58_sgpr59
                                        ; implicit-def: $sgpr60_sgpr61
	s_branch .LBB4_4958
.LBB4_4957:                             ;   in Loop: Header=BB4_4958 Depth=2
	s_or_b64 exec, exec, s[64:65]
	s_and_b64 vcc, exec, vcc
	s_or_b64 s[56:57], vcc, s[56:57]
	s_andn2_b64 vcc, s[58:59], exec
	s_and_b64 s[58:59], s[60:61], exec
	s_or_b64 s[58:59], vcc, s[58:59]
	s_andn2_b64 exec, exec, s[56:57]
	s_cbranch_execz .LBB4_4962
.LBB4_4958:                             ;   Parent Loop BB4_2542 Depth=1
                                        ; =>  This Inner Loop Header: Depth=2
	s_add_i32 s75, s75, 1
	s_cmpk_lg_i32 s75, 0x2710
	s_cselect_b64 s[62:63], -1, 0
	s_and_b64 vcc, exec, s[62:63]
                                        ; implicit-def: $sgpr64_sgpr65
	s_cbranch_vccnz .LBB4_4960
; %bb.4959:                             ;   in Loop: Header=BB4_4958 Depth=2
	s_trap 2
	ds_read_b64 v[0:1], v0
	s_andn2_b64 s[62:63], s[62:63], exec
	s_mov_b32 s75, 0
	s_mov_b64 s[64:65], -1
	s_waitcnt lgkmcnt(0)
	flat_load_dword v0, v[0:1] glc
	s_waitcnt vmcnt(0) lgkmcnt(0)
	buffer_invl2
	buffer_wbinvl1_vol
	v_cmp_eq_u32_e32 vcc, 0, v0
	s_and_b64 vcc, vcc, exec
	s_or_b64 s[62:63], s[62:63], vcc
.LBB4_4960:                             ;   in Loop: Header=BB4_4958 Depth=2
	s_andn2_b64 s[60:61], s[60:61], exec
	s_and_b64 s[64:65], s[64:65], exec
	s_mov_b64 vcc, -1
	s_or_b64 s[60:61], s[60:61], s[64:65]
	s_and_saveexec_b64 s[64:65], s[62:63]
	s_cbranch_execz .LBB4_4957
; %bb.4961:                             ;   in Loop: Header=BB4_4958 Depth=2
	s_sleep 1
	s_trap 2
	ds_read_b64 v[0:1], v0
	s_andn2_b64 s[60:61], s[60:61], exec
	s_waitcnt lgkmcnt(0)
	v_cmp_ge_u64_e32 vcc, v[0:1], v[16:17]
	s_orn2_b64 vcc, vcc, exec
	s_branch .LBB4_4957
.LBB4_4962:                             ;   in Loop: Header=BB4_2542 Depth=1
	s_or_b64 exec, exec, s[56:57]
	s_and_saveexec_b64 vcc, s[58:59]
	s_xor_b64 vcc, exec, vcc
	s_cbranch_execz .LBB4_4964
; %bb.4963:                             ;   in Loop: Header=BB4_2542 Depth=1
	v_mov_b32_e32 v0, 1
	ds_write_b32 v0, v0
	s_trap 2
.LBB4_4964:                             ;   in Loop: Header=BB4_2542 Depth=1
	s_or_b64 exec, exec, s[54:55]
	;;#ASMSTART
	s_wakeup
	;;#ASMEND
.LBB4_4965:                             ;   in Loop: Header=BB4_2542 Depth=1
	s_or_b64 exec, exec, s[52:53]
.LBB4_4966:                             ;   in Loop: Header=BB4_2542 Depth=1
	s_andn2_saveexec_b64 s[22:23], s[22:23]
	s_cbranch_execz .LBB4_4968
; %bb.4967:                             ;   in Loop: Header=BB4_2542 Depth=1
	s_waitcnt vmcnt(0) lgkmcnt(0)
	buffer_wbinvl1_vol
	s_barrier
.LBB4_4968:                             ;   in Loop: Header=BB4_2542 Depth=1
	s_or_b64 exec, exec, s[22:23]
.LBB4_4969:                             ;   in Loop: Header=BB4_2542 Depth=1
	s_or_b64 exec, exec, s[20:21]
	v_and_b32_e32 v0, 16, v62
	v_cmp_ne_u32_e32 vcc, 0, v0
	s_and_b64 s[20:21], vcc, s[18:19]
	s_and_saveexec_b64 s[18:19], s[20:21]
	s_cbranch_execz .LBB4_4971
; %bb.4970:                             ;   in Loop: Header=BB4_2542 Depth=1
	s_waitcnt vmcnt(0) lgkmcnt(0)
	buffer_wbinvl1_vol
.LBB4_4971:                             ;   in Loop: Header=BB4_2542 Depth=1
	s_or_b64 exec, exec, s[18:19]
	v_and_b32_e32 v0, 32, v62
	v_cmp_ne_u32_e32 vcc, 0, v0
	s_and_saveexec_b64 s[18:19], vcc
	s_cbranch_execz .LBB4_4973
; %bb.4972:                             ;   in Loop: Header=BB4_2542 Depth=1
	v_accvgpr_read_b32 v0, a12
	v_accvgpr_read_b32 v2, a14
	;; [unrolled: 1-line block ×3, first 2 shown]
	v_add_co_u32_e32 v2, vcc, 1, v2
	v_addc_co_u32_e32 v3, vcc, 0, v3, vcc
	v_accvgpr_read_b32 v1, a13
	v_accvgpr_write_b32 a15, v3
	v_accvgpr_write_b32 a14, v2
	;; [unrolled: 1-line block ×4, first 2 shown]
	flat_store_dwordx2 v[32:33], v[2:3]
.LBB4_4973:                             ;   in Loop: Header=BB4_2542 Depth=1
	s_or_b64 exec, exec, s[18:19]
	v_mov_b32_e32 v0, v8
.LBB4_4974:                             ;   in Loop: Header=BB4_2542 Depth=1
	s_or_b64 exec, exec, s[50:51]
	s_and_saveexec_b64 s[20:21], s[48:49]
	s_cbranch_execz .LBB4_2541
; %bb.4975:                             ;   in Loop: Header=BB4_2542 Depth=1
	v_and_b32_e32 v1, 4, v62
	v_cmp_ne_u32_e32 vcc, 0, v1
	s_mov_b64 s[22:23], -1
	s_and_saveexec_b64 s[18:19], vcc
	s_cbranch_execnz .LBB4_4978
; %bb.4976:                             ;   in Loop: Header=BB4_2542 Depth=1
	s_or_b64 exec, exec, s[18:19]
	s_xor_b64 s[18:19], s[22:23], -1
	s_and_saveexec_b64 s[22:23], s[18:19]
	s_cbranch_execnz .LBB4_4989
.LBB4_4977:                             ;   in Loop: Header=BB4_2542 Depth=1
	s_or_b64 exec, exec, s[22:23]
	s_and_saveexec_b64 s[18:19], s[10:11]
	s_cbranch_execnz .LBB4_4998
	s_branch .LBB4_5016
.LBB4_4978:                             ;   in Loop: Header=BB4_2542 Depth=1
	v_accvgpr_read_b32 v2, a12
	v_accvgpr_read_b32 v4, a14
	v_accvgpr_read_b32 v3, a13
	v_accvgpr_read_b32 v5, a15
	v_add_co_u32_e32 v2, vcc, 1, v4
	v_addc_co_u32_e32 v3, vcc, 0, v5, vcc
	v_cmp_lt_u64_e32 vcc, v[36:37], v[2:3]
	v_mov_b32_e32 v1, 1
	s_and_saveexec_b64 s[22:23], vcc
	s_cbranch_execz .LBB4_4988
; %bb.4979:                             ;   in Loop: Header=BB4_2542 Depth=1
	s_mov_b64 s[48:49], 0
	v_mov_b32_e32 v1, 0
                                        ; implicit-def: $sgpr50_sgpr51
	s_branch .LBB4_4983
.LBB4_4980:                             ;   in Loop: Header=BB4_4983 Depth=2
	s_or_b64 exec, exec, s[58:59]
	v_mov_b32_e32 v10, 0
	s_orn2_b64 s[56:57], s[56:57], exec
.LBB4_4981:                             ;   in Loop: Header=BB4_4983 Depth=2
	s_or_b64 exec, exec, s[54:55]
	s_andn2_b64 vcc, s[50:51], exec
	s_and_b64 s[50:51], s[56:57], exec
	s_or_b64 s[50:51], vcc, s[50:51]
	v_mov_b32_e32 v1, v10
.LBB4_4982:                             ;   in Loop: Header=BB4_4983 Depth=2
	s_or_b64 exec, exec, s[52:53]
	s_waitcnt vmcnt(0) lgkmcnt(0)
	v_cmp_ge_u64_e32 vcc, v[36:37], v[2:3]
	s_xor_b64 s[52:53], s[50:51], -1
	s_or_b64 vcc, s[52:53], vcc
	s_and_b64 vcc, exec, vcc
	s_or_b64 s[48:49], vcc, s[48:49]
	s_andn2_b64 exec, exec, s[48:49]
	s_cbranch_execz .LBB4_4987
.LBB4_4983:                             ;   Parent Loop BB4_2542 Depth=1
                                        ; =>  This Inner Loop Header: Depth=2
	s_sleep 1
	flat_load_dwordx2 v[36:37], v[32:33] glc
	v_and_b32_e32 v4, 64, v62
	v_cmp_eq_u32_e32 vcc, 0, v4
	s_andn2_b64 s[50:51], s[50:51], exec
	s_and_saveexec_b64 s[52:53], vcc
	s_cbranch_execz .LBB4_4982
; %bb.4984:                             ;   in Loop: Header=BB4_4983 Depth=2
	v_add_u32_e32 v10, 1, v1
	v_cmp_lt_i32_e32 vcc, s68, v1
	s_mov_b64 s[56:57], -1
	s_and_saveexec_b64 s[54:55], vcc
	s_cbranch_execz .LBB4_4981
; %bb.4985:                             ;   in Loop: Header=BB4_4983 Depth=2
	s_trap 2
	ds_read_b64 v[4:5], v0
	s_waitcnt vmcnt(0) lgkmcnt(0)
	flat_load_dword v1, v[4:5] glc
	s_waitcnt vmcnt(0) lgkmcnt(0)
	buffer_invl2
	buffer_wbinvl1_vol
	v_cmp_ne_u32_e32 vcc, 0, v1
	s_and_saveexec_b64 s[58:59], vcc
	s_cbranch_execz .LBB4_4980
; %bb.4986:                             ;   in Loop: Header=BB4_4983 Depth=2
	v_or_b32_e32 v62, 64, v62
	s_xor_b64 s[56:57], exec, -1
	ds_write_b32 v0, v1
	s_trap 2
	s_branch .LBB4_4980
.LBB4_4987:                             ;   in Loop: Header=BB4_2542 Depth=1
	s_or_b64 exec, exec, s[48:49]
	v_and_b32_e32 v1, 4, v62
.LBB4_4988:                             ;   in Loop: Header=BB4_2542 Depth=1
	s_or_b64 exec, exec, s[22:23]
	v_cmp_eq_u32_e32 vcc, 0, v1
	s_orn2_b64 s[22:23], vcc, exec
	;;#ASMSTART
	s_wakeup
	;;#ASMEND
	s_or_b64 exec, exec, s[18:19]
	s_xor_b64 s[18:19], s[22:23], -1
	s_and_saveexec_b64 s[22:23], s[18:19]
	s_cbranch_execz .LBB4_4977
.LBB4_4989:                             ;   in Loop: Header=BB4_2542 Depth=1
	v_accvgpr_read_b32 v2, a12
	v_and_b32_e32 v1, 0x100, v62
	v_accvgpr_read_b32 v4, a14
	v_cmp_ne_u32_e32 vcc, 0, v1
	v_accvgpr_read_b32 v3, a13
	v_and_b32_e32 v1, 7, v4
	s_mov_b64 s[18:19], -1
	v_accvgpr_read_b32 v5, a15
                                        ; implicit-def: $vgpr2_vgpr3
	s_and_saveexec_b64 s[48:49], vcc
	s_cbranch_execz .LBB4_4993
; %bb.4990:                             ;   in Loop: Header=BB4_2542 Depth=1
	v_accvgpr_read_b32 v2, a12
	v_accvgpr_read_b32 v3, a13
	v_mad_u64_u32 v[10:11], s[18:19], v1, 24, v[2:3]
	flat_load_dword v2, v[10:11]
	v_accvgpr_read_b32 v4, a14
	v_accvgpr_read_b32 v5, a15
	s_waitcnt vmcnt(0) lgkmcnt(0)
	v_cmp_ne_u32_e32 vcc, 1, v2
	v_cmp_eq_u32_e64 s[18:19], 1, v2
                                        ; implicit-def: $vgpr2_vgpr3
	s_and_saveexec_b64 s[50:51], s[18:19]
	s_cbranch_execz .LBB4_4992
; %bb.4991:                             ;   in Loop: Header=BB4_2542 Depth=1
	flat_load_dword v2, v[10:11] offset:4 glc
	s_waitcnt vmcnt(0) lgkmcnt(0)
	v_ashrrev_i32_e32 v3, 31, v2
.LBB4_4992:                             ;   in Loop: Header=BB4_2542 Depth=1
	s_or_b64 exec, exec, s[50:51]
	s_orn2_b64 s[18:19], vcc, exec
.LBB4_4993:                             ;   in Loop: Header=BB4_2542 Depth=1
	s_or_b64 exec, exec, s[48:49]
	s_and_saveexec_b64 vcc, s[18:19]
; %bb.4994:                             ;   in Loop: Header=BB4_2542 Depth=1
	v_accvgpr_read_b32 v2, a16
	v_mad_i64_i32 v[2:3], s[18:19], v1, v2, 0
; %bb.4995:                             ;   in Loop: Header=BB4_2542 Depth=1
	s_or_b64 exec, exec, vcc
	v_accvgpr_read_b32 v4, a18
	v_accvgpr_read_b32 v5, a19
	v_add_co_u32_e32 v2, vcc, v4, v2
	v_addc_co_u32_e32 v3, vcc, v5, v3, vcc
	v_and_b32_e32 v1, 0x2000, v62
	v_cmp_ne_u32_e32 vcc, 0, v1
	ds_write_b64 v0, v[2:3] offset:728
	s_and_saveexec_b64 s[18:19], vcc
	s_cbranch_execz .LBB4_4997
; %bb.4996:                             ;   in Loop: Header=BB4_2542 Depth=1
	ds_read_b64 v[2:3], v0 offset:584
	s_waitcnt lgkmcnt(0)
	v_add_co_u32_e32 v2, vcc, 1, v2
	v_addc_co_u32_e32 v3, vcc, 0, v3, vcc
	ds_write_b64 v0, v[2:3] offset:584
.LBB4_4997:                             ;   in Loop: Header=BB4_2542 Depth=1
	s_or_b64 exec, exec, s[18:19]
	v_accvgpr_read_b32 v2, a12
	v_accvgpr_read_b32 v4, a14
	;; [unrolled: 1-line block ×3, first 2 shown]
	v_add_co_u32_e32 v4, vcc, 1, v4
	v_addc_co_u32_e32 v5, vcc, 0, v5, vcc
	v_accvgpr_read_b32 v3, a13
	v_accvgpr_write_b32 a15, v5
	v_accvgpr_write_b32 a14, v4
	;; [unrolled: 1-line block ×4, first 2 shown]
	s_or_b64 exec, exec, s[22:23]
	s_and_saveexec_b64 s[18:19], s[10:11]
	s_cbranch_execz .LBB4_5016
.LBB4_4998:                             ;   in Loop: Header=BB4_2542 Depth=1
	s_and_saveexec_b64 s[22:23], s[34:35]
	s_xor_b64 s[22:23], exec, s[22:23]
	s_cbranch_execz .LBB4_5013
; %bb.4999:                             ;   in Loop: Header=BB4_2542 Depth=1
	s_and_saveexec_b64 s[48:49], s[12:13]
	s_cbranch_execz .LBB4_5012
; %bb.5000:                             ;   in Loop: Header=BB4_2542 Depth=1
	s_mov_b64 s[52:53], exec
	v_mbcnt_lo_u32_b32 v1, s52, 0
	v_mbcnt_hi_u32_b32 v1, s53, v1
	v_cmp_eq_u32_e32 vcc, 0, v1
	s_waitcnt vmcnt(0) lgkmcnt(0)
	buffer_wbinvl1_vol
	s_and_saveexec_b64 s[50:51], vcc
	s_cbranch_execz .LBB4_5002
; %bb.5001:                             ;   in Loop: Header=BB4_2542 Depth=1
	s_bcnt1_i32_b64 vcc_lo, s[52:53]
	v_mov_b32_e32 v52, vcc_lo
	ds_add_u64 v0, v[52:53]
	s_trap 2
.LBB4_5002:                             ;   in Loop: Header=BB4_2542 Depth=1
	s_or_b64 exec, exec, s[50:51]
	s_trap 2
	ds_read_b64 v[2:3], v0
	v_add_co_u32_e32 v16, vcc, v16, v60
	v_addc_co_u32_e32 v17, vcc, 0, v17, vcc
	s_waitcnt lgkmcnt(0)
	v_cmp_lt_u64_e32 vcc, v[2:3], v[16:17]
	s_and_saveexec_b64 s[50:51], vcc
	s_cbranch_execz .LBB4_5011
; %bb.5003:                             ;   in Loop: Header=BB4_2542 Depth=1
	s_mov_b32 s62, 0
	s_mov_b64 s[52:53], 0
                                        ; implicit-def: $sgpr54_sgpr55
                                        ; implicit-def: $sgpr56_sgpr57
	s_branch .LBB4_5005
.LBB4_5004:                             ;   in Loop: Header=BB4_5005 Depth=2
	s_or_b64 exec, exec, s[60:61]
	s_and_b64 vcc, exec, vcc
	s_or_b64 s[52:53], vcc, s[52:53]
	s_andn2_b64 vcc, s[54:55], exec
	s_and_b64 s[54:55], s[56:57], exec
	s_or_b64 s[54:55], vcc, s[54:55]
	s_andn2_b64 exec, exec, s[52:53]
	s_cbranch_execz .LBB4_5009
.LBB4_5005:                             ;   Parent Loop BB4_2542 Depth=1
                                        ; =>  This Inner Loop Header: Depth=2
	s_add_i32 s62, s62, 1
	s_cmpk_lg_i32 s62, 0x2710
	s_cselect_b64 s[58:59], -1, 0
	s_and_b64 vcc, exec, s[58:59]
                                        ; implicit-def: $sgpr60_sgpr61
	s_cbranch_vccnz .LBB4_5007
; %bb.5006:                             ;   in Loop: Header=BB4_5005 Depth=2
	s_trap 2
	ds_read_b64 v[2:3], v0
	s_andn2_b64 s[58:59], s[58:59], exec
	s_mov_b32 s62, 0
	s_mov_b64 s[60:61], -1
	s_waitcnt lgkmcnt(0)
	flat_load_dword v1, v[2:3] glc
	s_waitcnt vmcnt(0) lgkmcnt(0)
	buffer_invl2
	buffer_wbinvl1_vol
	v_cmp_eq_u32_e32 vcc, 0, v1
	s_and_b64 vcc, vcc, exec
	s_or_b64 s[58:59], s[58:59], vcc
.LBB4_5007:                             ;   in Loop: Header=BB4_5005 Depth=2
	s_andn2_b64 s[56:57], s[56:57], exec
	s_and_b64 s[60:61], s[60:61], exec
	s_mov_b64 vcc, -1
	s_or_b64 s[56:57], s[56:57], s[60:61]
	s_and_saveexec_b64 s[60:61], s[58:59]
	s_cbranch_execz .LBB4_5004
; %bb.5008:                             ;   in Loop: Header=BB4_5005 Depth=2
	s_sleep 1
	s_trap 2
	ds_read_b64 v[2:3], v0
	s_andn2_b64 s[56:57], s[56:57], exec
	s_waitcnt lgkmcnt(0)
	v_cmp_ge_u64_e32 vcc, v[2:3], v[16:17]
	s_orn2_b64 vcc, vcc, exec
	s_branch .LBB4_5004
.LBB4_5009:                             ;   in Loop: Header=BB4_2542 Depth=1
	s_or_b64 exec, exec, s[52:53]
	s_and_saveexec_b64 vcc, s[54:55]
	s_xor_b64 vcc, exec, vcc
	s_cbranch_execz .LBB4_5011
; %bb.5010:                             ;   in Loop: Header=BB4_2542 Depth=1
	v_mov_b32_e32 v1, 1
	ds_write_b32 v0, v1
	s_trap 2
.LBB4_5011:                             ;   in Loop: Header=BB4_2542 Depth=1
	s_or_b64 exec, exec, s[50:51]
	;;#ASMSTART
	s_wakeup
	;;#ASMEND
.LBB4_5012:                             ;   in Loop: Header=BB4_2542 Depth=1
	s_or_b64 exec, exec, s[48:49]
.LBB4_5013:                             ;   in Loop: Header=BB4_2542 Depth=1
	s_andn2_saveexec_b64 s[22:23], s[22:23]
	s_cbranch_execz .LBB4_5015
; %bb.5014:                             ;   in Loop: Header=BB4_2542 Depth=1
	s_waitcnt vmcnt(0) lgkmcnt(0)
	buffer_wbinvl1_vol
	s_barrier
.LBB4_5015:                             ;   in Loop: Header=BB4_2542 Depth=1
	s_or_b64 exec, exec, s[22:23]
.LBB4_5016:                             ;   in Loop: Header=BB4_2542 Depth=1
	s_or_b64 exec, exec, s[18:19]
	s_trap 2
	ds_read_b32 v1, v0
	v_accvgpr_read_b32 v2, a38
	v_sub_u32_e32 v0, v2, v0
	v_min_i32_e32 v0, v8, v0
	v_cmp_lt_i32_e32 vcc, 0, v0
	s_waitcnt lgkmcnt(0)
	v_readfirstlane_b32 s18, v1
	s_cmp_eq_u32 s18, 0
	s_cselect_b64 s[18:19], -1, 0
	v_and_b32_e32 v0, 16, v62
	s_and_b64 s[18:19], vcc, s[18:19]
	v_cmp_ne_u32_e32 vcc, 0, v0
	s_and_b64 s[22:23], vcc, s[18:19]
	s_and_saveexec_b64 s[18:19], s[22:23]
	s_cbranch_execz .LBB4_5018
; %bb.5017:                             ;   in Loop: Header=BB4_2542 Depth=1
	s_waitcnt vmcnt(0)
	buffer_wbinvl1_vol
.LBB4_5018:                             ;   in Loop: Header=BB4_2542 Depth=1
	s_or_b64 exec, exec, s[18:19]
	v_and_b32_e32 v0, 32, v62
	v_cmp_ne_u32_e32 vcc, 0, v0
	s_and_saveexec_b64 s[18:19], vcc
	s_cbranch_execz .LBB4_2540
; %bb.5019:                             ;   in Loop: Header=BB4_2542 Depth=1
	v_accvgpr_read_b32 v0, a12
	v_accvgpr_read_b32 v2, a14
	;; [unrolled: 1-line block ×3, first 2 shown]
	v_add_co_u32_e32 v2, vcc, 1, v2
	v_addc_co_u32_e32 v3, vcc, 0, v3, vcc
	v_accvgpr_read_b32 v1, a13
	v_accvgpr_write_b32 a15, v3
	v_accvgpr_write_b32 a14, v2
	;; [unrolled: 1-line block ×4, first 2 shown]
	flat_store_dwordx2 v[32:33], v[2:3]
	s_branch .LBB4_2540
.LBB4_5020:
	s_or_b64 exec, exec, s[36:37]
	v_accvgpr_read_b32 v55, a15
	v_accvgpr_read_b32 v54, a14
	;; [unrolled: 1-line block ×4, first 2 shown]
.LBB4_5021:
	s_or_b64 exec, exec, s[26:27]
.LBB4_5022:
	s_or_b64 exec, exec, s[24:25]
                                        ; implicit-def: $vgpr38_vgpr39
                                        ; implicit-def: $vgpr40_vgpr41
                                        ; implicit-def: $vgpr60_vgpr61
                                        ; implicit-def: $agpr16
                                        ; implicit-def: $vgpr36_vgpr37
                                        ; implicit-def: $agpr18_agpr19
                                        ; implicit-def: $vgpr32_vgpr33
                                        ; implicit-def: $vgpr58
                                        ; implicit-def: $vgpr1
                                        ; implicit-def: $vgpr20_vgpr21
.LBB4_5023:
	s_andn2_saveexec_b64 s[22:23], s[30:31]
	s_cbranch_execz .LBB4_5196
; %bb.5024:
	s_mov_b64 s[26:27], 0
	v_cmp_ne_u64_e32 vcc, 0, v[40:41]
	v_pk_mov_b32 v[16:17], 0, 0
	s_and_saveexec_b64 s[24:25], vcc
	s_cbranch_execz .LBB4_5195
; %bb.5025:
	v_and_b32_e32 v0, 63, v47
	v_cmp_eq_u32_e64 s[12:13], 0, v0
	v_ashrrev_i32_e32 v0, 31, v58
	v_lshrrev_b32_e32 v0, 26, v0
	v_add_u32_e32 v2, v58, v0
	v_and_b32_e32 v0, 0xffffffc0, v2
	v_sub_u32_e32 v0, v58, v0
	v_cmp_lt_i32_e64 s[16:17], v0, v1
	v_ashrrev_i32_e32 v1, 6, v2
	v_lshlrev_b32_e32 v2, 11, v1
	v_lshrrev_b32_e32 v10, 6, v46
	v_lshl_add_u32 v14, v0, 4, v2
	v_mov_b32_e32 v2, 0xfffff800
	v_lshl_add_u32 v2, v10, 11, v2
	s_movk_i32 s18, 0x800
	v_ashrrev_i32_e32 v3, 31, v2
	v_add_co_u32_e64 v26, s[18:19], s18, v2
	v_addc_co_u32_e64 v27, s[18:19], 0, v3, s[18:19]
	v_lshlrev_b32_e32 v28, 10, v10
	s_ashr_i32 s6, s70, 31
	v_add_u32_e32 v2, 0xfffffc00, v28
	s_movk_i32 s18, 0x400
	s_lshr_b32 s6, s6, 24
	v_ashrrev_i32_e32 v3, 31, v2
	v_add_co_u32_e64 v29, s[18:19], s18, v2
	v_pk_mov_b32 v[18:19], 0, 0
	s_add_i32 s70, s70, s6
	v_cmp_eq_u32_e32 vcc, 64, v46
	v_addc_co_u32_e64 v30, s[18:19], 0, v3, s[18:19]
	v_and_b32_e32 v16, 0xffffffc0, v46
	v_accvgpr_write_b32 a6, v18
	s_ashr_i32 s58, s70, 8
	v_cmp_ge_i32_e64 s[6:7], v58, v46
	v_cmp_ne_u32_e64 s[10:11], 64, v46
	v_cmp_ne_u32_sdwa s[30:31], v56, v46 src0_sel:WORD_0 src1_sel:DWORD
	v_mov_b32_e32 v13, 0
	v_cmp_gt_i32_e64 s[14:15], 1, v0
	v_ashrrev_i32_e32 v15, 31, v14
	v_ashrrev_i32_e32 v11, 31, v16
	s_waitcnt lgkmcnt(0)
	v_cmp_ne_u64_e64 s[18:19], 0, v[60:61]
	s_movk_i32 s59, 0x270e
	v_mov_b32_e32 v31, 1
	s_xor_b64 s[34:35], vcc, -1
	v_accvgpr_write_b32 a7, v19
	s_trap 2
	s_branch .LBB4_5029
.LBB4_5026:                             ;   in Loop: Header=BB4_5029 Depth=1
	s_or_b64 exec, exec, vcc
	v_add_co_u32_e32 v54, vcc, 1, v54
	v_addc_co_u32_e32 v55, vcc, 0, v55, vcc
	flat_store_dwordx2 v[32:33], v[54:55]
.LBB4_5027:                             ;   in Loop: Header=BB4_5029 Depth=1
	s_or_b64 exec, exec, s[20:21]
.LBB4_5028:                             ;   in Loop: Header=BB4_5029 Depth=1
	s_or_b64 exec, exec, s[38:39]
	v_accvgpr_read_b32 v21, a15
	v_accvgpr_read_b32 v20, a14
	v_add_co_u32_e32 v18, vcc, v18, v20
	v_addc_co_u32_e32 v19, vcc, 0, v19, vcc
	v_cmp_ge_u64_e32 vcc, v[18:19], v[40:41]
	s_or_b64 s[26:27], vcc, s[26:27]
	s_andn2_b64 exec, exec, s[26:27]
	s_cbranch_execz .LBB4_5194
.LBB4_5029:                             ; =>This Loop Header: Depth=1
                                        ;     Child Loop BB4_5038 Depth 2
                                        ;     Child Loop BB4_5062 Depth 2
	;; [unrolled: 1-line block ×10, first 2 shown]
	v_sub_co_u32_e32 v2, vcc, v40, v18
	v_subb_co_u32_e32 v3, vcc, v41, v19, vcc
	v_cmp_lt_u64_e32 vcc, v[20:21], v[2:3]
	v_pk_mov_b32 v[4:5], v[20:21], v[20:21] op_sel:[0,1]
	v_cndmask_b32_e64 v21, v3, 0, vcc
	v_cndmask_b32_e32 v20, v2, v4, vcc
	v_add_u32_e32 v2, 15, v20
	v_cmp_eq_u64_e32 vcc, 0, v[20:21]
	v_accvgpr_write_b32 a15, v5
	v_and_b32_e32 v2, 0x7ffffff0, v2
	s_or_b64 s[36:37], s[6:7], vcc
	v_accvgpr_write_b32 a14, v4
	v_max_i32_e32 v12, s58, v2
	s_xor_b64 s[20:21], s[36:37], -1
	v_mov_b32_e32 v17, 0
	s_and_saveexec_b64 s[38:39], s[20:21]
	s_cbranch_execz .LBB4_5147
; %bb.5030:                             ;   in Loop: Header=BB4_5029 Depth=1
	s_and_saveexec_b64 s[20:21], s[4:5]
	s_cbranch_execz .LBB4_5032
; %bb.5031:                             ;   in Loop: Header=BB4_5029 Depth=1
	s_trap 2
	ds_read_b64 v[2:3], v0
	s_waitcnt lgkmcnt(0)
	v_add_co_u32_e32 v2, vcc, v2, v38
	v_addc_co_u32_e32 v3, vcc, v3, v39, vcc
	v_add_co_u32_e32 v2, vcc, v2, v18
	v_addc_co_u32_e32 v3, vcc, v3, v19, vcc
	ds_write_b64 v0, v[2:3]
	v_mov_b32_e32 v2, v13
	v_mov_b32_e32 v3, v13
	ds_write_b64 v0, v[2:3]
.LBB4_5032:                             ;   in Loop: Header=BB4_5029 Depth=1
	s_or_b64 exec, exec, s[20:21]
	v_and_b32_e32 v2, 8, v62
	v_cmp_ne_u32_e32 vcc, 0, v2
	s_mov_b64 s[40:41], -1
	s_and_saveexec_b64 s[20:21], vcc
	s_cbranch_execz .LBB4_5044
; %bb.5033:                             ;   in Loop: Header=BB4_5029 Depth=1
	v_add_co_u32_e32 v4, vcc, 8, v36
	v_addc_co_u32_e32 v5, vcc, 0, v37, vcc
	v_add_co_u32_e32 v2, vcc, 1, v54
	v_addc_co_u32_e32 v3, vcc, 0, v55, vcc
	v_cmp_lt_u64_e32 vcc, v[4:5], v[2:3]
	v_mov_b32_e32 v4, 1
	s_and_saveexec_b64 s[40:41], vcc
	s_cbranch_execz .LBB4_5043
; %bb.5034:                             ;   in Loop: Header=BB4_5029 Depth=1
	s_mov_b64 s[42:43], 0
	v_mov_b32_e32 v17, 0
                                        ; implicit-def: $sgpr44_sgpr45
	s_branch .LBB4_5038
.LBB4_5035:                             ;   in Loop: Header=BB4_5038 Depth=2
	s_or_b64 exec, exec, s[52:53]
	v_mov_b32_e32 v21, 0
	s_orn2_b64 s[50:51], s[50:51], exec
.LBB4_5036:                             ;   in Loop: Header=BB4_5038 Depth=2
	s_or_b64 exec, exec, s[48:49]
	s_andn2_b64 vcc, s[44:45], exec
	s_and_b64 s[44:45], s[50:51], exec
	s_or_b64 s[44:45], vcc, s[44:45]
	v_mov_b32_e32 v17, v21
.LBB4_5037:                             ;   in Loop: Header=BB4_5038 Depth=2
	s_or_b64 exec, exec, s[46:47]
	s_waitcnt vmcnt(0) lgkmcnt(0)
	v_add_co_u32_e32 v4, vcc, 8, v36
	v_addc_co_u32_e32 v5, vcc, 0, v37, vcc
	v_cmp_ge_u64_e32 vcc, v[4:5], v[2:3]
	s_xor_b64 s[46:47], s[44:45], -1
	s_or_b64 vcc, s[46:47], vcc
	s_and_b64 vcc, exec, vcc
	s_or_b64 s[42:43], vcc, s[42:43]
	s_andn2_b64 exec, exec, s[42:43]
	s_cbranch_execz .LBB4_5042
.LBB4_5038:                             ;   Parent Loop BB4_5029 Depth=1
                                        ; =>  This Inner Loop Header: Depth=2
	s_sleep 1
	flat_load_dwordx2 v[36:37], v[32:33] glc
	v_and_b32_e32 v4, 64, v62
	v_cmp_eq_u32_e32 vcc, 0, v4
	s_andn2_b64 s[44:45], s[44:45], exec
	s_and_saveexec_b64 s[46:47], vcc
	s_cbranch_execz .LBB4_5037
; %bb.5039:                             ;   in Loop: Header=BB4_5038 Depth=2
	v_add_u32_e32 v21, 1, v17
	v_cmp_lt_i32_e32 vcc, s59, v17
	s_mov_b64 s[50:51], -1
	s_and_saveexec_b64 s[48:49], vcc
	s_cbranch_execz .LBB4_5036
; %bb.5040:                             ;   in Loop: Header=BB4_5038 Depth=2
	s_trap 2
	ds_read_b64 v[4:5], v0
	s_waitcnt vmcnt(0) lgkmcnt(0)
	flat_load_dword v4, v[4:5] glc
	s_waitcnt vmcnt(0) lgkmcnt(0)
	buffer_invl2
	buffer_wbinvl1_vol
	v_cmp_ne_u32_e32 vcc, 0, v4
	s_and_saveexec_b64 s[52:53], vcc
	s_cbranch_execz .LBB4_5035
; %bb.5041:                             ;   in Loop: Header=BB4_5038 Depth=2
	v_or_b32_e32 v62, 64, v62
	s_xor_b64 s[50:51], exec, -1
	ds_write_b32 v0, v4
	s_trap 2
	s_branch .LBB4_5035
.LBB4_5042:                             ;   in Loop: Header=BB4_5029 Depth=1
	s_or_b64 exec, exec, s[42:43]
	v_and_b32_e32 v4, 8, v62
.LBB4_5043:                             ;   in Loop: Header=BB4_5029 Depth=1
	s_or_b64 exec, exec, s[40:41]
	v_cmp_eq_u32_e32 vcc, 0, v4
	s_orn2_b64 s[40:41], vcc, exec
	;;#ASMSTART
	s_wakeup
	;;#ASMEND
.LBB4_5044:                             ;   in Loop: Header=BB4_5029 Depth=1
	s_or_b64 exec, exec, s[20:21]
	s_xor_b64 s[20:21], s[40:41], -1
	v_min_u32_e32 v12, v12, v20
	s_and_saveexec_b64 s[40:41], s[20:21]
	s_cbranch_execz .LBB4_5054
; %bb.5045:                             ;   in Loop: Header=BB4_5029 Depth=1
	v_and_b32_e32 v2, 0x100, v62
	v_cmp_ne_u32_e32 vcc, 0, v2
	v_and_b32_e32 v17, 7, v54
	s_mov_b64 s[20:21], -1
                                        ; implicit-def: $vgpr2_vgpr3
	s_and_saveexec_b64 s[42:43], vcc
	s_cbranch_execz .LBB4_5049
; %bb.5046:                             ;   in Loop: Header=BB4_5029 Depth=1
	v_mad_u64_u32 v[22:23], s[20:21], v17, 24, v[52:53]
	flat_load_dword v2, v[22:23]
	s_waitcnt vmcnt(0) lgkmcnt(0)
	v_cmp_ne_u32_e32 vcc, 1, v2
	v_cmp_eq_u32_e64 s[20:21], 1, v2
	flat_store_dwordx2 v[22:23], v[12:13] offset:8
                                        ; implicit-def: $vgpr2_vgpr3
	s_and_saveexec_b64 s[44:45], s[20:21]
	s_cbranch_execz .LBB4_5048
; %bb.5047:                             ;   in Loop: Header=BB4_5029 Depth=1
	flat_load_dword v2, v[22:23] offset:4 glc
	s_waitcnt vmcnt(0) lgkmcnt(0)
	v_ashrrev_i32_e32 v3, 31, v2
.LBB4_5048:                             ;   in Loop: Header=BB4_5029 Depth=1
	s_or_b64 exec, exec, s[44:45]
	s_orn2_b64 s[20:21], vcc, exec
.LBB4_5049:                             ;   in Loop: Header=BB4_5029 Depth=1
	s_or_b64 exec, exec, s[42:43]
	s_and_saveexec_b64 vcc, s[20:21]
; %bb.5050:                             ;   in Loop: Header=BB4_5029 Depth=1
	v_accvgpr_read_b32 v2, a16
	v_mad_i64_i32 v[2:3], s[20:21], v17, v2, 0
; %bb.5051:                             ;   in Loop: Header=BB4_5029 Depth=1
	s_or_b64 exec, exec, vcc
	v_accvgpr_read_b32 v4, a18
	v_accvgpr_read_b32 v5, a19
	v_add_co_u32_e32 v2, vcc, v4, v2
	v_addc_co_u32_e32 v3, vcc, v5, v3, vcc
	ds_write_b64 v0, v[2:3] offset:784
	v_and_b32_e32 v2, 0x2000, v62
	v_cmp_ne_u32_e32 vcc, 0, v2
	s_and_saveexec_b64 s[20:21], vcc
	s_cbranch_execz .LBB4_5053
; %bb.5052:                             ;   in Loop: Header=BB4_5029 Depth=1
	ds_read_b64 v[2:3], v0 offset:584
	s_waitcnt lgkmcnt(0)
	v_add_co_u32_e32 v2, vcc, 1, v2
	v_addc_co_u32_e32 v3, vcc, 0, v3, vcc
	ds_write_b64 v0, v[2:3] offset:584
.LBB4_5053:                             ;   in Loop: Header=BB4_5029 Depth=1
	s_or_b64 exec, exec, s[20:21]
	v_add_co_u32_e32 v54, vcc, 1, v54
	v_addc_co_u32_e32 v55, vcc, 0, v55, vcc
.LBB4_5054:                             ;   in Loop: Header=BB4_5029 Depth=1
	s_or_b64 exec, exec, s[40:41]
	s_and_saveexec_b64 s[20:21], s[10:11]
	s_cbranch_execz .LBB4_5073
; %bb.5055:                             ;   in Loop: Header=BB4_5029 Depth=1
	s_and_saveexec_b64 vcc, s[30:31]
	s_xor_b64 s[40:41], exec, vcc
	s_cbranch_execz .LBB4_5070
; %bb.5056:                             ;   in Loop: Header=BB4_5029 Depth=1
	s_and_saveexec_b64 s[42:43], s[12:13]
	s_cbranch_execz .LBB4_5069
; %bb.5057:                             ;   in Loop: Header=BB4_5029 Depth=1
	s_mov_b64 s[46:47], exec
	v_mbcnt_lo_u32_b32 v2, s46, 0
	v_mbcnt_hi_u32_b32 v2, s47, v2
	v_cmp_eq_u32_e32 vcc, 0, v2
	s_waitcnt vmcnt(0) lgkmcnt(0)
	buffer_wbinvl1_vol
	s_and_saveexec_b64 s[44:45], vcc
	s_cbranch_execz .LBB4_5059
; %bb.5058:                             ;   in Loop: Header=BB4_5029 Depth=1
	s_bcnt1_i32_b64 vcc_lo, s[46:47]
	v_mov_b32_e32 v2, vcc_lo
	v_mov_b32_e32 v3, v13
	ds_add_u64 v0, v[2:3]
	s_trap 2
.LBB4_5059:                             ;   in Loop: Header=BB4_5029 Depth=1
	s_or_b64 exec, exec, s[44:45]
	s_trap 2
	ds_read_b64 v[2:3], v0
	v_accvgpr_read_b32 v4, a6
	v_accvgpr_read_b32 v5, a7
	v_add_co_u32_e32 v4, vcc, v4, v10
	v_addc_co_u32_e32 v5, vcc, 0, v5, vcc
	v_accvgpr_write_b32 a7, v5
	v_accvgpr_write_b32 a6, v4
	s_waitcnt lgkmcnt(0)
	v_cmp_lt_u64_e32 vcc, v[2:3], v[4:5]
	s_and_saveexec_b64 s[44:45], vcc
	s_cbranch_execz .LBB4_5068
; %bb.5060:                             ;   in Loop: Header=BB4_5029 Depth=1
	s_mov_b32 s56, 0
	s_mov_b64 s[46:47], 0
                                        ; implicit-def: $sgpr48_sgpr49
                                        ; implicit-def: $sgpr50_sgpr51
	s_branch .LBB4_5062
.LBB4_5061:                             ;   in Loop: Header=BB4_5062 Depth=2
	s_or_b64 exec, exec, s[54:55]
	s_and_b64 vcc, exec, vcc
	s_or_b64 s[46:47], vcc, s[46:47]
	s_andn2_b64 vcc, s[48:49], exec
	s_and_b64 s[48:49], s[50:51], exec
	s_or_b64 s[48:49], vcc, s[48:49]
	s_andn2_b64 exec, exec, s[46:47]
	s_cbranch_execz .LBB4_5066
.LBB4_5062:                             ;   Parent Loop BB4_5029 Depth=1
                                        ; =>  This Inner Loop Header: Depth=2
	s_add_i32 s56, s56, 1
	s_cmpk_lg_i32 s56, 0x2710
	s_cselect_b64 s[52:53], -1, 0
	s_and_b64 vcc, exec, s[52:53]
                                        ; implicit-def: $sgpr54_sgpr55
	s_cbranch_vccnz .LBB4_5064
; %bb.5063:                             ;   in Loop: Header=BB4_5062 Depth=2
	s_trap 2
	ds_read_b64 v[2:3], v0
	s_andn2_b64 s[52:53], s[52:53], exec
	s_mov_b32 s56, 0
	s_mov_b64 s[54:55], -1
	s_waitcnt lgkmcnt(0)
	flat_load_dword v2, v[2:3] glc
	s_waitcnt vmcnt(0) lgkmcnt(0)
	buffer_invl2
	buffer_wbinvl1_vol
	v_cmp_eq_u32_e32 vcc, 0, v2
	s_and_b64 vcc, vcc, exec
	s_or_b64 s[52:53], s[52:53], vcc
.LBB4_5064:                             ;   in Loop: Header=BB4_5062 Depth=2
	s_andn2_b64 s[50:51], s[50:51], exec
	s_and_b64 s[54:55], s[54:55], exec
	s_mov_b64 vcc, -1
	s_or_b64 s[50:51], s[50:51], s[54:55]
	s_and_saveexec_b64 s[54:55], s[52:53]
	s_cbranch_execz .LBB4_5061
; %bb.5065:                             ;   in Loop: Header=BB4_5062 Depth=2
	s_sleep 1
	s_trap 2
	ds_read_b64 v[2:3], v0
	v_accvgpr_read_b32 v4, a6
	v_accvgpr_read_b32 v5, a7
	s_andn2_b64 s[50:51], s[50:51], exec
	s_waitcnt lgkmcnt(0)
	v_cmp_ge_u64_e32 vcc, v[2:3], v[4:5]
	s_orn2_b64 vcc, vcc, exec
	s_branch .LBB4_5061
.LBB4_5066:                             ;   in Loop: Header=BB4_5029 Depth=1
	s_or_b64 exec, exec, s[46:47]
	s_and_saveexec_b64 vcc, s[48:49]
	s_xor_b64 vcc, exec, vcc
	s_cbranch_execz .LBB4_5068
; %bb.5067:                             ;   in Loop: Header=BB4_5029 Depth=1
	ds_write_b32 v0, v31
	s_trap 2
.LBB4_5068:                             ;   in Loop: Header=BB4_5029 Depth=1
	s_or_b64 exec, exec, s[44:45]
	;;#ASMSTART
	s_wakeup
	;;#ASMEND
.LBB4_5069:                             ;   in Loop: Header=BB4_5029 Depth=1
	s_or_b64 exec, exec, s[42:43]
.LBB4_5070:                             ;   in Loop: Header=BB4_5029 Depth=1
	s_andn2_saveexec_b64 vcc, s[40:41]
	s_cbranch_execz .LBB4_5072
; %bb.5071:                             ;   in Loop: Header=BB4_5029 Depth=1
	s_waitcnt vmcnt(0) lgkmcnt(0)
	buffer_wbinvl1_vol
	s_barrier
.LBB4_5072:                             ;   in Loop: Header=BB4_5029 Depth=1
	s_or_b64 exec, exec, vcc
.LBB4_5073:                             ;   in Loop: Header=BB4_5029 Depth=1
	s_or_b64 exec, exec, s[20:21]
	s_trap 2
	ds_read_b32 v2, v0
	v_and_b32_e32 v3, 0x4000, v62
	v_cmp_ne_u32_e32 vcc, 0, v3
	s_and_b64 vcc, s[34:35], vcc
	s_and_saveexec_b64 s[20:21], vcc
	s_cbranch_execz .LBB4_5092
; %bb.5074:                             ;   in Loop: Header=BB4_5029 Depth=1
	s_and_saveexec_b64 vcc, s[30:31]
	s_xor_b64 s[40:41], exec, vcc
	s_cbranch_execz .LBB4_5089
; %bb.5075:                             ;   in Loop: Header=BB4_5029 Depth=1
	s_and_saveexec_b64 s[42:43], s[12:13]
	s_cbranch_execz .LBB4_5088
; %bb.5076:                             ;   in Loop: Header=BB4_5029 Depth=1
	s_mov_b64 s[46:47], exec
	v_mbcnt_lo_u32_b32 v3, s46, 0
	v_mbcnt_hi_u32_b32 v3, s47, v3
	v_cmp_eq_u32_e32 vcc, 0, v3
	s_waitcnt vmcnt(0) lgkmcnt(0)
	buffer_wbinvl1_vol
	s_and_saveexec_b64 s[44:45], vcc
	s_cbranch_execz .LBB4_5078
; %bb.5077:                             ;   in Loop: Header=BB4_5029 Depth=1
	s_bcnt1_i32_b64 vcc_lo, s[46:47]
	v_mov_b32_e32 v4, vcc_lo
	v_mov_b32_e32 v5, v13
	ds_add_u64 v0, v[4:5]
	s_trap 2
.LBB4_5078:                             ;   in Loop: Header=BB4_5029 Depth=1
	s_or_b64 exec, exec, s[44:45]
	s_trap 2
	ds_read_b64 v[4:5], v0
	v_accvgpr_read_b32 v6, a6
	v_accvgpr_read_b32 v7, a7
	v_add_co_u32_e32 v6, vcc, v6, v10
	v_addc_co_u32_e32 v7, vcc, 0, v7, vcc
	v_accvgpr_write_b32 a6, v6
	v_accvgpr_write_b32 a7, v7
	s_waitcnt lgkmcnt(0)
	v_cmp_lt_u64_e32 vcc, v[4:5], v[6:7]
	s_and_saveexec_b64 s[44:45], vcc
	s_cbranch_execz .LBB4_5087
; %bb.5079:                             ;   in Loop: Header=BB4_5029 Depth=1
	s_mov_b32 s56, 0
	s_mov_b64 s[46:47], 0
                                        ; implicit-def: $sgpr48_sgpr49
                                        ; implicit-def: $sgpr50_sgpr51
	s_branch .LBB4_5081
.LBB4_5080:                             ;   in Loop: Header=BB4_5081 Depth=2
	s_or_b64 exec, exec, s[54:55]
	s_and_b64 vcc, exec, vcc
	s_or_b64 s[46:47], vcc, s[46:47]
	s_andn2_b64 vcc, s[48:49], exec
	s_and_b64 s[48:49], s[50:51], exec
	s_or_b64 s[48:49], vcc, s[48:49]
	s_andn2_b64 exec, exec, s[46:47]
	s_cbranch_execz .LBB4_5085
.LBB4_5081:                             ;   Parent Loop BB4_5029 Depth=1
                                        ; =>  This Inner Loop Header: Depth=2
	s_add_i32 s56, s56, 1
	s_cmpk_lg_i32 s56, 0x2710
	s_cselect_b64 s[52:53], -1, 0
	s_and_b64 vcc, exec, s[52:53]
                                        ; implicit-def: $sgpr54_sgpr55
	s_cbranch_vccnz .LBB4_5083
; %bb.5082:                             ;   in Loop: Header=BB4_5081 Depth=2
	s_trap 2
	ds_read_b64 v[4:5], v0
	s_andn2_b64 s[52:53], s[52:53], exec
	s_mov_b32 s56, 0
	s_mov_b64 s[54:55], -1
	s_waitcnt lgkmcnt(0)
	flat_load_dword v3, v[4:5] glc
	s_waitcnt vmcnt(0) lgkmcnt(0)
	buffer_invl2
	buffer_wbinvl1_vol
	v_cmp_eq_u32_e32 vcc, 0, v3
	s_and_b64 vcc, vcc, exec
	s_or_b64 s[52:53], s[52:53], vcc
.LBB4_5083:                             ;   in Loop: Header=BB4_5081 Depth=2
	s_andn2_b64 s[50:51], s[50:51], exec
	s_and_b64 s[54:55], s[54:55], exec
	s_mov_b64 vcc, -1
	s_or_b64 s[50:51], s[50:51], s[54:55]
	s_and_saveexec_b64 s[54:55], s[52:53]
	s_cbranch_execz .LBB4_5080
; %bb.5084:                             ;   in Loop: Header=BB4_5081 Depth=2
	s_sleep 1
	s_trap 2
	ds_read_b64 v[4:5], v0
	v_accvgpr_read_b32 v6, a6
	v_accvgpr_read_b32 v7, a7
	s_andn2_b64 s[50:51], s[50:51], exec
	s_waitcnt lgkmcnt(0)
	v_cmp_ge_u64_e32 vcc, v[4:5], v[6:7]
	s_orn2_b64 vcc, vcc, exec
	s_branch .LBB4_5080
.LBB4_5085:                             ;   in Loop: Header=BB4_5029 Depth=1
	s_or_b64 exec, exec, s[46:47]
	s_and_saveexec_b64 vcc, s[48:49]
	s_xor_b64 vcc, exec, vcc
	s_cbranch_execz .LBB4_5087
; %bb.5086:                             ;   in Loop: Header=BB4_5029 Depth=1
	ds_write_b32 v0, v31
	s_trap 2
.LBB4_5087:                             ;   in Loop: Header=BB4_5029 Depth=1
	s_or_b64 exec, exec, s[44:45]
	;;#ASMSTART
	s_wakeup
	;;#ASMEND
.LBB4_5088:                             ;   in Loop: Header=BB4_5029 Depth=1
	s_or_b64 exec, exec, s[42:43]
.LBB4_5089:                             ;   in Loop: Header=BB4_5029 Depth=1
	s_andn2_saveexec_b64 vcc, s[40:41]
	s_cbranch_execz .LBB4_5091
; %bb.5090:                             ;   in Loop: Header=BB4_5029 Depth=1
	s_waitcnt vmcnt(0) lgkmcnt(0)
	buffer_wbinvl1_vol
	s_barrier
.LBB4_5091:                             ;   in Loop: Header=BB4_5029 Depth=1
	s_or_b64 exec, exec, vcc
.LBB4_5092:                             ;   in Loop: Header=BB4_5029 Depth=1
	s_or_b64 exec, exec, s[20:21]
	s_trap 2
	ds_read_b64 v[4:5], v0
	s_waitcnt lgkmcnt(0)
	v_readfirstlane_b32 s20, v4
	v_readfirstlane_b32 s21, v5
	s_cmp_eq_u64 s[20:21], 0
	s_cselect_b64 s[20:21], -1, 0
	s_or_b64 vcc, s[20:21], s[20:21]
	s_mov_b64 s[20:21], 0
	s_and_b64 vcc, exec, vcc
	s_cbranch_vccnz .LBB4_5121
; %bb.5093:                             ;   in Loop: Header=BB4_5029 Depth=1
	s_mov_b64 s[20:21], -1
	s_and_saveexec_b64 s[40:41], s[14:15]
	s_cbranch_execz .LBB4_5095
; %bb.5094:                             ;   in Loop: Header=BB4_5029 Depth=1
	ds_read_b32 v3, v0 offset:720
	s_waitcnt lgkmcnt(0)
	v_and_b32_e32 v3, 15, v3
	v_cmp_eq_u32_e32 vcc, 0, v3
	s_orn2_b64 s[20:21], vcc, exec
.LBB4_5095:                             ;   in Loop: Header=BB4_5029 Depth=1
	s_or_b64 exec, exec, s[40:41]
	s_and_saveexec_b64 s[40:41], s[16:17]
	s_cbranch_execz .LBB4_5097
; %bb.5096:                             ;   in Loop: Header=BB4_5029 Depth=1
	ds_read_b32 v3, v0 offset:784
	s_waitcnt lgkmcnt(0)
	v_and_b32_e32 v3, 15, v3
	v_cmp_eq_u32_e32 vcc, 0, v3
	s_and_b64 vcc, s[20:21], vcc
	s_andn2_b64 s[20:21], s[20:21], exec
	s_and_b64 vcc, vcc, exec
	s_or_b64 s[20:21], s[20:21], vcc
.LBB4_5097:                             ;   in Loop: Header=BB4_5029 Depth=1
	s_or_b64 exec, exec, s[40:41]
	v_cmp_eq_u32_e32 vcc, 0, v2
	s_xor_b64 s[20:21], s[20:21], -1
	v_cndmask_b32_e32 v21, 0, v12, vcc
	v_cndmask_b32_e64 v2, 0, 1, s[20:21]
	v_mov_b32_e32 v23, 0
	s_mov_b64 s[42:43], -1
	;;#ASMSTART
	;;#ASMEND
	v_cmp_ne_u32_e32 vcc, 0, v2
	v_mov_b32_e32 v34, v21
	v_mov_b32_e32 v35, v58
	;; [unrolled: 1-line block ×3, first 2 shown]
	s_cbranch_vccz .LBB4_5099
; %bb.5098:                             ;   in Loop: Header=BB4_5029 Depth=1
	s_and_saveexec_b64 s[20:21], s[42:43]
	s_cbranch_execnz .LBB4_5112
	s_branch .LBB4_5120
.LBB4_5099:                             ;   in Loop: Header=BB4_5029 Depth=1
	v_lshrrev_b32_e32 v2, 11, v21
	v_sub_u32_e32 v24, v2, v1
	v_cmp_lt_i32_e32 vcc, 0, v24
	s_and_saveexec_b64 s[20:21], vcc
	s_cbranch_execz .LBB4_5103
; %bb.5100:                             ;   in Loop: Header=BB4_5029 Depth=1
	s_trap 2
	ds_read_b64 v[2:3], v0
	v_pk_mov_b32 v[6:7], v[52:53], v[52:53] op_sel:[0,1]
	v_pk_mov_b32 v[8:9], v[54:55], v[54:55] op_sel:[0,1]
	s_mov_b64 s[40:41], 0
	v_pk_mov_b32 v[22:23], v[14:15], v[14:15] op_sel:[0,1]
.LBB4_5101:                             ;   Parent Loop BB4_5029 Depth=1
                                        ; =>  This Inner Loop Header: Depth=2
	s_waitcnt lgkmcnt(0)
	v_add_co_u32_e32 v4, vcc, v2, v22
	v_addc_co_u32_e32 v5, vcc, v3, v23, vcc
	global_load_dwordx4 v[48:51], v[4:5], off glc slc
	global_load_dwordx4 v[52:55], v[4:5], off offset:1024 glc slc
	v_add_co_u32_e32 v22, vcc, v22, v26
	v_sub_u32_e32 v24, v24, v10
	v_addc_co_u32_e32 v23, vcc, v23, v27, vcc
	v_cmp_gt_i32_e32 vcc, 1, v24
	s_or_b64 s[40:41], vcc, s[40:41]
	s_waitcnt vmcnt(0)
	global_store_dwordx4 v[4:5], v[48:51], off glc slc
	global_store_dwordx4 v[4:5], v[52:55], off offset:1024 glc slc
	s_andn2_b64 exec, exec, s[40:41]
	s_cbranch_execnz .LBB4_5101
; %bb.5102:                             ;   in Loop: Header=BB4_5029 Depth=1
	s_or_b64 exec, exec, s[40:41]
	v_pk_mov_b32 v[54:55], v[8:9], v[8:9] op_sel:[0,1]
	v_pk_mov_b32 v[52:53], v[6:7], v[6:7] op_sel:[0,1]
.LBB4_5103:                             ;   in Loop: Header=BB4_5029 Depth=1
	s_or_b64 exec, exec, s[20:21]
	v_and_b32_e32 v22, 0x3ffff800, v21
	v_cmp_ne_u32_e32 vcc, v22, v21
	s_mov_b64 s[42:43], 0
	v_mov_b32_e32 v23, 0
                                        ; implicit-def: $vgpr34
                                        ; implicit-def: $vgpr35
                                        ; implicit-def: $vgpr17
	s_and_saveexec_b64 s[40:41], vcc
	s_cbranch_execz .LBB4_5111
; %bb.5104:                             ;   in Loop: Header=BB4_5029 Depth=1
	v_lshlrev_b32_e32 v3, 6, v24
	v_sub_u32_e32 v3, v0, v3
	v_ashrrev_i32_e32 v4, 31, v3
	v_lshrrev_b32_e32 v4, 26, v4
	v_add_u32_e32 v4, v3, v4
	v_ashrrev_i32_e32 v5, 6, v4
	v_and_b32_e32 v4, 0xffffffc0, v4
	v_and_b32_e32 v2, 0x7ff, v21
	v_sub_u32_e32 v24, v3, v4
	v_and_b32_e32 v6, 0x400, v21
	v_lshlrev_b32_e32 v3, 4, v24
	v_sub_u32_e32 v48, v2, v6
	v_lshl_add_u32 v4, v5, 10, v3
	v_bfe_u32 v3, v21, 10, 1
	v_cmp_lt_i32_e32 vcc, 15, v48
	v_sub_u32_e32 v23, v2, v4
	v_addc_co_u32_e64 v2, s[20:21], 0, v3, vcc
	v_sub_u32_e32 v25, v2, v5
	v_cmp_lt_i32_e64 s[20:21], 15, v23
	s_and_saveexec_b64 s[42:43], s[20:21]
	s_cbranch_execz .LBB4_5108
; %bb.5105:                             ;   in Loop: Header=BB4_5029 Depth=1
	s_trap 2
	ds_read_b64 v[2:3], v0
	v_pk_mov_b32 v[6:7], v[52:53], v[52:53] op_sel:[0,1]
	v_add_u32_e32 v22, v4, v22
	v_pk_mov_b32 v[8:9], v[54:55], v[54:55] op_sel:[0,1]
	v_ashrrev_i32_e32 v17, 31, v22
	s_mov_b64 s[44:45], 0
.LBB4_5106:                             ;   Parent Loop BB4_5029 Depth=1
                                        ; =>  This Inner Loop Header: Depth=2
	s_waitcnt lgkmcnt(0)
	v_add_co_u32_e64 v4, s[20:21], v2, v22
	v_addc_co_u32_e64 v5, s[20:21], v3, v17, s[20:21]
	global_load_dwordx4 v[50:53], v[4:5], off glc slc
	v_add_co_u32_e64 v22, s[20:21], v22, v29
	v_sub_u32_e32 v23, v23, v28
	v_addc_co_u32_e64 v17, s[20:21], v17, v30, s[20:21]
	v_cmp_gt_i32_e64 s[20:21], 16, v23
	v_sub_u32_e32 v25, v25, v10
	s_or_b64 s[44:45], s[20:21], s[44:45]
	s_waitcnt vmcnt(0)
	global_store_dwordx4 v[4:5], v[50:53], off glc slc
	s_andn2_b64 exec, exec, s[44:45]
	s_cbranch_execnz .LBB4_5106
; %bb.5107:                             ;   in Loop: Header=BB4_5029 Depth=1
	s_or_b64 exec, exec, s[44:45]
	v_pk_mov_b32 v[54:55], v[8:9], v[8:9] op_sel:[0,1]
	v_pk_mov_b32 v[52:53], v[6:7], v[6:7] op_sel:[0,1]
.LBB4_5108:                             ;   in Loop: Header=BB4_5029 Depth=1
	s_or_b64 exec, exec, s[42:43]
	v_and_b32_e32 v2, 15, v21
	v_cndmask_b32_e32 v34, v48, v2, vcc
	v_cmp_ne_u32_e64 s[20:21], 0, v34
	s_mov_b64 s[42:43], 0
	v_mov_b32_e32 v23, 0
                                        ; implicit-def: $vgpr35
                                        ; implicit-def: $vgpr17
	s_and_saveexec_b64 s[44:45], s[20:21]
	s_cbranch_execz .LBB4_5110
; %bb.5109:                             ;   in Loop: Header=BB4_5029 Depth=1
	v_sub_u32_e32 v2, v48, v2
	v_and_b32_e32 v3, 0x3ffffc00, v21
	v_cndmask_b32_e32 v2, 0, v2, vcc
	v_cmp_lt_i32_e32 vcc, 0, v25
	v_add_u32_e32 v23, v2, v3
	v_cndmask_b32_e32 v2, 0, v10, vcc
	v_sub_u32_e32 v2, v2, v25
	v_lshl_add_u32 v35, v2, 6, v24
	v_ashrrev_i32_e32 v2, 31, v35
	v_lshrrev_b32_e32 v2, 26, v2
	v_add_u32_e32 v2, v35, v2
	s_mov_b64 s[42:43], exec
	v_ashrrev_i32_e32 v17, 6, v2
.LBB4_5110:                             ;   in Loop: Header=BB4_5029 Depth=1
	s_or_b64 exec, exec, s[44:45]
	s_and_b64 s[42:43], s[42:43], exec
.LBB4_5111:                             ;   in Loop: Header=BB4_5029 Depth=1
	s_or_b64 exec, exec, s[40:41]
	s_and_saveexec_b64 s[20:21], s[42:43]
	s_cbranch_execz .LBB4_5120
.LBB4_5112:                             ;   in Loop: Header=BB4_5029 Depth=1
	v_ashrrev_i32_e32 v2, 31, v34
	v_lshrrev_b32_e32 v2, 22, v2
	v_add_u32_e32 v2, v34, v2
	v_ashrrev_i32_e32 v50, 10, v2
	v_sub_u32_e32 v48, v50, v17
	v_ashrrev_i32_e32 v2, 31, v35
	v_cmp_lt_i32_e32 vcc, 0, v48
	v_lshrrev_b32_e32 v49, 26, v2
	s_and_saveexec_b64 s[40:41], vcc
	s_cbranch_execz .LBB4_5116
; %bb.5113:                             ;   in Loop: Header=BB4_5029 Depth=1
	s_trap 2
	ds_read_b64 v[2:3], v0
	v_add_u32_e32 v4, v35, v49
	v_and_b32_e32 v4, 0xffffffc0, v4
	v_sub_u32_e32 v4, v35, v4
	v_lshlrev_b32_e32 v5, 10, v17
	v_accvgpr_write_b32 a10, v52
	v_accvgpr_write_b32 a4, v44
	;; [unrolled: 1-line block ×4, first 2 shown]
	v_add3_u32 v22, v23, v4, v5
	v_accvgpr_write_b32 a11, v53
	v_accvgpr_write_b32 a12, v54
	;; [unrolled: 1-line block ×6, first 2 shown]
	v_ashrrev_i32_e32 v17, 31, v22
	s_mov_b64 s[42:43], 0
	s_waitcnt lgkmcnt(0)
	v_pk_mov_b32 v[24:25], v[2:3], v[2:3] op_sel:[0,1]
.LBB4_5114:                             ;   Parent Loop BB4_5029 Depth=1
                                        ; =>  This Inner Loop Header: Depth=2
	v_add_co_u32_e32 v4, vcc, v22, v24
	v_addc_co_u32_e32 v5, vcc, v17, v25, vcc
	flat_load_ubyte v6, v[4:5] glc slc
	flat_load_ubyte v7, v[4:5] offset:64 glc slc
	flat_load_ubyte v8, v[4:5] offset:128 glc slc
	flat_load_ubyte v9, v[4:5] offset:192 glc slc
	flat_load_ubyte v38, v[4:5] offset:256 glc slc
	flat_load_ubyte v39, v[4:5] offset:320 glc slc
	flat_load_ubyte v51, v[4:5] offset:384 glc slc
	flat_load_ubyte v52, v[4:5] offset:448 glc slc
	flat_load_ubyte v53, v[4:5] offset:512 glc slc
	flat_load_ubyte v54, v[4:5] offset:576 glc slc
	flat_load_ubyte v55, v[4:5] offset:640 glc slc
	flat_load_ubyte v40, v[4:5] offset:704 glc slc
	flat_load_ubyte v41, v[4:5] offset:768 glc slc
	flat_load_ubyte v42, v[4:5] offset:832 glc slc
	flat_load_ubyte v43, v[4:5] offset:896 glc slc
	flat_load_ubyte v44, v[4:5] offset:960 glc slc
	v_add_co_u32_e32 v4, vcc, v22, v2
	v_addc_co_u32_e32 v5, vcc, v17, v3, vcc
	v_add_co_u32_e32 v24, vcc, v24, v29
	v_addc_co_u32_e32 v25, vcc, v25, v30, vcc
	v_add_co_u32_e32 v2, vcc, v2, v29
	v_sub_u32_e32 v48, v48, v10
	v_addc_co_u32_e32 v3, vcc, v3, v30, vcc
	v_cmp_gt_i32_e32 vcc, 1, v48
	s_or_b64 s[42:43], vcc, s[42:43]
	s_waitcnt vmcnt(0) lgkmcnt(0)
	flat_store_byte v[4:5], v6 glc slc
	flat_store_byte v[4:5], v7 offset:64 glc slc
	flat_store_byte v[4:5], v8 offset:128 glc slc
	flat_store_byte v[4:5], v9 offset:192 glc slc
	flat_store_byte v[4:5], v38 offset:256 glc slc
	flat_store_byte v[4:5], v39 offset:320 glc slc
	flat_store_byte v[4:5], v51 offset:384 glc slc
	flat_store_byte v[4:5], v52 offset:448 glc slc
	flat_store_byte v[4:5], v53 offset:512 glc slc
	flat_store_byte v[4:5], v54 offset:576 glc slc
	flat_store_byte v[4:5], v55 offset:640 glc slc
	flat_store_byte v[4:5], v40 offset:704 glc slc
	flat_store_byte v[4:5], v41 offset:768 glc slc
	flat_store_byte v[4:5], v42 offset:832 glc slc
	flat_store_byte v[4:5], v43 offset:896 glc slc
	flat_store_byte v[4:5], v44 offset:960 glc slc
	s_andn2_b64 exec, exec, s[42:43]
	s_cbranch_execnz .LBB4_5114
; %bb.5115:                             ;   in Loop: Header=BB4_5029 Depth=1
	s_or_b64 exec, exec, s[42:43]
	v_accvgpr_read_b32 v41, a1
	v_accvgpr_read_b32 v39, a3
	;; [unrolled: 1-line block ×10, first 2 shown]
.LBB4_5116:                             ;   in Loop: Header=BB4_5029 Depth=1
	s_or_b64 exec, exec, s[40:41]
	v_lshlrev_b32_e32 v2, 10, v50
	v_cmp_ne_u32_e32 vcc, v34, v2
	s_and_b64 exec, exec, vcc
	s_cbranch_execz .LBB4_5120
; %bb.5117:                             ;   in Loop: Header=BB4_5029 Depth=1
	v_add_u32_e32 v3, v35, v49
	v_and_b32_e32 v3, 0xffffffc0, v3
	v_sub_u32_e32 v3, v35, v3
	v_lshlrev_b32_e32 v4, 6, v48
	v_sub_u32_e32 v3, v3, v4
	v_add_u32_e32 v4, v2, v3
	v_sub_u32_e32 v24, v34, v4
	v_cmp_lt_i32_e32 vcc, 0, v24
	s_and_b64 exec, exec, vcc
	s_cbranch_execz .LBB4_5120
; %bb.5118:                             ;   in Loop: Header=BB4_5029 Depth=1
	s_trap 2
	ds_read_b64 v[2:3], v0
	v_add_u32_e32 v22, v4, v23
	v_ashrrev_i32_e32 v17, 31, v22
	s_mov_b64 s[40:41], 0
.LBB4_5119:                             ;   Parent Loop BB4_5029 Depth=1
                                        ; =>  This Inner Loop Header: Depth=2
	s_waitcnt lgkmcnt(0)
	v_add_co_u32_e32 v4, vcc, v2, v22
	v_addc_co_u32_e32 v5, vcc, v3, v17, vcc
	flat_load_ubyte v6, v[4:5] glc slc
	v_add_co_u32_e32 v22, vcc, v22, v16
	v_sub_u32_e32 v24, v24, v16
	v_addc_co_u32_e32 v17, vcc, v17, v11, vcc
	v_cmp_gt_i32_e32 vcc, 1, v24
	s_or_b64 s[40:41], vcc, s[40:41]
	s_waitcnt vmcnt(0) lgkmcnt(0)
	flat_store_byte v[4:5], v6 glc slc
	s_andn2_b64 exec, exec, s[40:41]
	s_cbranch_execnz .LBB4_5119
.LBB4_5120:                             ;   in Loop: Header=BB4_5029 Depth=1
	s_or_b64 exec, exec, s[20:21]
	v_cmp_ne_u32_e64 s[20:21], 0, v21
.LBB4_5121:                             ;   in Loop: Header=BB4_5029 Depth=1
	s_and_saveexec_b64 s[40:41], s[10:11]
	s_cbranch_execz .LBB4_5140
; %bb.5122:                             ;   in Loop: Header=BB4_5029 Depth=1
	s_and_saveexec_b64 vcc, s[30:31]
	s_xor_b64 s[42:43], exec, vcc
	s_cbranch_execz .LBB4_5137
; %bb.5123:                             ;   in Loop: Header=BB4_5029 Depth=1
	s_and_saveexec_b64 s[44:45], s[12:13]
	s_cbranch_execz .LBB4_5136
; %bb.5124:                             ;   in Loop: Header=BB4_5029 Depth=1
	s_mov_b64 s[48:49], exec
	v_mbcnt_lo_u32_b32 v2, s48, 0
	v_mbcnt_hi_u32_b32 v2, s49, v2
	v_cmp_eq_u32_e32 vcc, 0, v2
	s_waitcnt vmcnt(0) lgkmcnt(0)
	buffer_wbinvl1_vol
	s_and_saveexec_b64 s[46:47], vcc
	s_cbranch_execz .LBB4_5126
; %bb.5125:                             ;   in Loop: Header=BB4_5029 Depth=1
	s_bcnt1_i32_b64 vcc_lo, s[48:49]
	v_mov_b32_e32 v2, vcc_lo
	v_mov_b32_e32 v3, v13
	ds_add_u64 v0, v[2:3]
	s_trap 2
.LBB4_5126:                             ;   in Loop: Header=BB4_5029 Depth=1
	s_or_b64 exec, exec, s[46:47]
	s_trap 2
	ds_read_b64 v[2:3], v0
	v_accvgpr_read_b32 v4, a6
	v_accvgpr_read_b32 v5, a7
	v_add_co_u32_e32 v4, vcc, v4, v10
	v_addc_co_u32_e32 v5, vcc, 0, v5, vcc
	v_accvgpr_write_b32 a7, v5
	v_accvgpr_write_b32 a6, v4
	s_waitcnt lgkmcnt(0)
	v_cmp_lt_u64_e32 vcc, v[2:3], v[4:5]
	s_and_saveexec_b64 s[46:47], vcc
	s_cbranch_execz .LBB4_5135
; %bb.5127:                             ;   in Loop: Header=BB4_5029 Depth=1
	s_mov_b32 s60, 0
	s_mov_b64 s[48:49], 0
                                        ; implicit-def: $sgpr50_sgpr51
                                        ; implicit-def: $sgpr52_sgpr53
	s_branch .LBB4_5129
.LBB4_5128:                             ;   in Loop: Header=BB4_5129 Depth=2
	s_or_b64 exec, exec, s[56:57]
	s_and_b64 vcc, exec, vcc
	s_or_b64 s[48:49], vcc, s[48:49]
	s_andn2_b64 vcc, s[50:51], exec
	s_and_b64 s[50:51], s[52:53], exec
	s_or_b64 s[50:51], vcc, s[50:51]
	s_andn2_b64 exec, exec, s[48:49]
	s_cbranch_execz .LBB4_5133
.LBB4_5129:                             ;   Parent Loop BB4_5029 Depth=1
                                        ; =>  This Inner Loop Header: Depth=2
	s_add_i32 s60, s60, 1
	s_cmpk_lg_i32 s60, 0x2710
	s_cselect_b64 s[54:55], -1, 0
	s_and_b64 vcc, exec, s[54:55]
                                        ; implicit-def: $sgpr56_sgpr57
	s_cbranch_vccnz .LBB4_5131
; %bb.5130:                             ;   in Loop: Header=BB4_5129 Depth=2
	s_trap 2
	ds_read_b64 v[2:3], v0
	s_andn2_b64 s[54:55], s[54:55], exec
	s_mov_b32 s60, 0
	s_mov_b64 s[56:57], -1
	s_waitcnt lgkmcnt(0)
	flat_load_dword v2, v[2:3] glc
	s_waitcnt vmcnt(0) lgkmcnt(0)
	buffer_invl2
	buffer_wbinvl1_vol
	v_cmp_eq_u32_e32 vcc, 0, v2
	s_and_b64 vcc, vcc, exec
	s_or_b64 s[54:55], s[54:55], vcc
.LBB4_5131:                             ;   in Loop: Header=BB4_5129 Depth=2
	s_andn2_b64 s[52:53], s[52:53], exec
	s_and_b64 s[56:57], s[56:57], exec
	s_mov_b64 vcc, -1
	s_or_b64 s[52:53], s[52:53], s[56:57]
	s_and_saveexec_b64 s[56:57], s[54:55]
	s_cbranch_execz .LBB4_5128
; %bb.5132:                             ;   in Loop: Header=BB4_5129 Depth=2
	s_sleep 1
	s_trap 2
	ds_read_b64 v[2:3], v0
	v_accvgpr_read_b32 v4, a6
	v_accvgpr_read_b32 v5, a7
	s_andn2_b64 s[52:53], s[52:53], exec
	s_waitcnt lgkmcnt(0)
	v_cmp_ge_u64_e32 vcc, v[2:3], v[4:5]
	s_orn2_b64 vcc, vcc, exec
	s_branch .LBB4_5128
.LBB4_5133:                             ;   in Loop: Header=BB4_5029 Depth=1
	s_or_b64 exec, exec, s[48:49]
	s_and_saveexec_b64 vcc, s[50:51]
	s_xor_b64 vcc, exec, vcc
	s_cbranch_execz .LBB4_5135
; %bb.5134:                             ;   in Loop: Header=BB4_5029 Depth=1
	ds_write_b32 v0, v31
	s_trap 2
.LBB4_5135:                             ;   in Loop: Header=BB4_5029 Depth=1
	s_or_b64 exec, exec, s[46:47]
	;;#ASMSTART
	s_wakeup
	;;#ASMEND
.LBB4_5136:                             ;   in Loop: Header=BB4_5029 Depth=1
	s_or_b64 exec, exec, s[44:45]
.LBB4_5137:                             ;   in Loop: Header=BB4_5029 Depth=1
	s_andn2_saveexec_b64 vcc, s[42:43]
	s_cbranch_execz .LBB4_5139
; %bb.5138:                             ;   in Loop: Header=BB4_5029 Depth=1
	s_waitcnt vmcnt(0) lgkmcnt(0)
	buffer_wbinvl1_vol
	s_barrier
.LBB4_5139:                             ;   in Loop: Header=BB4_5029 Depth=1
	s_or_b64 exec, exec, vcc
.LBB4_5140:                             ;   in Loop: Header=BB4_5029 Depth=1
	s_or_b64 exec, exec, s[40:41]
	v_and_b32_e32 v2, 16, v62
	v_cmp_ne_u32_e32 vcc, 0, v2
	s_and_b64 vcc, vcc, s[20:21]
	s_and_saveexec_b64 s[20:21], vcc
	s_cbranch_execz .LBB4_5142
; %bb.5141:                             ;   in Loop: Header=BB4_5029 Depth=1
	s_waitcnt vmcnt(0) lgkmcnt(0)
	buffer_wbinvl1_vol
.LBB4_5142:                             ;   in Loop: Header=BB4_5029 Depth=1
	s_or_b64 exec, exec, s[20:21]
	v_cmp_ne_u32_e32 vcc, 0, v2
	s_and_saveexec_b64 s[20:21], vcc
	s_cbranch_execz .LBB4_5146
; %bb.5143:                             ;   in Loop: Header=BB4_5029 Depth=1
	s_and_saveexec_b64 vcc, s[18:19]
	s_cbranch_execz .LBB4_5145
; %bb.5144:                             ;   in Loop: Header=BB4_5029 Depth=1
	flat_store_dword v[60:61], v31
.LBB4_5145:                             ;   in Loop: Header=BB4_5029 Depth=1
	s_or_b64 exec, exec, vcc
	v_add_co_u32_e32 v54, vcc, 1, v54
	v_addc_co_u32_e32 v55, vcc, 0, v55, vcc
	flat_store_dwordx2 v[32:33], v[54:55]
.LBB4_5146:                             ;   in Loop: Header=BB4_5029 Depth=1
	s_or_b64 exec, exec, s[20:21]
	v_mov_b32_e32 v17, v12
.LBB4_5147:                             ;   in Loop: Header=BB4_5029 Depth=1
	s_or_b64 exec, exec, s[38:39]
	s_and_saveexec_b64 s[38:39], s[36:37]
	s_cbranch_execz .LBB4_5028
; %bb.5148:                             ;   in Loop: Header=BB4_5029 Depth=1
	v_and_b32_e32 v2, 8, v62
	v_cmp_ne_u32_e32 vcc, 0, v2
	s_mov_b64 s[36:37], -1
	s_and_saveexec_b64 s[20:21], vcc
	s_cbranch_execz .LBB4_5160
; %bb.5149:                             ;   in Loop: Header=BB4_5029 Depth=1
	v_add_co_u32_e32 v4, vcc, 8, v36
	v_addc_co_u32_e32 v5, vcc, 0, v37, vcc
	v_add_co_u32_e32 v2, vcc, 1, v54
	v_addc_co_u32_e32 v3, vcc, 0, v55, vcc
	v_cmp_lt_u64_e32 vcc, v[4:5], v[2:3]
	v_mov_b32_e32 v4, 1
	s_and_saveexec_b64 s[36:37], vcc
	s_cbranch_execz .LBB4_5159
; %bb.5150:                             ;   in Loop: Header=BB4_5029 Depth=1
	s_mov_b64 s[40:41], 0
	v_mov_b32_e32 v21, 0
                                        ; implicit-def: $sgpr42_sgpr43
	s_branch .LBB4_5154
.LBB4_5151:                             ;   in Loop: Header=BB4_5154 Depth=2
	s_or_b64 exec, exec, s[50:51]
	v_mov_b32_e32 v22, 0
	s_orn2_b64 s[48:49], s[48:49], exec
.LBB4_5152:                             ;   in Loop: Header=BB4_5154 Depth=2
	s_or_b64 exec, exec, s[46:47]
	s_andn2_b64 vcc, s[42:43], exec
	s_and_b64 s[42:43], s[48:49], exec
	s_or_b64 s[42:43], vcc, s[42:43]
	v_mov_b32_e32 v21, v22
.LBB4_5153:                             ;   in Loop: Header=BB4_5154 Depth=2
	s_or_b64 exec, exec, s[44:45]
	s_waitcnt vmcnt(0) lgkmcnt(0)
	v_add_co_u32_e32 v4, vcc, 8, v36
	v_addc_co_u32_e32 v5, vcc, 0, v37, vcc
	v_cmp_ge_u64_e32 vcc, v[4:5], v[2:3]
	s_xor_b64 s[44:45], s[42:43], -1
	s_or_b64 vcc, s[44:45], vcc
	s_and_b64 vcc, exec, vcc
	s_or_b64 s[40:41], vcc, s[40:41]
	s_andn2_b64 exec, exec, s[40:41]
	s_cbranch_execz .LBB4_5158
.LBB4_5154:                             ;   Parent Loop BB4_5029 Depth=1
                                        ; =>  This Inner Loop Header: Depth=2
	s_sleep 1
	flat_load_dwordx2 v[36:37], v[32:33] glc
	v_and_b32_e32 v4, 64, v62
	v_cmp_eq_u32_e32 vcc, 0, v4
	s_andn2_b64 s[42:43], s[42:43], exec
	s_and_saveexec_b64 s[44:45], vcc
	s_cbranch_execz .LBB4_5153
; %bb.5155:                             ;   in Loop: Header=BB4_5154 Depth=2
	v_add_u32_e32 v22, 1, v21
	v_cmp_lt_i32_e32 vcc, s59, v21
	s_mov_b64 s[48:49], -1
	s_and_saveexec_b64 s[46:47], vcc
	s_cbranch_execz .LBB4_5152
; %bb.5156:                             ;   in Loop: Header=BB4_5154 Depth=2
	s_trap 2
	ds_read_b64 v[4:5], v0
	s_waitcnt vmcnt(0) lgkmcnt(0)
	flat_load_dword v4, v[4:5] glc
	s_waitcnt vmcnt(0) lgkmcnt(0)
	buffer_invl2
	buffer_wbinvl1_vol
	v_cmp_ne_u32_e32 vcc, 0, v4
	s_and_saveexec_b64 s[50:51], vcc
	s_cbranch_execz .LBB4_5151
; %bb.5157:                             ;   in Loop: Header=BB4_5154 Depth=2
	v_or_b32_e32 v62, 64, v62
	s_xor_b64 s[48:49], exec, -1
	ds_write_b32 v0, v4
	s_trap 2
	s_branch .LBB4_5151
.LBB4_5158:                             ;   in Loop: Header=BB4_5029 Depth=1
	s_or_b64 exec, exec, s[40:41]
	v_and_b32_e32 v4, 8, v62
.LBB4_5159:                             ;   in Loop: Header=BB4_5029 Depth=1
	s_or_b64 exec, exec, s[36:37]
	v_cmp_eq_u32_e32 vcc, 0, v4
	s_orn2_b64 s[36:37], vcc, exec
	;;#ASMSTART
	s_wakeup
	;;#ASMEND
.LBB4_5160:                             ;   in Loop: Header=BB4_5029 Depth=1
	s_or_b64 exec, exec, s[20:21]
	v_sub_u32_e32 v2, v20, v17
	s_xor_b64 s[20:21], s[36:37], -1
	v_min_i32_e32 v2, v12, v2
	s_and_saveexec_b64 s[36:37], s[20:21]
	s_cbranch_execz .LBB4_5170
; %bb.5161:                             ;   in Loop: Header=BB4_5029 Depth=1
	v_and_b32_e32 v3, 0x100, v62
	v_cmp_ne_u32_e32 vcc, 0, v3
	v_and_b32_e32 v12, 7, v54
	s_mov_b64 s[20:21], -1
                                        ; implicit-def: $vgpr20_vgpr21
	s_and_saveexec_b64 s[40:41], vcc
	s_cbranch_execz .LBB4_5165
; %bb.5162:                             ;   in Loop: Header=BB4_5029 Depth=1
	v_mad_u64_u32 v[22:23], s[20:21], v12, 24, v[52:53]
	flat_load_dword v4, v[22:23]
	v_ashrrev_i32_e32 v3, 31, v2
	flat_store_dwordx2 v[22:23], v[2:3] offset:8
                                        ; implicit-def: $vgpr20_vgpr21
	s_waitcnt vmcnt(0) lgkmcnt(0)
	v_cmp_ne_u32_e32 vcc, 1, v4
	v_cmp_eq_u32_e64 s[20:21], 1, v4
	s_and_saveexec_b64 s[42:43], s[20:21]
	s_cbranch_execz .LBB4_5164
; %bb.5163:                             ;   in Loop: Header=BB4_5029 Depth=1
	flat_load_dword v20, v[22:23] offset:4 glc
	s_waitcnt vmcnt(0) lgkmcnt(0)
	v_ashrrev_i32_e32 v21, 31, v20
.LBB4_5164:                             ;   in Loop: Header=BB4_5029 Depth=1
	s_or_b64 exec, exec, s[42:43]
	s_orn2_b64 s[20:21], vcc, exec
.LBB4_5165:                             ;   in Loop: Header=BB4_5029 Depth=1
	s_or_b64 exec, exec, s[40:41]
	s_and_saveexec_b64 vcc, s[20:21]
; %bb.5166:                             ;   in Loop: Header=BB4_5029 Depth=1
	v_accvgpr_read_b32 v4, a16
	v_mad_i64_i32 v[20:21], s[20:21], v12, v4, 0
; %bb.5167:                             ;   in Loop: Header=BB4_5029 Depth=1
	s_or_b64 exec, exec, vcc
	v_accvgpr_read_b32 v4, a18
	v_accvgpr_read_b32 v5, a19
	v_add_co_u32_e32 v4, vcc, v4, v20
	v_addc_co_u32_e32 v5, vcc, v5, v21, vcc
	v_and_b32_e32 v3, 0x2000, v62
	v_cmp_ne_u32_e32 vcc, 0, v3
	ds_write_b64 v0, v[4:5] offset:784
	s_and_saveexec_b64 s[20:21], vcc
	s_cbranch_execz .LBB4_5169
; %bb.5168:                             ;   in Loop: Header=BB4_5029 Depth=1
	ds_read_b64 v[4:5], v0 offset:584
	s_waitcnt lgkmcnt(0)
	v_add_co_u32_e32 v4, vcc, 1, v4
	v_addc_co_u32_e32 v5, vcc, 0, v5, vcc
	ds_write_b64 v0, v[4:5] offset:584
.LBB4_5169:                             ;   in Loop: Header=BB4_5029 Depth=1
	s_or_b64 exec, exec, s[20:21]
	v_add_co_u32_e32 v54, vcc, 1, v54
	v_addc_co_u32_e32 v55, vcc, 0, v55, vcc
.LBB4_5170:                             ;   in Loop: Header=BB4_5029 Depth=1
	s_or_b64 exec, exec, s[36:37]
	s_mov_b64 s[20:21], exec
	v_accvgpr_read_b32 v6, a6
	s_and_b64 vcc, s[20:21], s[10:11]
	v_accvgpr_read_b32 v7, a7
	s_mov_b64 exec, vcc
	s_cbranch_execz .LBB4_5189
; %bb.5171:                             ;   in Loop: Header=BB4_5029 Depth=1
	s_and_saveexec_b64 vcc, s[30:31]
	s_xor_b64 s[36:37], exec, vcc
	s_cbranch_execz .LBB4_5186
; %bb.5172:                             ;   in Loop: Header=BB4_5029 Depth=1
	s_and_saveexec_b64 s[40:41], s[12:13]
	s_cbranch_execz .LBB4_5185
; %bb.5173:                             ;   in Loop: Header=BB4_5029 Depth=1
	s_mov_b64 s[44:45], exec
	v_mbcnt_lo_u32_b32 v3, s44, 0
	v_mbcnt_hi_u32_b32 v3, s45, v3
	v_cmp_eq_u32_e32 vcc, 0, v3
	s_waitcnt vmcnt(0) lgkmcnt(0)
	buffer_wbinvl1_vol
	s_and_saveexec_b64 s[42:43], vcc
	s_cbranch_execz .LBB4_5175
; %bb.5174:                             ;   in Loop: Header=BB4_5029 Depth=1
	s_bcnt1_i32_b64 vcc_lo, s[44:45]
	v_mov_b32_e32 v12, vcc_lo
	ds_add_u64 v0, v[12:13]
	s_trap 2
.LBB4_5175:                             ;   in Loop: Header=BB4_5029 Depth=1
	s_or_b64 exec, exec, s[42:43]
	s_trap 2
	ds_read_b64 v[4:5], v0
	v_add_co_u32_e32 v6, vcc, v6, v10
	v_addc_co_u32_e32 v7, vcc, 0, v7, vcc
	s_waitcnt lgkmcnt(0)
	v_cmp_lt_u64_e32 vcc, v[4:5], v[6:7]
	s_and_saveexec_b64 s[42:43], vcc
	s_cbranch_execz .LBB4_5184
; %bb.5176:                             ;   in Loop: Header=BB4_5029 Depth=1
	s_mov_b32 s54, 0
	s_mov_b64 s[44:45], 0
                                        ; implicit-def: $sgpr46_sgpr47
                                        ; implicit-def: $sgpr48_sgpr49
	s_branch .LBB4_5178
.LBB4_5177:                             ;   in Loop: Header=BB4_5178 Depth=2
	s_or_b64 exec, exec, s[52:53]
	s_and_b64 vcc, exec, vcc
	s_or_b64 s[44:45], vcc, s[44:45]
	s_andn2_b64 vcc, s[46:47], exec
	s_and_b64 s[46:47], s[48:49], exec
	s_or_b64 s[46:47], vcc, s[46:47]
	s_andn2_b64 exec, exec, s[44:45]
	s_cbranch_execz .LBB4_5182
.LBB4_5178:                             ;   Parent Loop BB4_5029 Depth=1
                                        ; =>  This Inner Loop Header: Depth=2
	s_add_i32 s54, s54, 1
	s_cmpk_lg_i32 s54, 0x2710
	s_cselect_b64 s[50:51], -1, 0
	s_and_b64 vcc, exec, s[50:51]
                                        ; implicit-def: $sgpr52_sgpr53
	s_cbranch_vccnz .LBB4_5180
; %bb.5179:                             ;   in Loop: Header=BB4_5178 Depth=2
	s_trap 2
	ds_read_b64 v[4:5], v0
	s_andn2_b64 s[50:51], s[50:51], exec
	s_mov_b32 s54, 0
	s_mov_b64 s[52:53], -1
	s_waitcnt lgkmcnt(0)
	flat_load_dword v3, v[4:5] glc
	s_waitcnt vmcnt(0) lgkmcnt(0)
	buffer_invl2
	buffer_wbinvl1_vol
	v_cmp_eq_u32_e32 vcc, 0, v3
	s_and_b64 vcc, vcc, exec
	s_or_b64 s[50:51], s[50:51], vcc
.LBB4_5180:                             ;   in Loop: Header=BB4_5178 Depth=2
	s_andn2_b64 s[48:49], s[48:49], exec
	s_and_b64 s[52:53], s[52:53], exec
	s_mov_b64 vcc, -1
	s_or_b64 s[48:49], s[48:49], s[52:53]
	s_and_saveexec_b64 s[52:53], s[50:51]
	s_cbranch_execz .LBB4_5177
; %bb.5181:                             ;   in Loop: Header=BB4_5178 Depth=2
	s_sleep 1
	s_trap 2
	ds_read_b64 v[4:5], v0
	s_andn2_b64 s[48:49], s[48:49], exec
	s_waitcnt lgkmcnt(0)
	v_cmp_ge_u64_e32 vcc, v[4:5], v[6:7]
	s_orn2_b64 vcc, vcc, exec
	s_branch .LBB4_5177
.LBB4_5182:                             ;   in Loop: Header=BB4_5029 Depth=1
	s_or_b64 exec, exec, s[44:45]
	s_and_saveexec_b64 vcc, s[46:47]
	s_xor_b64 vcc, exec, vcc
	s_cbranch_execz .LBB4_5184
; %bb.5183:                             ;   in Loop: Header=BB4_5029 Depth=1
	ds_write_b32 v0, v31
	s_trap 2
.LBB4_5184:                             ;   in Loop: Header=BB4_5029 Depth=1
	s_or_b64 exec, exec, s[42:43]
	;;#ASMSTART
	s_wakeup
	;;#ASMEND
.LBB4_5185:                             ;   in Loop: Header=BB4_5029 Depth=1
	s_or_b64 exec, exec, s[40:41]
.LBB4_5186:                             ;   in Loop: Header=BB4_5029 Depth=1
	s_andn2_saveexec_b64 vcc, s[36:37]
	s_cbranch_execz .LBB4_5188
; %bb.5187:                             ;   in Loop: Header=BB4_5029 Depth=1
	s_waitcnt vmcnt(0) lgkmcnt(0)
	buffer_wbinvl1_vol
	s_barrier
.LBB4_5188:                             ;   in Loop: Header=BB4_5029 Depth=1
	s_or_b64 exec, exec, vcc
.LBB4_5189:                             ;   in Loop: Header=BB4_5029 Depth=1
	s_or_b64 exec, exec, s[20:21]
	s_trap 2
	ds_read_b32 v3, v0
	v_cmp_lt_i32_e32 vcc, 0, v2
	v_and_b32_e32 v2, 16, v62
	s_waitcnt lgkmcnt(0)
	v_readfirstlane_b32 s20, v3
	s_cmp_eq_u32 s20, 0
	s_cselect_b64 s[20:21], -1, 0
	s_and_b64 s[20:21], vcc, s[20:21]
	v_cmp_ne_u32_e32 vcc, 0, v2
	s_and_b64 vcc, vcc, s[20:21]
	s_and_saveexec_b64 s[20:21], vcc
	s_cbranch_execz .LBB4_5191
; %bb.5190:                             ;   in Loop: Header=BB4_5029 Depth=1
	s_waitcnt vmcnt(0)
	buffer_wbinvl1_vol
.LBB4_5191:                             ;   in Loop: Header=BB4_5029 Depth=1
	s_or_b64 exec, exec, s[20:21]
	v_accvgpr_write_b32 a6, v6
	v_accvgpr_write_b32 a7, v7
	v_cmp_ne_u32_e32 vcc, 0, v2
	s_and_saveexec_b64 s[20:21], vcc
	s_cbranch_execz .LBB4_5027
; %bb.5192:                             ;   in Loop: Header=BB4_5029 Depth=1
	s_and_saveexec_b64 vcc, s[18:19]
	s_cbranch_execz .LBB4_5026
; %bb.5193:                             ;   in Loop: Header=BB4_5029 Depth=1
	flat_store_dword v[60:61], v31
	s_branch .LBB4_5026
.LBB4_5194:
	s_or_b64 exec, exec, s[26:27]
	v_accvgpr_read_b32 v17, a7
	v_accvgpr_read_b32 v16, a6
.LBB4_5195:
	s_or_b64 exec, exec, s[24:25]
.LBB4_5196:
	s_or_b64 exec, exec, s[22:23]
	v_and_b32_e32 v0, 0x800, v62
	v_cmp_eq_u32_e32 vcc, 0, v0
	s_and_saveexec_b64 s[4:5], vcc
	s_cbranch_execz .LBB4_5231
; %bb.5197:
	v_and_b32_e32 v0, 48, v62
	v_cmp_ne_u32_e32 vcc, 0, v0
	s_and_saveexec_b64 s[6:7], vcc
	s_cbranch_execz .LBB4_5199
; %bb.5198:
	s_waitcnt lgkmcnt(0)
	flat_store_dwordx2 v[44:45], v[54:55] offset:104
.LBB4_5199:
	s_or_b64 exec, exec, s[6:7]
	s_movk_i32 s6, 0x88
	v_and_b32_e32 v0, 0x88, v62
	v_cmp_eq_u32_e32 vcc, s6, v0
	s_and_saveexec_b64 s[6:7], vcc
	s_cbranch_execz .LBB4_5211
; %bb.5200:
	s_waitcnt lgkmcnt(0)
	v_add_u32_e32 v0, -1, v54
	v_and_b32_e32 v0, 7, v0
	v_mad_u64_u32 v[0:1], s[10:11], v0, 24, v[52:53]
	v_add_co_u32_e32 v2, vcc, 8, v0
	v_addc_co_u32_e32 v3, vcc, 0, v1, vcc
	s_mov_b64 s[10:11], 0
	v_mov_b32_e32 v0, 0
	s_movk_i32 s24, 0x270e
                                        ; implicit-def: $sgpr12_sgpr13
	s_branch .LBB4_5205
.LBB4_5201:                             ;   in Loop: Header=BB4_5205 Depth=1
	s_or_b64 exec, exec, s[22:23]
	v_mov_b32_e32 v1, 0
	s_orn2_b64 s[20:21], s[20:21], exec
.LBB4_5202:                             ;   in Loop: Header=BB4_5205 Depth=1
	s_or_b64 exec, exec, s[18:19]
	s_and_b64 s[18:19], s[20:21], exec
	v_mov_b32_e32 v0, v1
.LBB4_5203:                             ;   in Loop: Header=BB4_5205 Depth=1
	s_or_b64 exec, exec, s[16:17]
	s_xor_b64 s[16:17], s[18:19], -1
	s_andn2_b64 s[12:13], s[12:13], exec
	s_and_b64 s[16:17], s[16:17], exec
	s_or_b64 s[12:13], s[12:13], s[16:17]
.LBB4_5204:                             ;   in Loop: Header=BB4_5205 Depth=1
	s_or_b64 exec, exec, s[14:15]
	s_and_b64 s[14:15], exec, s[12:13]
	s_or_b64 s[10:11], s[14:15], s[10:11]
	s_andn2_b64 exec, exec, s[10:11]
	s_cbranch_execz .LBB4_5210
.LBB4_5205:                             ; =>This Inner Loop Header: Depth=1
	flat_load_dwordx2 v[4:5], v[2:3] glc
	s_waitcnt vmcnt(0)
	s_or_b64 s[12:13], s[12:13], exec
	s_waitcnt lgkmcnt(0)
	v_cmp_ne_u64_e32 vcc, -1, v[4:5]
	s_and_saveexec_b64 s[14:15], vcc
	s_cbranch_execz .LBB4_5204
; %bb.5206:                             ;   in Loop: Header=BB4_5205 Depth=1
	v_and_b32_e32 v1, 64, v62
	v_cmp_eq_u32_e32 vcc, 0, v1
	s_mov_b64 s[18:19], 0
	s_and_saveexec_b64 s[16:17], vcc
	s_cbranch_execz .LBB4_5203
; %bb.5207:                             ;   in Loop: Header=BB4_5205 Depth=1
	v_add_u32_e32 v1, 1, v0
	v_cmp_lt_i32_e32 vcc, s24, v0
	s_mov_b64 s[20:21], -1
	s_and_saveexec_b64 s[18:19], vcc
	s_cbranch_execz .LBB4_5202
; %bb.5208:                             ;   in Loop: Header=BB4_5205 Depth=1
	s_trap 2
	ds_read_b64 v[0:1], v0
	s_waitcnt lgkmcnt(0)
	flat_load_dword v0, v[0:1] glc
	s_waitcnt vmcnt(0) lgkmcnt(0)
	buffer_invl2
	buffer_wbinvl1_vol
	v_cmp_ne_u32_e32 vcc, 0, v0
	s_and_saveexec_b64 s[22:23], vcc
	s_cbranch_execz .LBB4_5201
; %bb.5209:                             ;   in Loop: Header=BB4_5205 Depth=1
	v_or_b32_e32 v62, 64, v62
	s_xor_b64 s[20:21], exec, -1
	ds_write_b32 v0, v0
	s_trap 2
	s_branch .LBB4_5201
.LBB4_5210:
	s_or_b64 exec, exec, s[10:11]
.LBB4_5211:
	s_or_b64 exec, exec, s[6:7]
	v_and_b32_e32 v0, 0x2000, v62
	v_cmp_ne_u32_e32 vcc, 0, v0
	s_and_saveexec_b64 s[6:7], vcc
	s_cbranch_execz .LBB4_5213
; %bb.5212:
	s_trap 2
	ds_read_b64 v[0:1], v0
	v_accvgpr_read_b32 v2, a8
	v_accvgpr_read_b32 v3, a9
	s_waitcnt lgkmcnt(0)
	flat_store_dwordx2 v[2:3], v[0:1] offset:16
.LBB4_5213:
	s_or_b64 exec, exec, s[6:7]
	v_cmp_ne_u32_e32 vcc, 64, v46
	s_and_b64 exec, exec, vcc
	s_cbranch_execz .LBB4_5231
; %bb.5214:
	v_cmp_ne_u32_sdwa s[6:7], v56, v46 src0_sel:WORD_0 src1_sel:DWORD
	s_and_saveexec_b64 s[10:11], s[6:7]
	s_xor_b64 s[6:7], exec, s[10:11]
	s_cbranch_execz .LBB4_5229
; %bb.5215:
	v_and_b32_e32 v0, 63, v47
	v_cmp_eq_u32_e32 vcc, 0, v0
	s_and_saveexec_b64 s[10:11], vcc
	s_cbranch_execz .LBB4_5228
; %bb.5216:
	s_mov_b64 s[14:15], exec
	v_mbcnt_lo_u32_b32 v0, s14, 0
	v_mbcnt_hi_u32_b32 v0, s15, v0
	v_cmp_eq_u32_e32 vcc, 0, v0
	s_waitcnt vmcnt(0) lgkmcnt(0)
	buffer_wbinvl1_vol
	s_and_saveexec_b64 s[12:13], vcc
	s_cbranch_execz .LBB4_5218
; %bb.5217:
	s_bcnt1_i32_b64 s14, s[14:15]
	v_mov_b32_e32 v0, s14
	v_mov_b32_e32 v1, 0
	ds_add_u64 v0, v[0:1]
	s_trap 2
.LBB4_5218:
	s_or_b64 exec, exec, s[12:13]
	v_ashrrev_i32_e32 v0, 31, v46
	v_lshrrev_b32_e32 v0, 26, v0
	v_add_u32_e32 v0, v46, v0
	v_ashrrev_i32_e32 v0, 6, v0
	s_trap 2
	ds_read_b64 v[2:3], v0
	v_ashrrev_i32_e32 v1, 31, v0
	v_add_co_u32_e32 v0, vcc, v16, v0
	v_addc_co_u32_e32 v1, vcc, v17, v1, vcc
	s_waitcnt lgkmcnt(0)
	v_cmp_lt_u64_e32 vcc, v[2:3], v[0:1]
	s_and_saveexec_b64 s[12:13], vcc
	s_cbranch_execz .LBB4_5227
; %bb.5219:
	s_mov_b32 s26, 0
	s_mov_b64 s[14:15], 0
                                        ; implicit-def: $sgpr16_sgpr17
                                        ; implicit-def: $sgpr18_sgpr19
	s_branch .LBB4_5221
.LBB4_5220:                             ;   in Loop: Header=BB4_5221 Depth=1
	s_or_b64 exec, exec, s[24:25]
	s_and_b64 s[20:21], exec, s[22:23]
	s_or_b64 s[14:15], s[20:21], s[14:15]
	s_andn2_b64 s[16:17], s[16:17], exec
	s_and_b64 s[20:21], s[18:19], exec
	s_or_b64 s[16:17], s[16:17], s[20:21]
	s_andn2_b64 exec, exec, s[14:15]
	s_cbranch_execz .LBB4_5225
.LBB4_5221:                             ; =>This Inner Loop Header: Depth=1
	s_add_i32 s26, s26, 1
	s_cmpk_lg_i32 s26, 0x2710
	s_cselect_b64 s[20:21], -1, 0
	s_and_b64 vcc, exec, s[20:21]
                                        ; implicit-def: $sgpr24_sgpr25
	s_cbranch_vccnz .LBB4_5223
; %bb.5222:                             ;   in Loop: Header=BB4_5221 Depth=1
	s_trap 2
	ds_read_b64 v[2:3], v0
	s_andn2_b64 s[20:21], s[20:21], exec
	s_mov_b32 s26, 0
	s_mov_b64 s[24:25], -1
	s_waitcnt lgkmcnt(0)
	flat_load_dword v2, v[2:3] glc
	s_waitcnt vmcnt(0) lgkmcnt(0)
	buffer_invl2
	buffer_wbinvl1_vol
	v_cmp_eq_u32_e32 vcc, 0, v2
	s_and_b64 s[22:23], vcc, exec
	s_or_b64 s[20:21], s[20:21], s[22:23]
.LBB4_5223:                             ;   in Loop: Header=BB4_5221 Depth=1
	s_andn2_b64 s[18:19], s[18:19], exec
	s_and_b64 s[24:25], s[24:25], exec
	s_mov_b64 s[22:23], -1
	s_or_b64 s[18:19], s[18:19], s[24:25]
	s_and_saveexec_b64 s[24:25], s[20:21]
	s_cbranch_execz .LBB4_5220
; %bb.5224:                             ;   in Loop: Header=BB4_5221 Depth=1
	s_sleep 1
	s_trap 2
	ds_read_b64 v[2:3], v0
	s_andn2_b64 s[18:19], s[18:19], exec
	s_waitcnt lgkmcnt(0)
	v_cmp_ge_u64_e32 vcc, v[2:3], v[0:1]
	s_orn2_b64 s[22:23], vcc, exec
	s_branch .LBB4_5220
.LBB4_5225:
	s_or_b64 exec, exec, s[14:15]
	s_and_saveexec_b64 s[14:15], s[16:17]
	s_xor_b64 s[14:15], exec, s[14:15]
	s_cbranch_execz .LBB4_5227
; %bb.5226:
	v_mov_b32_e32 v0, 1
	ds_write_b32 v0, v0
	s_trap 2
.LBB4_5227:
	s_or_b64 exec, exec, s[12:13]
	;;#ASMSTART
	s_wakeup
	;;#ASMEND
.LBB4_5228:
	s_or_b64 exec, exec, s[10:11]
.LBB4_5229:
	s_andn2_saveexec_b64 s[6:7], s[6:7]
	s_cbranch_execz .LBB4_5231
; %bb.5230:
	s_waitcnt vmcnt(0) lgkmcnt(0)
	buffer_wbinvl1_vol
	s_barrier
.LBB4_5231:
	s_or_b64 exec, exec, s[4:5]
.LBB4_5232:
	s_andn2_saveexec_b64 s[26:27], s[28:29]
	s_cbranch_execz .LBB4_5234
; %bb.5233:
	s_getpc_b64 s[4:5]
	s_add_u32 s4, s4, __PRETTY_FUNCTION__._ZN10PrimitivesI14__hip_fp8_e4m310FuncMinMaxIS0_E12FanSymmetricILi1EELi0E11ProtoSimpleILi1ELi1ELi0ELi2ELi0ELi0EELi0ELb0ELi0ELi0ELi0EEC2EiiPKiS9_PKvPvmhhhP15ncclDevWorkCollP14ncclDevWorkP2pii@rel32@lo+4
	s_addc_u32 s5, s5, __PRETTY_FUNCTION__._ZN10PrimitivesI14__hip_fp8_e4m310FuncMinMaxIS0_E12FanSymmetricILi1EELi0E11ProtoSimpleILi1ELi1ELi0ELi2ELi0ELi0EELi0ELb0ELi0ELi0ELi0EEC2EiiPKiS9_PKvPvmhhhP15ncclDevWorkCollP14ncclDevWorkP2pii@rel32@hi+12
	v_mov_b32_e32 v0, s4
	v_mov_b32_e32 v1, s5
	s_getpc_b64 s[6:7]
	s_add_u32 s6, s6, __assert_fail@rel32@lo+4
	s_addc_u32 s7, s7, __assert_fail@rel32@hi+12
	s_swappc_b64 s[30:31], s[6:7]
	; divergent unreachable
.LBB4_5234:
	s_or_b64 exec, exec, s[26:27]
	buffer_load_dword a42, off, s[0:3], s33 ; 4-byte Folded Reload
	buffer_load_dword a40, off, s[0:3], s33 offset:4 ; 4-byte Folded Reload
	buffer_load_dword a39, off, s[0:3], s33 offset:8 ; 4-byte Folded Reload
	buffer_load_dword a38, off, s[0:3], s33 offset:12 ; 4-byte Folded Reload
	buffer_load_dword a37, off, s[0:3], s33 offset:16 ; 4-byte Folded Reload
	buffer_load_dword a36, off, s[0:3], s33 offset:20 ; 4-byte Folded Reload
	buffer_load_dword a35, off, s[0:3], s33 offset:24 ; 4-byte Folded Reload
	buffer_load_dword a34, off, s[0:3], s33 offset:28 ; 4-byte Folded Reload
	buffer_load_dword a33, off, s[0:3], s33 offset:32 ; 4-byte Folded Reload
	buffer_load_dword a32, off, s[0:3], s33 offset:36 ; 4-byte Folded Reload
	buffer_load_dword v62, off, s[0:3], s33 offset:40 ; 4-byte Folded Reload
	s_waitcnt lgkmcnt(0)
	buffer_load_dword v61, off, s[0:3], s33 offset:44 ; 4-byte Folded Reload
	buffer_load_dword v60, off, s[0:3], s33 offset:48 ; 4-byte Folded Reload
	buffer_load_dword v59, off, s[0:3], s33 offset:52 ; 4-byte Folded Reload
	buffer_load_dword v58, off, s[0:3], s33 offset:56 ; 4-byte Folded Reload
	buffer_load_dword v57, off, s[0:3], s33 offset:60 ; 4-byte Folded Reload
	buffer_load_dword v56, off, s[0:3], s33 offset:64 ; 4-byte Folded Reload
	buffer_load_dword v47, off, s[0:3], s33 offset:68 ; 4-byte Folded Reload
	buffer_load_dword v46, off, s[0:3], s33 offset:72 ; 4-byte Folded Reload
	buffer_load_dword v45, off, s[0:3], s33 offset:76 ; 4-byte Folded Reload
	buffer_load_dword v44, off, s[0:3], s33 offset:80 ; 4-byte Folded Reload
	buffer_load_dword v43, off, s[0:3], s33 offset:84 ; 4-byte Folded Reload
	buffer_load_dword v42, off, s[0:3], s33 offset:88 ; 4-byte Folded Reload
	buffer_load_dword v41, off, s[0:3], s33 offset:92 ; 4-byte Folded Reload
	buffer_load_dword v40, off, s[0:3], s33 offset:96 ; 4-byte Folded Reload
	v_readlane_b32 s30, v63, 48
	v_readlane_b32 s31, v63, 49
	;; [unrolled: 1-line block ×51, first 2 shown]
	s_or_saveexec_b64 s[6:7], -1
	buffer_load_dword v63, off, s[0:3], s33 offset:100 ; 4-byte Folded Reload
	s_mov_b64 exec, s[6:7]
	s_addk_i32 s32, 0xe400
	s_mov_b32 s33, s4
	s_waitcnt vmcnt(0)
	s_setpc_b64 s[30:31]
.Lfunc_end4:
	.size	_ZN12_GLOBAL__N_17runRingI14__hip_fp8_e4m310FuncMinMaxIS1_E11ProtoSimpleILi1ELi1ELi0ELi2ELi0ELi0EELi0ELi2ELi0EEEviiP15ncclDevWorkColl, .Lfunc_end4-_ZN12_GLOBAL__N_17runRingI14__hip_fp8_e4m310FuncMinMaxIS1_E11ProtoSimpleILi1ELi1ELi0ELi2ELi0ELi0EELi0ELi2ELi0EEEviiP15ncclDevWorkColl
                                        ; -- End function
	.section	.AMDGPU.csdata,"",@progbits
; Function info:
; codeLenInByte = 147728
; NumSgprs: 88
; NumVgprs: 64
; NumAgprs: 43
; TotalNumVgprs: 107
; ScratchSize: 176
; MemoryBound: 1
	.text
	.p2align	2                               ; -- Begin function _Z50ncclDevFunc_Reduce_RING_SIMPLE_MinMax_f8e4m3_0_0_2v
	.type	_Z50ncclDevFunc_Reduce_RING_SIMPLE_MinMax_f8e4m3_0_0_2v,@function
_Z50ncclDevFunc_Reduce_RING_SIMPLE_MinMax_f8e4m3_0_0_2v: ; @_Z50ncclDevFunc_Reduce_RING_SIMPLE_MinMax_f8e4m3_0_0_2v
; %bb.0:
	s_waitcnt vmcnt(0) expcnt(0) lgkmcnt(0)
	s_mov_b32 s4, s33
	s_mov_b32 s33, s32
	s_or_saveexec_b64 s[6:7], -1
	buffer_store_dword v43, off, s[0:3], s33 offset:16 ; 4-byte Folded Spill
	s_mov_b64 exec, s[6:7]
	v_writelane_b32 v43, s4, 60
	s_addk_i32 s32, 0x800
	buffer_store_dword v40, off, s[0:3], s33 offset:12 ; 4-byte Folded Spill
	buffer_store_dword v41, off, s[0:3], s33 offset:8 ; 4-byte Folded Spill
	;; [unrolled: 1-line block ×3, first 2 shown]
	buffer_store_dword v63, off, s[0:3], s33 ; 4-byte Folded Spill
	v_writelane_b32 v43, s34, 0
	v_writelane_b32 v43, s35, 1
	v_writelane_b32 v43, s36, 2
	v_writelane_b32 v43, s37, 3
	v_writelane_b32 v43, s38, 4
	v_writelane_b32 v43, s39, 5
	v_writelane_b32 v43, s40, 6
	v_writelane_b32 v43, s41, 7
	v_writelane_b32 v43, s42, 8
	v_writelane_b32 v43, s43, 9
	v_writelane_b32 v43, s44, 10
	v_writelane_b32 v43, s45, 11
	v_writelane_b32 v43, s46, 12
	v_writelane_b32 v43, s47, 13
	v_writelane_b32 v43, s48, 14
	v_writelane_b32 v43, s49, 15
	v_writelane_b32 v43, s50, 16
	v_writelane_b32 v43, s51, 17
	v_writelane_b32 v43, s52, 18
	v_writelane_b32 v43, s53, 19
	v_writelane_b32 v43, s54, 20
	v_writelane_b32 v43, s55, 21
	v_writelane_b32 v43, s56, 22
	v_writelane_b32 v43, s57, 23
	v_writelane_b32 v43, s58, 24
	v_writelane_b32 v43, s59, 25
	v_writelane_b32 v43, s60, 26
	v_writelane_b32 v43, s61, 27
	v_writelane_b32 v43, s62, 28
	v_writelane_b32 v43, s63, 29
	v_writelane_b32 v43, s64, 30
	v_writelane_b32 v43, s65, 31
	v_writelane_b32 v43, s66, 32
	v_writelane_b32 v43, s67, 33
	v_writelane_b32 v43, s68, 34
	v_writelane_b32 v43, s69, 35
	v_writelane_b32 v43, s70, 36
	v_writelane_b32 v43, s71, 37
	v_writelane_b32 v43, s72, 38
	v_writelane_b32 v43, s73, 39
	v_writelane_b32 v43, s74, 40
	v_writelane_b32 v43, s75, 41
	v_writelane_b32 v43, s76, 42
	v_writelane_b32 v43, s77, 43
	v_writelane_b32 v43, s78, 44
	v_writelane_b32 v43, s79, 45
	v_writelane_b32 v43, s80, 46
	v_writelane_b32 v43, s81, 47
	v_writelane_b32 v43, s82, 48
	v_writelane_b32 v43, s83, 49
	v_writelane_b32 v43, s84, 50
	v_writelane_b32 v43, s85, 51
	v_writelane_b32 v43, s86, 52
	v_writelane_b32 v43, s87, 53
	v_writelane_b32 v43, s88, 54
	v_writelane_b32 v43, s89, 55
	v_writelane_b32 v43, s90, 56
	v_writelane_b32 v43, s91, 57
	v_writelane_b32 v43, s30, 58
	v_writelane_b32 v43, s31, 59
	s_trap 2
	ds_read_b32 v0, v0
	v_mov_b32_e32 v40, v31
	v_and_b32_e32 v41, 0x3ff, v40
	s_mov_b32 s86, s12
	s_mov_b64 s[84:85], s[8:9]
	s_waitcnt lgkmcnt(0)
	v_cmp_lt_i32_e32 vcc, v41, v0
	s_and_saveexec_b64 s[4:5], vcc
	s_cbranch_execz .LBB5_5
; %bb.1:
	s_load_dword s6, s[84:85], 0x0
	v_mov_b32_e32 v1, 0
	s_mov_b32 s10, 0
	v_mov_b32_e32 v4, v41
                                        ; implicit-def: $vgpr2
	s_waitcnt lgkmcnt(0)
	s_cmp_lt_u32 s86, s6
	s_cselect_b32 s6, 12, 18
	s_add_u32 s6, s84, s6
	s_addc_u32 s7, s85, 0
	global_load_ushort v1, v1, s[6:7]
	s_trap 2
	ds_read_b32 v3, v0
	s_mov_b64 s[6:7], 0
	s_waitcnt vmcnt(0) lgkmcnt(0)
	v_mul_lo_u32 v3, v3, v1
	s_branch .LBB5_3
.LBB5_2:                                ;   in Loop: Header=BB5_3 Depth=1
	s_or_b64 exec, exec, s[8:9]
	v_add_u32_e32 v4, v4, v1
	v_cmp_ge_i32_e32 vcc, v4, v0
	s_or_b64 s[6:7], vcc, s[6:7]
	v_add_u32_e32 v2, v2, v3
	s_andn2_b64 exec, exec, s[6:7]
	s_cbranch_execz .LBB5_5
.LBB5_3:                                ; =>This Inner Loop Header: Depth=1
	ds_read_b32 v5, v2
	s_waitcnt lgkmcnt(0)
	v_and_b32_e32 v5, 0x1000000, v5
	v_cmp_ne_u32_e32 vcc, 0, v5
	s_and_saveexec_b64 s[8:9], vcc
	s_cbranch_execz .LBB5_2
; %bb.4:                                ;   in Loop: Header=BB5_3 Depth=1
	ds_read_b64 v[6:7], v2 offset:104
	s_waitcnt lgkmcnt(0)
	flat_load_ubyte v5, v[6:7]
	v_mov_b32_e32 v7, s10
	s_waitcnt vmcnt(0) lgkmcnt(0)
	v_and_b32_e32 v6, 0xffff, v5
	ds_write_b64 v2, v[6:7] offset:104
	s_branch .LBB5_2
.LBB5_5:
	s_or_b64 exec, exec, s[4:5]
	s_waitcnt lgkmcnt(0)
	s_barrier
	s_trap 2
	ds_read_b32 v0, v0
	s_waitcnt lgkmcnt(0)
	v_cmp_gt_i32_e32 vcc, 1, v0
	s_cbranch_vccnz .LBB5_13
; %bb.6:
	s_mov_b32 s87, 0
	s_mov_b64 s[88:89], src_shared_base
	v_mov_b32_e32 v42, 6
	s_branch .LBB5_8
.LBB5_7:                                ;   in Loop: Header=BB5_8 Depth=1
	s_or_b64 exec, exec, s[90:91]
	s_trap 2
	ds_read_b32 v0, v0
	s_add_i32 s87, s87, 1
	s_waitcnt lgkmcnt(0)
	v_cmp_lt_i32_e32 vcc, s87, v0
	s_cbranch_vccz .LBB5_13
.LBB5_8:                                ; =>This Inner Loop Header: Depth=1
	s_trap 2
	ds_read_b32 v0, v0
	s_cmp_eq_u32 s87, 0
	s_cbranch_scc1 .LBB5_11
; %bb.9:                                ;   in Loop: Header=BB5_8 Depth=1
	s_trap 2
	s_waitcnt lgkmcnt(0)
	ds_read_b32 v1, v0
	s_waitcnt lgkmcnt(0)
	v_xor_b32_e32 v1, v1, v0
	v_and_b32_e32 v1, 0xff0000, v1
	v_cmp_eq_u32_e32 vcc, 0, v1
	s_cbranch_vccnz .LBB5_11
; %bb.10:                               ;   in Loop: Header=BB5_8 Depth=1
	s_barrier
	ds_read_b32 v0, v0
.LBB5_11:                               ;   in Loop: Header=BB5_8 Depth=1
	s_waitcnt lgkmcnt(0)
	v_lshlrev_b32_sdwa v1, v42, v0 dst_sel:DWORD dst_unused:UNUSED_PAD src0_sel:DWORD src1_sel:BYTE_2
	v_cmp_lt_u32_e32 vcc, v41, v1
	s_and_saveexec_b64 s[90:91], vcc
	s_cbranch_execz .LBB5_7
; %bb.12:                               ;   in Loop: Header=BB5_8 Depth=1
	s_mov_b64 s[8:9], s[84:85]
	s_mov_b32 s12, s86
	v_mov_b32_e32 v31, v40
	v_mov_b32_e32 v0, v41
	;; [unrolled: 1-line block ×3, first 2 shown]
	s_getpc_b64 s[4:5]
	s_add_u32 s4, s4, _ZN12_GLOBAL__N_17runRingI14__hip_fp8_e4m310FuncMinMaxIS1_E11ProtoSimpleILi1ELi1ELi0ELi2ELi0ELi0EELi0ELi2ELi0EEEviiP15ncclDevWorkColl@rel32@lo+4
	s_addc_u32 s5, s5, _ZN12_GLOBAL__N_17runRingI14__hip_fp8_e4m310FuncMinMaxIS1_E11ProtoSimpleILi1ELi1ELi0ELi2ELi0ELi0EELi0ELi2ELi0EEEviiP15ncclDevWorkColl@rel32@hi+12
	s_swappc_b64 s[30:31], s[4:5]
	s_branch .LBB5_7
.LBB5_13:
	buffer_load_dword v63, off, s[0:3], s33 ; 4-byte Folded Reload
	buffer_load_dword v42, off, s[0:3], s33 offset:4 ; 4-byte Folded Reload
	buffer_load_dword v41, off, s[0:3], s33 offset:8 ; 4-byte Folded Reload
	;; [unrolled: 1-line block ×3, first 2 shown]
	v_readlane_b32 s30, v43, 58
	v_readlane_b32 s31, v43, 59
	;; [unrolled: 1-line block ×61, first 2 shown]
	s_or_saveexec_b64 s[6:7], -1
	buffer_load_dword v43, off, s[0:3], s33 offset:16 ; 4-byte Folded Reload
	s_mov_b64 exec, s[6:7]
	s_addk_i32 s32, 0xf800
	s_mov_b32 s33, s4
	s_waitcnt vmcnt(0)
	s_setpc_b64 s[30:31]
.Lfunc_end5:
	.size	_Z50ncclDevFunc_Reduce_RING_SIMPLE_MinMax_f8e4m3_0_0_2v, .Lfunc_end5-_Z50ncclDevFunc_Reduce_RING_SIMPLE_MinMax_f8e4m3_0_0_2v
                                        ; -- End function
	.section	.AMDGPU.csdata,"",@progbits
; Function info:
; codeLenInByte = 1568
; NumSgprs: 96
; NumVgprs: 64
; NumAgprs: 43
; TotalNumVgprs: 107
; ScratchSize: 208
; MemoryBound: 0
	.text
	.p2align	2                               ; -- Begin function _ZN12_GLOBAL__N_17runRingI14__hip_fp8_e4m310FuncMinMaxIS1_E11ProtoSimpleILi1ELi1ELi0ELi4ELi0ELi0EELi0ELi4ELi0EEEviiP15ncclDevWorkColl
	.type	_ZN12_GLOBAL__N_17runRingI14__hip_fp8_e4m310FuncMinMaxIS1_E11ProtoSimpleILi1ELi1ELi0ELi4ELi0ELi0EELi0ELi4ELi0EEEviiP15ncclDevWorkColl,@function
_ZN12_GLOBAL__N_17runRingI14__hip_fp8_e4m310FuncMinMaxIS1_E11ProtoSimpleILi1ELi1ELi0ELi4ELi0ELi0EELi0ELi4ELi0EEEviiP15ncclDevWorkColl: ; @_ZN12_GLOBAL__N_17runRingI14__hip_fp8_e4m310FuncMinMaxIS1_E11ProtoSimpleILi1ELi1ELi0ELi4ELi0ELi0EELi0ELi4ELi0EEEviiP15ncclDevWorkColl
; %bb.0:
	s_waitcnt vmcnt(0) expcnt(0) lgkmcnt(0)
	s_mov_b32 s4, s33
	s_mov_b32 s33, s32
	s_or_saveexec_b64 s[6:7], -1
	buffer_store_dword v63, off, s[0:3], s33 offset:96 ; 4-byte Folded Spill
	s_mov_b64 exec, s[6:7]
	v_writelane_b32 v63, s4, 50
	s_addk_i32 s32, 0x1c00
	buffer_store_dword v40, off, s[0:3], s33 offset:92 ; 4-byte Folded Spill
	buffer_store_dword v41, off, s[0:3], s33 offset:88 ; 4-byte Folded Spill
	buffer_store_dword v42, off, s[0:3], s33 offset:84 ; 4-byte Folded Spill
	buffer_store_dword v43, off, s[0:3], s33 offset:80 ; 4-byte Folded Spill
	buffer_store_dword v44, off, s[0:3], s33 offset:76 ; 4-byte Folded Spill
	buffer_store_dword v45, off, s[0:3], s33 offset:72 ; 4-byte Folded Spill
	buffer_store_dword v46, off, s[0:3], s33 offset:68 ; 4-byte Folded Spill
	buffer_store_dword v47, off, s[0:3], s33 offset:64 ; 4-byte Folded Spill
	buffer_store_dword v56, off, s[0:3], s33 offset:60 ; 4-byte Folded Spill
	buffer_store_dword v57, off, s[0:3], s33 offset:56 ; 4-byte Folded Spill
	buffer_store_dword v58, off, s[0:3], s33 offset:52 ; 4-byte Folded Spill
	buffer_store_dword v59, off, s[0:3], s33 offset:48 ; 4-byte Folded Spill
	buffer_store_dword v60, off, s[0:3], s33 offset:44 ; 4-byte Folded Spill
	buffer_store_dword v61, off, s[0:3], s33 offset:40 ; 4-byte Folded Spill
	buffer_store_dword v62, off, s[0:3], s33 offset:36 ; 4-byte Folded Spill
	buffer_store_dword a32, off, s[0:3], s33 offset:32 ; 4-byte Folded Spill
	buffer_store_dword a33, off, s[0:3], s33 offset:28 ; 4-byte Folded Spill
	buffer_store_dword a34, off, s[0:3], s33 offset:24 ; 4-byte Folded Spill
	buffer_store_dword a35, off, s[0:3], s33 offset:20 ; 4-byte Folded Spill
	buffer_store_dword a36, off, s[0:3], s33 offset:16 ; 4-byte Folded Spill
	buffer_store_dword a37, off, s[0:3], s33 offset:12 ; 4-byte Folded Spill
	buffer_store_dword a38, off, s[0:3], s33 offset:8 ; 4-byte Folded Spill
	buffer_store_dword a39, off, s[0:3], s33 offset:4 ; 4-byte Folded Spill
	buffer_store_dword a40, off, s[0:3], s33 ; 4-byte Folded Spill
	v_writelane_b32 v63, s34, 0
	v_writelane_b32 v63, s35, 1
	;; [unrolled: 1-line block ×50, first 2 shown]
	s_trap 2
	ds_read_b64 v[14:15], v0
	ds_read_b32 v4, v0
	v_mov_b32_e32 v46, v1
	v_mov_b32_e32 v58, v0
	flat_load_ushort v17, v[2:3] offset:8
	flat_load_dwordx2 v[8:9], v[2:3]
	s_waitcnt lgkmcnt(0)
	v_ashrrev_i32_e32 v1, 31, v15
	v_mov_b32_e32 v0, v15
	v_lshlrev_b64 v[0:1], 2, v[0:1]
	v_add_co_u32_e32 v0, vcc, v14, v0
	v_addc_co_u32_e32 v1, vcc, v15, v1, vcc
	v_add_co_u32_e32 v0, vcc, -4, v0
	v_addc_co_u32_e32 v1, vcc, -1, v1, vcc
	flat_load_dword v0, v[0:1]
                                        ; implicit-def: $vgpr18_vgpr19
                                        ; implicit-def: $vgpr32_vgpr33
                                        ; implicit-def: $vgpr60_vgpr61
	s_waitcnt vmcnt(0)
	v_mov_b32_e32 v16, v9
	v_cmp_ne_u32_sdwa s[4:5], v8, v4 src0_sel:BYTE_0 src1_sel:DWORD
	s_and_saveexec_b64 s[6:7], s[4:5]
	s_xor_b64 s[4:5], exec, s[6:7]
	s_cbranch_execz .LBB6_6
; %bb.1:
	v_not_b32_sdwa v1, v8 dst_sel:DWORD dst_unused:UNUSED_PAD src0_sel:BYTE_0
	v_cmp_ne_u32_sdwa s[6:7], v8, v4 src0_sel:BYTE_1 src1_sel:DWORD
                                        ; implicit-def: $vgpr18_vgpr19
                                        ; implicit-def: $vgpr32_vgpr33
                                        ; implicit-def: $vgpr60_vgpr61
	s_and_saveexec_b64 s[10:11], s[6:7]
	s_xor_b64 s[6:7], exec, s[10:11]
	s_cbranch_execz .LBB6_3
; %bb.2:
	flat_load_dwordx4 v[6:9], v[2:3] offset:72
	flat_load_dwordx2 v[10:11], v[2:3] offset:96
	v_add_u32_e32 v1, v4, v1
	v_ashrrev_i32_e32 v4, 31, v1
	s_waitcnt vmcnt(0) lgkmcnt(0)
	v_mul_lo_u32 v4, v8, v4
	v_mad_u64_u32 v[60:61], s[10:11], v8, v1, v[6:7]
	v_mul_lo_u32 v1, v9, v1
	v_lshrrev_b64 v[18:19], 12, v[10:11]
	v_add3_u32 v61, v1, v61, v4
	v_pk_mov_b32 v[32:33], v[8:9], v[8:9] op_sel:[0,1]
                                        ; implicit-def: $vgpr8
                                        ; implicit-def: $vgpr1
.LBB6_3:
	s_andn2_saveexec_b64 s[6:7], s[6:7]
	s_cbranch_execz .LBB6_5
; %bb.4:
	flat_load_dwordx4 v[4:7], v[2:3] offset:72
	flat_load_dwordx4 v[32:35], v[2:3] offset:88
	v_add_u32_sdwa v1, v8, v1 dst_sel:DWORD dst_unused:UNUSED_PAD src0_sel:BYTE_1 src1_sel:DWORD
	v_ashrrev_i32_e32 v8, 31, v1
	s_waitcnt vmcnt(0) lgkmcnt(0)
	v_mul_lo_u32 v8, v6, v8
	v_mad_u64_u32 v[60:61], s[10:11], v6, v1, v[4:5]
	v_mul_lo_u32 v1, v7, v1
	v_add3_u32 v61, v1, v61, v8
	v_lshrrev_b32_e32 v18, 1, v35
.LBB6_5:
	s_or_b64 exec, exec, s[6:7]
.LBB6_6:
	s_andn2_saveexec_b64 s[4:5], s[4:5]
	s_cbranch_execz .LBB6_8
; %bb.7:
	flat_load_dwordx2 v[4:5], v[2:3] offset:96
	flat_load_dwordx2 v[32:33], v[2:3] offset:72
	v_pk_mov_b32 v[60:61], 0, 0
	s_waitcnt vmcnt(0) lgkmcnt(0)
	v_lshlrev_b64 v[18:19], 9, v[4:5]
.LBB6_8:
	s_or_b64 exec, exec, s[4:5]
	s_trap 2
	s_waitcnt lgkmcnt(0)
	ds_read_b64 v[4:5], v0
	s_waitcnt lgkmcnt(0)
	v_cmp_ne_u32_e32 vcc, -1, v4
	v_cndmask_b32_e64 v1, 0, 1, vcc
	v_cmp_ne_u32_e32 vcc, -1, v5
	v_addc_co_u32_e64 v4, s[4:5], 0, v1, vcc
	v_lshlrev_b32_e32 v5, 1, v4
	v_cmp_le_i32_e64 s[4:5], v5, v46
	s_and_saveexec_b64 s[6:7], s[4:5]
	s_xor_b64 s[28:29], exec, s[6:7]
	s_cbranch_execnz .LBB6_9
; %bb.5939:
	s_getpc_b64 s[82:83]
.Lpost_getpc3:
	s_add_u32 s82, s82, (.LBB6_5936-.Lpost_getpc3)&4294967295
	s_addc_u32 s83, s83, (.LBB6_5936-.Lpost_getpc3)>>32
	s_setpc_b64 s[82:83]
.LBB6_9:
	flat_load_dwordx4 v[10:13], v[2:3] offset:16
	flat_load_dwordx2 v[20:21], v[2:3] offset:104
	s_trap 2
	s_load_dword s4, s[8:9], 0x0
	v_mov_b32_e32 v2, 0
	v_mov_b32_e32 v59, 4
	s_waitcnt lgkmcnt(0)
	s_cmp_lt_u32 s12, s4
	s_cselect_b32 s4, 12, 18
	s_add_u32 s4, s8, s4
	s_addc_u32 s5, s9, 0
	global_load_ushort a2, v2, s[4:5]
	ds_read_b32 v2, v0
	v_cmp_ge_i32_e64 s[4:5], v58, v1
	s_waitcnt lgkmcnt(0)
	v_readfirstlane_b32 s70, v2
	s_and_saveexec_b64 s[6:7], s[4:5]
	s_cbranch_execz .LBB6_19
; %bb.10:
	v_cmp_le_u32_e64 s[4:5], v4, v58
                                        ; implicit-def: $vgpr59
	s_and_saveexec_b64 s[10:11], s[4:5]
	s_xor_b64 s[4:5], exec, s[10:11]
	s_cbranch_execz .LBB6_16
; %bb.11:
	v_cndmask_b32_e64 v2, 0, 1, vcc
	v_sub_u32_e32 v2, v46, v2
	v_cmp_ge_u32_e32 vcc, v58, v2
                                        ; implicit-def: $sgpr12
	s_and_saveexec_b64 s[10:11], vcc
	s_xor_b64 s[10:11], exec, s[10:11]
; %bb.12:
	s_mov_b32 s12, 16
                                        ; implicit-def: $vgpr4
; %bb.13:
	s_or_saveexec_b64 s[10:11], s[10:11]
	v_mov_b32_e32 v59, s12
	s_xor_b64 exec, exec, s[10:11]
; %bb.14:
	v_sub_u32_e32 v2, v46, v4
	v_cmp_ge_i32_e32 vcc, v58, v2
	v_cndmask_b32_e64 v2, 0, 1, vcc
	v_lshlrev_b32_e32 v59, 5, v2
; %bb.15:
	s_or_b64 exec, exec, s[10:11]
.LBB6_16:
	s_andn2_saveexec_b64 s[4:5], s[4:5]
; %bb.17:
	v_mov_b32_e32 v59, 8
; %bb.18:
	s_or_b64 exec, exec, s[4:5]
.LBB6_19:
	s_or_b64 exec, exec, s[6:7]
	v_and_b32_e32 v2, 36, v59
	v_cmp_ne_u32_e32 vcc, 0, v2
	v_mov_b32_e32 v2, -1
	s_and_saveexec_b64 s[4:5], vcc
	s_cbranch_execz .LBB6_21
; %bb.20:
	s_trap 2
	ds_read_b32 v2, v0
.LBB6_21:
	s_or_b64 exec, exec, s[4:5]
	v_and_b32_e32 v3, 24, v59
	v_cmp_ne_u32_e64 s[4:5], 0, v3
	s_and_saveexec_b64 s[6:7], s[4:5]
	s_cbranch_execz .LBB6_23
; %bb.22:
	s_trap 2
	s_waitcnt lgkmcnt(0)
	ds_read_b32 v2, v0
.LBB6_23:
	s_or_b64 exec, exec, s[6:7]
	v_pk_mov_b32 v[6:7], 0, 0
	v_lshrrev_b64 v[4:5], 31, v[16:17]
	v_accvgpr_write_b32 a13, v7
	v_and_b32_e32 v4, 3, v4
	s_waitcnt lgkmcnt(0)
	v_ashrrev_i32_e32 v3, 31, v2
	v_accvgpr_write_b32 a12, v6
	v_pk_mov_b32 v[38:39], v[6:7], v[6:7] op_sel:[0,1]
                                        ; implicit-def: $agpr10_agpr11
                                        ; implicit-def: $agpr20
                                        ; implicit-def: $vgpr36_vgpr37
                                        ; implicit-def: $agpr22_agpr23
                                        ; implicit-def: $agpr18_agpr19
	s_and_saveexec_b64 s[4:5], vcc
	s_cbranch_execz .LBB6_33
; %bb.24:
	s_trap 2
	ds_read_b64 v[6:7], v0
	v_lshlrev_b64 v[8:9], 3, v[2:3]
	v_and_b32_e32 v5, 0xffff, v4
	s_movk_i32 s6, 0xa8
                                        ; implicit-def: $agpr10_agpr11
	s_waitcnt lgkmcnt(0)
	v_add_co_u32_e32 v6, vcc, v6, v8
	v_addc_co_u32_e32 v7, vcc, v7, v9, vcc
	flat_load_dwordx2 v[6:7], v[6:7]
	s_waitcnt vmcnt(0) lgkmcnt(0)
	v_mad_u64_u32 v[6:7], s[6:7], v5, s6, v[6:7]
	flat_load_dword v5, v[6:7] offset:640
	v_add_co_u32_e32 v22, vcc, 0x1f8, v6
	v_addc_co_u32_e32 v23, vcc, 0, v7, vcc
	s_waitcnt vmcnt(0) lgkmcnt(0)
	v_cmp_eq_u32_e32 vcc, 1, v5
	s_and_saveexec_b64 s[6:7], vcc
	s_cbranch_execz .LBB6_26
; %bb.25:
	flat_load_dwordx2 v[8:9], v[22:23] offset:144
	v_or_b32_e32 v59, 0x2000, v59
	s_waitcnt vmcnt(0) lgkmcnt(0)
	flat_load_dwordx2 v[6:7], v[8:9]
	s_trap 2
	v_accvgpr_write_b32 a11, v9
	v_accvgpr_write_b32 a10, v8
	s_waitcnt vmcnt(0) lgkmcnt(0)
	ds_write_b64 v0, v[6:7]
	flat_load_dwordx2 v[6:7], v[8:9] offset:8
	s_waitcnt vmcnt(0) lgkmcnt(0)
	ds_write_b64 v0, v[6:7]
	flat_load_dwordx2 v[6:7], v[8:9] offset:16
	s_waitcnt vmcnt(0) lgkmcnt(0)
	ds_write_b64 v0, v[6:7]
.LBB6_26:
	s_or_b64 exec, exec, s[6:7]
	flat_load_dwordx2 v[40:41], v[22:23] offset:104
	v_accvgpr_write_b32 a12, v22
	v_and_b32_e32 v5, 32, v59
	v_accvgpr_write_b32 a13, v23
	v_cmp_ne_u32_e32 vcc, 0, v5
                                        ; implicit-def: $agpr18_agpr19
	s_and_saveexec_b64 s[6:7], vcc
	s_cbranch_execz .LBB6_28
; %bb.27:
	v_accvgpr_read_b32 v6, a12
	v_accvgpr_read_b32 v7, a13
	flat_load_dwordx2 v[6:7], v[6:7] offset:56
	s_waitcnt vmcnt(0) lgkmcnt(0)
	v_accvgpr_write_b32 a19, v7
	v_accvgpr_write_b32 a18, v6
	flat_store_dwordx2 v[6:7], v[40:41]
.LBB6_28:
	s_or_b64 exec, exec, s[6:7]
	v_and_b32_e32 v5, 4, v59
	v_cmp_ne_u32_e32 vcc, 0, v5
	v_pk_mov_b32 v[38:39], 0, 0
                                        ; implicit-def: $agpr20
                                        ; implicit-def: $vgpr36_vgpr37
                                        ; implicit-def: $agpr22_agpr23
	s_and_saveexec_b64 s[6:7], vcc
	s_cbranch_execz .LBB6_32
; %bb.29:
	v_and_b32_e32 v5, 0x800, v59
	v_cmp_eq_u32_e32 vcc, 0, v5
	s_and_saveexec_b64 s[10:11], vcc
	s_cbranch_execz .LBB6_31
; %bb.30:
	s_trap 2
	ds_write_b64 v0, a[12:13]
.LBB6_31:
	s_or_b64 exec, exec, s[10:11]
	v_accvgpr_read_b32 v6, a12
	v_accvgpr_read_b32 v7, a13
	flat_load_dwordx2 v[8:9], v[6:7] offset:48
	v_or_b32_e32 v5, 0x100, v59
	s_waitcnt vmcnt(0) lgkmcnt(0)
	flat_load_dwordx2 v[36:37], v[8:9] glc
	flat_load_dwordx2 v[38:39], v[6:7] offset:96
	flat_load_dword a20, v[6:7] offset:72
	flat_load_dwordx2 a[22:23], v[6:7] offset:16
	v_accvgpr_write_b32 a19, v9
	v_accvgpr_write_b32 a18, v8
	s_waitcnt vmcnt(0) lgkmcnt(0)
	v_cmp_eq_u64_e32 vcc, 0, v[38:39]
	v_cndmask_b32_e32 v59, v5, v59, vcc
.LBB6_32:
	s_or_b64 exec, exec, s[6:7]
.LBB6_33:
	s_or_b64 exec, exec, s[4:5]
	v_and_b32_e32 v5, 24, v59
	v_cmp_ne_u32_e32 vcc, 0, v5
                                        ; implicit-def: $agpr28_agpr29
	s_and_saveexec_b64 s[4:5], vcc
	s_cbranch_execz .LBB6_41
; %bb.34:
	s_trap 2
	ds_read_b64 v[6:7], v0
	v_lshlrev_b64 v[2:3], 3, v[2:3]
	v_and_b32_e32 v4, 0xffff, v4
	s_movk_i32 s6, 0xa8
                                        ; implicit-def: $agpr28_agpr29
	s_waitcnt lgkmcnt(0)
	v_add_co_u32_e32 v2, vcc, v6, v2
	v_addc_co_u32_e32 v3, vcc, v7, v3, vcc
	flat_load_dwordx2 v[2:3], v[2:3]
	s_waitcnt vmcnt(0) lgkmcnt(0)
	v_mad_u64_u32 v[2:3], s[6:7], v4, s6, v[2:3]
	flat_load_dwordx4 v[38:41], v[2:3] offset:96
	v_accvgpr_write_b32 a13, v3
	v_accvgpr_write_b32 a12, v2
	v_or_b32_e32 v2, 0x100, v59
	s_waitcnt vmcnt(0) lgkmcnt(0)
	v_cmp_eq_u64_e32 vcc, 0, v[38:39]
	v_cndmask_b32_e32 v59, v2, v59, vcc
	v_and_b32_e32 v2, 16, v59
	v_cmp_ne_u32_e32 vcc, 0, v2
	s_and_saveexec_b64 s[6:7], vcc
	s_cbranch_execz .LBB6_36
; %bb.35:
	v_accvgpr_read_b32 v2, a12
	v_accvgpr_read_b32 v3, a13
	flat_load_dwordx2 a[28:29], v[2:3] offset:120
	flat_load_dwordx2 a[18:19], v[2:3] offset:48
	;; [unrolled: 1-line block ×3, first 2 shown]
.LBB6_36:
	s_or_b64 exec, exec, s[6:7]
	v_and_b32_e32 v2, 8, v59
	v_cmp_ne_u32_e32 vcc, 0, v2
	s_and_saveexec_b64 s[6:7], vcc
	s_cbranch_execz .LBB6_40
; %bb.37:
	v_and_b32_e32 v2, 0x800, v59
	v_cmp_eq_u32_e32 vcc, 0, v2
	s_and_saveexec_b64 s[10:11], vcc
	s_cbranch_execz .LBB6_39
; %bb.38:
	s_trap 2
	ds_write_b64 v0, a[12:13]
.LBB6_39:
	s_or_b64 exec, exec, s[10:11]
	v_accvgpr_read_b32 v2, a12
	v_accvgpr_read_b32 v3, a13
	flat_load_dwordx2 v[4:5], v[2:3] offset:56
	s_waitcnt vmcnt(0) lgkmcnt(0)
	flat_load_dwordx2 v[36:37], v[4:5] glc
	flat_load_dword a20, v[2:3] offset:72
	flat_load_dwordx2 a[22:23], v[2:3] offset:16
	v_accvgpr_write_b32 a19, v5
	v_accvgpr_write_b32 a18, v4
.LBB6_40:
	s_or_b64 exec, exec, s[6:7]
.LBB6_41:
	s_or_b64 exec, exec, s[4:5]
	v_cmp_eq_u32_e64 s[4:5], 0, v58
	s_and_saveexec_b64 s[6:7], s[4:5]
	s_cbranch_execz .LBB6_43
; %bb.42:
	s_waitcnt vmcnt(0)
	v_mov_b32_e32 v2, v12
	v_mov_b32_e32 v3, v13
	;; [unrolled: 1-line block ×4, first 2 shown]
	ds_write2_b64 v0, v[2:3], v[4:5] offset1:1
	v_mov_b32_e32 v2, 0
	v_mov_b32_e32 v3, v2
	s_trap 2
	ds_write_b64 v0, v[2:3]
	ds_write_b64 v0, v[20:21]
.LBB6_43:
	s_or_b64 exec, exec, s[6:7]
	v_mov_b32_e32 v3, 0
	v_and_b32_e32 v2, 0x3ffffe00, v18
	v_accvgpr_write_b32 a27, v3
	v_accvgpr_write_b32 a26, v2
	v_bfe_u32 v2, v16, 1, 30
	v_cmp_ne_u32_e32 vcc, v0, v2
                                        ; implicit-def: $agpr24_agpr25
	s_and_saveexec_b64 s[6:7], vcc
	s_xor_b64 s[30:31], exec, s[6:7]
	s_cbranch_execnz .LBB6_44
; %bb.5941:
	s_getpc_b64 s[82:83]
.Lpost_getpc4:
	s_add_u32 s82, s82, (.LBB6_5727-.Lpost_getpc4)&4294967295
	s_addc_u32 s83, s83, (.LBB6_5727-.Lpost_getpc4)>>32
	s_setpc_b64 s[82:83]
.LBB6_44:
	v_cmp_ne_u32_e32 vcc, v14, v2
	v_cmp_ne_u64_e64 s[6:7], 0, v[32:33]
                                        ; implicit-def: $agpr24_agpr25
	s_and_saveexec_b64 s[10:11], vcc
	s_xor_b64 s[34:35], exec, s[10:11]
	s_cbranch_execz .LBB6_2889
; %bb.45:
	v_pk_mov_b32 v[2:3], 0, 0
	v_accvgpr_write_b32 a25, v3
	v_accvgpr_write_b32 a24, v2
	s_and_saveexec_b64 s[36:37], s[6:7]
	s_cbranch_execz .LBB6_2888
; %bb.46:
	s_waitcnt vmcnt(0) lgkmcnt(0)
	v_accvgpr_read_b32 v0, a20
	v_ashrrev_i32_e32 v3, 31, v0
	v_accvgpr_read_b32 v0, a2
	v_cmp_ne_u32_sdwa s[38:39], v0, v46 src0_sel:WORD_0 src1_sel:DWORD
	v_and_b32_e32 v0, 63, v31
	v_cmp_eq_u32_e64 s[14:15], 0, v0
	v_ashrrev_i32_e32 v0, 31, v58
	v_lshrrev_b32_e32 v0, 26, v0
	v_accvgpr_write_b32 a14, v38
	v_add_u32_e32 v0, v58, v0
	v_accvgpr_write_b32 a15, v39
	v_accvgpr_write_b32 a16, v40
	;; [unrolled: 1-line block ×3, first 2 shown]
	v_and_b32_e32 v2, 0xffffffc0, v0
	v_ashrrev_i32_e32 v40, 6, v0
	v_sub_u32_e32 v62, v58, v2
	v_lshlrev_b32_e32 v0, 11, v40
	v_lshl_add_u32 v0, v62, 4, v0
	v_lshrrev_b32_e32 v4, 6, v46
	v_cmp_le_i32_e64 s[16:17], v62, v1
	v_cmp_lt_i32_e64 s[18:19], v62, v1
	v_accvgpr_write_b32 a30, v0
	v_ashrrev_i32_e32 v1, 31, v0
	v_mov_b32_e32 v0, 0xfffff800
	v_lshl_add_u32 v0, v4, 11, v0
	s_movk_i32 s20, 0x800
	v_accvgpr_write_b32 a31, v1
	v_ashrrev_i32_e32 v1, 31, v0
	v_add_co_u32_e64 v0, s[20:21], s20, v0
	v_accvgpr_write_b32 a32, v0
	v_addc_co_u32_e64 v0, s[20:21], 0, v1, s[20:21]
	v_lshlrev_b32_e32 v41, 10, v4
	v_accvgpr_write_b32 a33, v0
	v_add_u32_e32 v0, 0xfffffc00, v41
	s_movk_i32 s20, 0x400
	v_ashrrev_i32_e32 v1, 31, v0
	v_add_co_u32_e64 v50, s[20:21], s20, v0
	v_and_b32_e32 v0, 0xffffffc0, v46
	s_ashr_i32 s10, s70, 31
	v_addc_co_u32_e64 v51, s[20:21], 0, v1, s[20:21]
	v_ashrrev_i32_e32 v1, 31, v0
	s_lshr_b32 s10, s10, 24
	v_accvgpr_write_b32 a36, v0
	v_accvgpr_write_b32 a35, v1
	v_accvgpr_read_b32 v0, a28
	v_pk_mov_b32 v[44:45], 0, 0
	s_add_i32 s10, s70, s10
	v_accvgpr_write_b32 a9, v3
	v_cmp_eq_u32_e32 vcc, 64, v46
	v_accvgpr_read_b32 v1, a29
	s_mov_b32 s48, -1
	v_accvgpr_write_b32 a24, v44
	v_accvgpr_write_b32 a6, v60
	v_accvgpr_read_b32 v2, a26
	s_ashr_i32 s71, s10, 8
	v_cmp_ge_i32_e64 s[10:11], v58, v46
	v_cmp_ne_u32_e64 s[12:13], 64, v46
	v_mov_b32_e32 v55, 0
	s_movk_i32 s72, 0xffc0
	v_accvgpr_write_b32 a8, v4
	s_mov_b64 s[40:41], 0
	v_cmp_eq_u64_e64 s[20:21], 0, v[0:1]
	s_movk_i32 s73, 0x270e
	s_movk_i32 s74, 0x108
	v_mov_b32_e32 v20, 1
	s_xor_b64 s[42:43], vcc, -1
	s_movk_i32 s75, 0x80
	s_movk_i32 s76, 0x7f
	s_brev_b32 s77, 1
	s_mov_b64 s[44:45], 0x7f800000
	s_mov_b64 s[46:47], 0x43e00001
	s_movk_i32 s78, 0x7a
	s_mov_b32 s49, 0xffffff
	s_mov_b64 s[50:51], 0xffffff
	s_mov_b32 s79, 0xc0c0500
	v_bfrev_b32_e32 v26, 60
	v_accvgpr_write_b32 a25, v45
	v_accvgpr_write_b32 a1, v58
	;; [unrolled: 1-line block ×3, first 2 shown]
	v_accvgpr_read_b32 v3, a27
	v_accvgpr_write_b32 a21, v40
	v_accvgpr_write_b32 a34, v41
	s_trap 2
	s_branch .LBB6_49
.LBB6_47:                               ;   in Loop: Header=BB6_49 Depth=1
	s_or_b64 exec, exec, s[22:23]
.LBB6_48:                               ;   in Loop: Header=BB6_49 Depth=1
	s_or_b64 exec, exec, s[24:25]
	v_accvgpr_read_b32 v2, a26
	v_add_co_u32_e32 v44, vcc, v44, v2
	v_accvgpr_read_b32 v33, a5
	v_addc_co_u32_e32 v45, vcc, 0, v45, vcc
	v_accvgpr_read_b32 v32, a4
	v_cmp_ge_u64_e32 vcc, v[44:45], v[32:33]
	v_accvgpr_read_b32 v3, a27
	s_or_b64 s[40:41], vcc, s[40:41]
	s_andn2_b64 exec, exec, s[40:41]
	s_cbranch_execz .LBB6_2887
.LBB6_49:                               ; =>This Loop Header: Depth=1
                                        ;     Child Loop BB6_58 Depth 2
                                        ;     Child Loop BB6_84 Depth 2
	;; [unrolled: 1-line block ×10, first 2 shown]
	v_sub_co_u32_e32 v0, vcc, v32, v44
	v_subb_co_u32_e32 v1, vcc, v33, v45, vcc
	v_cmp_lt_u64_e32 vcc, v[2:3], v[0:1]
	v_cndmask_b32_e32 v2, v0, v2, vcc
	v_cndmask_b32_e64 v3, v1, 0, vcc
	v_add_u32_e32 v0, 15, v2
	v_accvgpr_write_b32 a4, v32
	v_and_b32_e32 v0, 0x7ffffff0, v0
	v_cmp_eq_u64_e32 vcc, 0, v[2:3]
	v_accvgpr_write_b32 a5, v33
	v_max_i32_e32 v14, s71, v0
	v_accvgpr_write_b32 a38, v2
	s_or_b64 s[52:53], s[10:11], vcc
	v_mov_b32_e32 v0, v55
	s_xor_b64 s[22:23], s[52:53], -1
	s_mov_b64 s[54:55], exec
	s_and_b64 s[22:23], s[54:55], s[22:23]
	v_mov_b32_e32 v33, 0xffffff82
	v_mov_b32_e32 v32, 0x78
	s_mov_b64 exec, s[22:23]
	s_cbranch_execz .LBB6_2837
; %bb.50:                               ;   in Loop: Header=BB6_49 Depth=1
	s_and_saveexec_b64 s[22:23], s[4:5]
	s_cbranch_execz .LBB6_52
; %bb.51:                               ;   in Loop: Header=BB6_49 Depth=1
	s_trap 2
	ds_read_b64 v[0:1], v0
	v_mov_b32_e32 v54, v55
	s_waitcnt lgkmcnt(0)
	v_add_co_u32_e32 v0, vcc, v0, v60
	v_addc_co_u32_e32 v1, vcc, v1, v61, vcc
	v_add_co_u32_e32 v0, vcc, v0, v44
	v_addc_co_u32_e32 v1, vcc, v1, v45, vcc
	ds_write_b64 v0, v[0:1]
	ds_write_b64 v0, v[54:55]
.LBB6_52:                               ;   in Loop: Header=BB6_49 Depth=1
	s_or_b64 exec, exec, s[22:23]
	v_and_b32_e32 v0, 12, v59
	v_cmp_ne_u32_e32 vcc, 0, v0
	s_mov_b64 s[24:25], -1
	s_and_saveexec_b64 s[22:23], vcc
	s_cbranch_execz .LBB6_64
; %bb.53:                               ;   in Loop: Header=BB6_49 Depth=1
	v_and_b32_e32 v2, 8, v59
	v_add_co_u32_e32 v0, vcc, v36, v2
	v_accvgpr_read_b32 v4, a14
	v_addc_co_u32_e32 v1, vcc, 0, v37, vcc
	v_accvgpr_read_b32 v6, a16
	v_accvgpr_read_b32 v7, a17
	v_add_co_u32_e32 v10, vcc, 1, v6
	v_addc_co_u32_e32 v11, vcc, 0, v7, vcc
	v_cmp_lt_u64_e32 vcc, v[0:1], v[10:11]
	v_mov_b32_e32 v0, 1
	v_accvgpr_read_b32 v5, a15
	s_and_saveexec_b64 s[24:25], vcc
	s_cbranch_execz .LBB6_63
; %bb.54:                               ;   in Loop: Header=BB6_49 Depth=1
	s_mov_b64 s[26:27], 0
	v_mov_b32_e32 v0, 0
                                        ; implicit-def: $sgpr56_sgpr57
	s_branch .LBB6_58
.LBB6_55:                               ;   in Loop: Header=BB6_58 Depth=2
	s_or_b64 exec, exec, s[64:65]
	v_mov_b32_e32 v1, 0
	s_orn2_b64 s[62:63], s[62:63], exec
.LBB6_56:                               ;   in Loop: Header=BB6_58 Depth=2
	s_or_b64 exec, exec, s[60:61]
	s_andn2_b64 vcc, s[56:57], exec
	s_and_b64 s[56:57], s[62:63], exec
	s_or_b64 s[56:57], vcc, s[56:57]
	v_mov_b32_e32 v0, v1
.LBB6_57:                               ;   in Loop: Header=BB6_58 Depth=2
	s_or_b64 exec, exec, s[58:59]
	s_waitcnt vmcnt(0) lgkmcnt(0)
	v_add_co_u32_e32 v4, vcc, v36, v2
	v_addc_co_u32_e32 v5, vcc, 0, v37, vcc
	v_cmp_ge_u64_e32 vcc, v[4:5], v[10:11]
	s_xor_b64 s[58:59], s[56:57], -1
	s_or_b64 vcc, s[58:59], vcc
	s_and_b64 vcc, exec, vcc
	s_or_b64 s[26:27], vcc, s[26:27]
	s_andn2_b64 exec, exec, s[26:27]
	s_cbranch_execz .LBB6_62
.LBB6_58:                               ;   Parent Loop BB6_49 Depth=1
                                        ; =>  This Inner Loop Header: Depth=2
	v_accvgpr_read_b32 v4, a18
	v_accvgpr_read_b32 v5, a19
	s_sleep 1
	flat_load_dwordx2 v[36:37], v[4:5] glc
	v_and_b32_e32 v1, 64, v59
	v_cmp_eq_u32_e32 vcc, 0, v1
	s_andn2_b64 s[56:57], s[56:57], exec
	s_and_saveexec_b64 s[58:59], vcc
	s_cbranch_execz .LBB6_57
; %bb.59:                               ;   in Loop: Header=BB6_58 Depth=2
	v_add_u32_e32 v1, 1, v0
	v_cmp_lt_i32_e32 vcc, s73, v0
	s_mov_b64 s[62:63], -1
	s_and_saveexec_b64 s[60:61], vcc
	s_cbranch_execz .LBB6_56
; %bb.60:                               ;   in Loop: Header=BB6_58 Depth=2
	s_trap 2
	ds_read_b64 v[0:1], v0
	s_waitcnt vmcnt(0) lgkmcnt(0)
	flat_load_dword v0, v[0:1] glc
	s_waitcnt vmcnt(0) lgkmcnt(0)
	buffer_invl2
	buffer_wbinvl1_vol
	v_cmp_ne_u32_e32 vcc, 0, v0
	s_and_saveexec_b64 s[64:65], vcc
	s_cbranch_execz .LBB6_55
; %bb.61:                               ;   in Loop: Header=BB6_58 Depth=2
	v_or_b32_e32 v59, 64, v59
	s_xor_b64 s[62:63], exec, -1
	ds_write_b32 v0, v0
	s_trap 2
	s_branch .LBB6_55
.LBB6_62:                               ;   in Loop: Header=BB6_49 Depth=1
	s_or_b64 exec, exec, s[26:27]
	v_and_b32_e32 v0, 12, v59
.LBB6_63:                               ;   in Loop: Header=BB6_49 Depth=1
	s_or_b64 exec, exec, s[24:25]
	v_cmp_eq_u32_e32 vcc, 0, v0
	s_orn2_b64 s[24:25], vcc, exec
	;;#ASMSTART
	s_wakeup
	;;#ASMEND
.LBB6_64:                               ;   in Loop: Header=BB6_49 Depth=1
	s_or_b64 exec, exec, s[22:23]
	v_accvgpr_read_b32 v0, a38
	s_xor_b64 s[22:23], s[24:25], -1
	v_min_u32_e32 v14, v14, v0
	s_and_saveexec_b64 s[24:25], s[22:23]
	s_cbranch_execz .LBB6_76
; %bb.65:                               ;   in Loop: Header=BB6_49 Depth=1
	v_and_b32_e32 v0, 0x108, v59
	v_cmp_ne_u32_e32 vcc, s74, v0
	v_accvgpr_read_b32 v0, a14
	v_accvgpr_read_b32 v2, a16
	v_and_b32_e32 v2, 7, v2
	v_accvgpr_read_b32 v1, a15
	v_accvgpr_read_b32 v3, a17
	s_and_saveexec_b64 s[22:23], vcc
	s_xor_b64 s[22:23], exec, s[22:23]
	s_andn2_saveexec_b64 s[22:23], s[22:23]
	s_cbranch_execz .LBB6_67
; %bb.66:                               ;   in Loop: Header=BB6_49 Depth=1
	v_accvgpr_read_b32 v4, a14
	v_accvgpr_read_b32 v5, a15
	v_mad_u64_u32 v[0:1], s[26:27], v2, 24, v[4:5]
	v_mov_b32_e32 v15, v55
	v_accvgpr_read_b32 v6, a16
	v_accvgpr_read_b32 v7, a17
	flat_store_dwordx2 v[0:1], v[14:15] offset:8
.LBB6_67:                               ;   in Loop: Header=BB6_49 Depth=1
	s_or_b64 exec, exec, s[22:23]
	v_and_b32_e32 v0, 0x100, v59
	v_cmp_ne_u32_e32 vcc, 0, v0
	s_mov_b64 s[22:23], -1
                                        ; implicit-def: $vgpr10_vgpr11
	s_and_saveexec_b64 s[26:27], vcc
	s_cbranch_execz .LBB6_71
; %bb.68:                               ;   in Loop: Header=BB6_49 Depth=1
	v_accvgpr_read_b32 v4, a14
	v_accvgpr_read_b32 v5, a15
	v_mad_u64_u32 v[12:13], s[22:23], v2, 24, v[4:5]
	v_mov_b32_e32 v0, v13
	v_mad_u64_u32 v[0:1], s[22:23], v55, 24, v[0:1]
	v_mov_b32_e32 v13, v0
	flat_load_dword v0, v[12:13]
	v_accvgpr_read_b32 v6, a16
	v_accvgpr_read_b32 v7, a17
                                        ; implicit-def: $vgpr10_vgpr11
	s_waitcnt vmcnt(0) lgkmcnt(0)
	v_cmp_ne_u32_e32 vcc, 1, v0
	v_cmp_eq_u32_e64 s[22:23], 1, v0
	s_and_saveexec_b64 s[56:57], s[22:23]
	s_cbranch_execz .LBB6_70
; %bb.69:                               ;   in Loop: Header=BB6_49 Depth=1
	flat_load_dword v10, v[12:13] offset:4 glc
	s_waitcnt vmcnt(0) lgkmcnt(0)
	v_ashrrev_i32_e32 v11, 31, v10
.LBB6_70:                               ;   in Loop: Header=BB6_49 Depth=1
	s_or_b64 exec, exec, s[56:57]
	s_orn2_b64 s[22:23], vcc, exec
.LBB6_71:                               ;   in Loop: Header=BB6_49 Depth=1
	s_or_b64 exec, exec, s[26:27]
	s_and_saveexec_b64 s[26:27], s[22:23]
; %bb.72:                               ;   in Loop: Header=BB6_49 Depth=1
	v_accvgpr_read_b32 v4, a20
	v_accvgpr_read_b32 v1, a9
	v_mul_lo_u32 v0, v55, v4
	v_mul_lo_u32 v1, v2, v1
	v_mad_u64_u32 v[10:11], s[22:23], v2, v4, 0
	v_add3_u32 v11, v11, v1, v0
; %bb.73:                               ;   in Loop: Header=BB6_49 Depth=1
	s_or_b64 exec, exec, s[26:27]
	v_accvgpr_read_b32 v0, a22
	v_accvgpr_read_b32 v1, a23
	v_add_co_u32_e32 v0, vcc, v0, v10
	v_addc_co_u32_e32 v1, vcc, v1, v11, vcc
	s_trap 2
	ds_write_b64 v0, v[0:1]
	v_and_b32_e32 v0, 0x2000, v59
	v_cmp_ne_u32_e32 vcc, 0, v0
	s_and_saveexec_b64 s[22:23], vcc
	s_cbranch_execz .LBB6_75
; %bb.74:                               ;   in Loop: Header=BB6_49 Depth=1
	ds_read_b64 v[0:1], v0 offset:584
	s_waitcnt lgkmcnt(0)
	v_add_co_u32_e32 v0, vcc, 1, v0
	v_addc_co_u32_e32 v1, vcc, 0, v1, vcc
	ds_write_b64 v0, v[0:1] offset:584
.LBB6_75:                               ;   in Loop: Header=BB6_49 Depth=1
	s_or_b64 exec, exec, s[22:23]
	v_accvgpr_read_b32 v0, a14
	v_accvgpr_read_b32 v2, a16
	;; [unrolled: 1-line block ×3, first 2 shown]
	v_add_co_u32_e32 v2, vcc, 1, v2
	v_addc_co_u32_e32 v3, vcc, 0, v3, vcc
	v_accvgpr_read_b32 v1, a15
	v_accvgpr_write_b32 a17, v3
	v_accvgpr_write_b32 a16, v2
	;; [unrolled: 1-line block ×4, first 2 shown]
.LBB6_76:                               ;   in Loop: Header=BB6_49 Depth=1
	s_or_b64 exec, exec, s[24:25]
	s_and_saveexec_b64 s[22:23], s[12:13]
	s_cbranch_execz .LBB6_95
; %bb.77:                               ;   in Loop: Header=BB6_49 Depth=1
	s_and_saveexec_b64 s[24:25], s[38:39]
	s_xor_b64 s[24:25], exec, s[24:25]
	s_cbranch_execz .LBB6_92
; %bb.78:                               ;   in Loop: Header=BB6_49 Depth=1
	s_and_saveexec_b64 s[26:27], s[14:15]
	s_cbranch_execz .LBB6_91
; %bb.79:                               ;   in Loop: Header=BB6_49 Depth=1
	s_mov_b64 s[58:59], exec
	v_mbcnt_lo_u32_b32 v0, s58, 0
	v_mbcnt_hi_u32_b32 v0, s59, v0
	v_cmp_eq_u32_e32 vcc, 0, v0
	s_waitcnt vmcnt(0) lgkmcnt(0)
	buffer_wbinvl1_vol
	s_and_saveexec_b64 s[56:57], vcc
	s_cbranch_execz .LBB6_81
; %bb.80:                               ;   in Loop: Header=BB6_49 Depth=1
	s_bcnt1_i32_b64 vcc_lo, s[58:59]
	v_mov_b32_e32 v54, vcc_lo
	ds_add_u64 v0, v[54:55]
	s_trap 2
.LBB6_81:                               ;   in Loop: Header=BB6_49 Depth=1
	s_or_b64 exec, exec, s[56:57]
	s_trap 2
	ds_read_b64 v[0:1], v0
	v_accvgpr_read_b32 v2, a24
	v_accvgpr_read_b32 v4, a8
	v_accvgpr_read_b32 v3, a25
	v_add_co_u32_e32 v2, vcc, v2, v4
	v_addc_co_u32_e32 v3, vcc, 0, v3, vcc
	v_accvgpr_write_b32 a25, v3
	v_accvgpr_write_b32 a24, v2
	s_waitcnt lgkmcnt(0)
	v_cmp_lt_u64_e32 vcc, v[0:1], v[2:3]
	s_and_saveexec_b64 s[56:57], vcc
	s_cbranch_execz .LBB6_90
; %bb.82:                               ;   in Loop: Header=BB6_49 Depth=1
	s_mov_b32 s68, 0
	s_mov_b64 s[58:59], 0
                                        ; implicit-def: $sgpr60_sgpr61
                                        ; implicit-def: $sgpr62_sgpr63
	s_branch .LBB6_84
.LBB6_83:                               ;   in Loop: Header=BB6_84 Depth=2
	s_or_b64 exec, exec, s[66:67]
	s_and_b64 vcc, exec, vcc
	s_or_b64 s[58:59], vcc, s[58:59]
	s_andn2_b64 vcc, s[60:61], exec
	s_and_b64 s[60:61], s[62:63], exec
	s_or_b64 s[60:61], vcc, s[60:61]
	s_andn2_b64 exec, exec, s[58:59]
	s_cbranch_execz .LBB6_88
.LBB6_84:                               ;   Parent Loop BB6_49 Depth=1
                                        ; =>  This Inner Loop Header: Depth=2
	s_add_i32 s68, s68, 1
	s_cmpk_lg_i32 s68, 0x2710
	s_cselect_b64 s[64:65], -1, 0
	s_and_b64 vcc, exec, s[64:65]
                                        ; implicit-def: $sgpr66_sgpr67
	s_cbranch_vccnz .LBB6_86
; %bb.85:                               ;   in Loop: Header=BB6_84 Depth=2
	s_trap 2
	ds_read_b64 v[0:1], v0
	s_andn2_b64 s[64:65], s[64:65], exec
	s_mov_b32 s68, 0
	s_mov_b64 s[66:67], -1
	s_waitcnt lgkmcnt(0)
	flat_load_dword v0, v[0:1] glc
	s_waitcnt vmcnt(0) lgkmcnt(0)
	buffer_invl2
	buffer_wbinvl1_vol
	v_cmp_eq_u32_e32 vcc, 0, v0
	s_and_b64 vcc, vcc, exec
	s_or_b64 s[64:65], s[64:65], vcc
.LBB6_86:                               ;   in Loop: Header=BB6_84 Depth=2
	s_andn2_b64 s[62:63], s[62:63], exec
	s_and_b64 s[66:67], s[66:67], exec
	s_mov_b64 vcc, -1
	s_or_b64 s[62:63], s[62:63], s[66:67]
	s_and_saveexec_b64 s[66:67], s[64:65]
	s_cbranch_execz .LBB6_83
; %bb.87:                               ;   in Loop: Header=BB6_84 Depth=2
	s_sleep 1
	s_trap 2
	ds_read_b64 v[0:1], v0
	v_accvgpr_read_b32 v2, a24
	v_accvgpr_read_b32 v3, a25
	s_andn2_b64 s[62:63], s[62:63], exec
	s_waitcnt lgkmcnt(0)
	v_cmp_ge_u64_e32 vcc, v[0:1], v[2:3]
	s_orn2_b64 vcc, vcc, exec
	s_branch .LBB6_83
.LBB6_88:                               ;   in Loop: Header=BB6_49 Depth=1
	s_or_b64 exec, exec, s[58:59]
	s_and_saveexec_b64 vcc, s[60:61]
	s_xor_b64 vcc, exec, vcc
	s_cbranch_execz .LBB6_90
; %bb.89:                               ;   in Loop: Header=BB6_49 Depth=1
	ds_write_b32 v0, v20
	s_trap 2
.LBB6_90:                               ;   in Loop: Header=BB6_49 Depth=1
	s_or_b64 exec, exec, s[56:57]
	;;#ASMSTART
	s_wakeup
	;;#ASMEND
.LBB6_91:                               ;   in Loop: Header=BB6_49 Depth=1
	s_or_b64 exec, exec, s[26:27]
.LBB6_92:                               ;   in Loop: Header=BB6_49 Depth=1
	s_andn2_saveexec_b64 s[24:25], s[24:25]
	s_cbranch_execz .LBB6_94
; %bb.93:                               ;   in Loop: Header=BB6_49 Depth=1
	s_waitcnt vmcnt(0) lgkmcnt(0)
	buffer_wbinvl1_vol
	s_barrier
.LBB6_94:                               ;   in Loop: Header=BB6_49 Depth=1
	s_or_b64 exec, exec, s[24:25]
.LBB6_95:                               ;   in Loop: Header=BB6_49 Depth=1
	s_or_b64 exec, exec, s[22:23]
	s_trap 2
	ds_read_b32 v0, v0
	v_and_b32_e32 v1, 0x4000, v59
	v_cmp_ne_u32_e32 vcc, 0, v1
	s_and_b64 s[24:25], s[42:43], vcc
	s_and_saveexec_b64 s[22:23], s[24:25]
	s_cbranch_execz .LBB6_114
; %bb.96:                               ;   in Loop: Header=BB6_49 Depth=1
	s_and_saveexec_b64 s[24:25], s[38:39]
	s_xor_b64 s[24:25], exec, s[24:25]
	s_cbranch_execz .LBB6_111
; %bb.97:                               ;   in Loop: Header=BB6_49 Depth=1
	s_and_saveexec_b64 s[26:27], s[14:15]
	s_cbranch_execz .LBB6_110
; %bb.98:                               ;   in Loop: Header=BB6_49 Depth=1
	s_mov_b64 s[58:59], exec
	v_mbcnt_lo_u32_b32 v1, s58, 0
	v_mbcnt_hi_u32_b32 v1, s59, v1
	v_cmp_eq_u32_e32 vcc, 0, v1
	s_waitcnt vmcnt(0) lgkmcnt(0)
	buffer_wbinvl1_vol
	s_and_saveexec_b64 s[56:57], vcc
	s_cbranch_execz .LBB6_100
; %bb.99:                               ;   in Loop: Header=BB6_49 Depth=1
	s_bcnt1_i32_b64 vcc_lo, s[58:59]
	v_mov_b32_e32 v54, vcc_lo
	ds_add_u64 v0, v[54:55]
	s_trap 2
.LBB6_100:                              ;   in Loop: Header=BB6_49 Depth=1
	s_or_b64 exec, exec, s[56:57]
	s_trap 2
	ds_read_b64 v[2:3], v0
	v_accvgpr_read_b32 v4, a24
	v_accvgpr_read_b32 v6, a8
	;; [unrolled: 1-line block ×3, first 2 shown]
	v_add_co_u32_e32 v4, vcc, v4, v6
	v_addc_co_u32_e32 v5, vcc, 0, v5, vcc
	v_accvgpr_write_b32 a25, v5
	v_accvgpr_write_b32 a24, v4
	s_waitcnt lgkmcnt(0)
	v_cmp_lt_u64_e32 vcc, v[2:3], v[4:5]
	s_and_saveexec_b64 s[56:57], vcc
	s_cbranch_execz .LBB6_109
; %bb.101:                              ;   in Loop: Header=BB6_49 Depth=1
	s_mov_b32 s68, 0
	s_mov_b64 s[58:59], 0
                                        ; implicit-def: $sgpr60_sgpr61
                                        ; implicit-def: $sgpr62_sgpr63
	s_branch .LBB6_103
.LBB6_102:                              ;   in Loop: Header=BB6_103 Depth=2
	s_or_b64 exec, exec, s[66:67]
	s_and_b64 vcc, exec, vcc
	s_or_b64 s[58:59], vcc, s[58:59]
	s_andn2_b64 vcc, s[60:61], exec
	s_and_b64 s[60:61], s[62:63], exec
	s_or_b64 s[60:61], vcc, s[60:61]
	s_andn2_b64 exec, exec, s[58:59]
	s_cbranch_execz .LBB6_107
.LBB6_103:                              ;   Parent Loop BB6_49 Depth=1
                                        ; =>  This Inner Loop Header: Depth=2
	s_add_i32 s68, s68, 1
	s_cmpk_lg_i32 s68, 0x2710
	s_cselect_b64 s[64:65], -1, 0
	s_and_b64 vcc, exec, s[64:65]
                                        ; implicit-def: $sgpr66_sgpr67
	s_cbranch_vccnz .LBB6_105
; %bb.104:                              ;   in Loop: Header=BB6_103 Depth=2
	s_trap 2
	ds_read_b64 v[2:3], v0
	s_andn2_b64 s[64:65], s[64:65], exec
	s_mov_b32 s68, 0
	s_mov_b64 s[66:67], -1
	s_waitcnt lgkmcnt(0)
	flat_load_dword v1, v[2:3] glc
	s_waitcnt vmcnt(0) lgkmcnt(0)
	buffer_invl2
	buffer_wbinvl1_vol
	v_cmp_eq_u32_e32 vcc, 0, v1
	s_and_b64 vcc, vcc, exec
	s_or_b64 s[64:65], s[64:65], vcc
.LBB6_105:                              ;   in Loop: Header=BB6_103 Depth=2
	s_andn2_b64 s[62:63], s[62:63], exec
	s_and_b64 s[66:67], s[66:67], exec
	s_mov_b64 vcc, -1
	s_or_b64 s[62:63], s[62:63], s[66:67]
	s_and_saveexec_b64 s[66:67], s[64:65]
	s_cbranch_execz .LBB6_102
; %bb.106:                              ;   in Loop: Header=BB6_103 Depth=2
	s_sleep 1
	s_trap 2
	ds_read_b64 v[2:3], v0
	v_accvgpr_read_b32 v4, a24
	v_accvgpr_read_b32 v5, a25
	s_andn2_b64 s[62:63], s[62:63], exec
	s_waitcnt lgkmcnt(0)
	v_cmp_ge_u64_e32 vcc, v[2:3], v[4:5]
	s_orn2_b64 vcc, vcc, exec
	s_branch .LBB6_102
.LBB6_107:                              ;   in Loop: Header=BB6_49 Depth=1
	s_or_b64 exec, exec, s[58:59]
	s_and_saveexec_b64 vcc, s[60:61]
	s_xor_b64 vcc, exec, vcc
	s_cbranch_execz .LBB6_109
; %bb.108:                              ;   in Loop: Header=BB6_49 Depth=1
	ds_write_b32 v0, v20
	s_trap 2
.LBB6_109:                              ;   in Loop: Header=BB6_49 Depth=1
	s_or_b64 exec, exec, s[56:57]
	;;#ASMSTART
	s_wakeup
	;;#ASMEND
.LBB6_110:                              ;   in Loop: Header=BB6_49 Depth=1
	s_or_b64 exec, exec, s[26:27]
.LBB6_111:                              ;   in Loop: Header=BB6_49 Depth=1
	s_andn2_saveexec_b64 s[24:25], s[24:25]
	s_cbranch_execz .LBB6_113
; %bb.112:                              ;   in Loop: Header=BB6_49 Depth=1
	s_waitcnt vmcnt(0) lgkmcnt(0)
	buffer_wbinvl1_vol
	s_barrier
.LBB6_113:                              ;   in Loop: Header=BB6_49 Depth=1
	s_or_b64 exec, exec, s[24:25]
.LBB6_114:                              ;   in Loop: Header=BB6_49 Depth=1
	s_or_b64 exec, exec, s[22:23]
	s_trap 2
	s_waitcnt lgkmcnt(0)
	ds_read_b64 v[2:3], v0
	s_waitcnt lgkmcnt(0)
	v_readfirstlane_b32 s22, v2
	v_readfirstlane_b32 s23, v3
	s_cmp_eq_u64 s[22:23], 0
	s_cselect_b64 s[22:23], -1, 0
	s_or_b64 s[24:25], s[22:23], s[22:23]
	s_mov_b64 s[22:23], 0
	s_and_b64 vcc, exec, s[24:25]
	s_cbranch_vccnz .LBB6_2811
; %bb.115:                              ;   in Loop: Header=BB6_49 Depth=1
	s_trap 2
	ds_read_b64 v[2:3], v0
	s_mov_b64 s[24:25], -1
	s_waitcnt lgkmcnt(0)
	v_readfirstlane_b32 s68, v2
	s_and_saveexec_b64 s[22:23], s[16:17]
	s_cbranch_execz .LBB6_117
; %bb.116:                              ;   in Loop: Header=BB6_49 Depth=1
	ds_read_b32 v1, v0 offset:720
	s_waitcnt lgkmcnt(0)
	v_and_b32_e32 v1, 15, v1
	v_cmp_eq_u32_e32 vcc, 0, v1
	s_orn2_b64 s[24:25], vcc, exec
.LBB6_117:                              ;   in Loop: Header=BB6_49 Depth=1
	s_or_b64 exec, exec, s[22:23]
	s_and_saveexec_b64 s[22:23], s[18:19]
	s_cbranch_execz .LBB6_119
; %bb.118:                              ;   in Loop: Header=BB6_49 Depth=1
	ds_read_b32 v1, v0 offset:784
	s_waitcnt lgkmcnt(0)
	v_and_b32_e32 v1, 15, v1
	v_cmp_eq_u32_e32 vcc, 0, v1
	s_and_b64 s[26:27], s[24:25], vcc
	s_andn2_b64 s[24:25], s[24:25], exec
	s_and_b64 s[26:27], s[26:27], exec
	s_or_b64 s[24:25], s[24:25], s[26:27]
.LBB6_119:                              ;   in Loop: Header=BB6_49 Depth=1
	s_or_b64 exec, exec, s[22:23]
	s_xor_b64 s[24:25], s[24:25], -1
	v_cmp_eq_u32_e32 vcc, 0, v0
	v_cndmask_b32_e64 v0, 0, 1, s[24:25]
	v_cndmask_b32_e32 v22, 0, v14, vcc
	;;#ASMSTART
	;;#ASMEND
	v_mov_b32_e32 v1, 0
	v_accvgpr_write_b32 a40, v14
	s_mov_b64 s[22:23], -1
	v_cmp_ne_u32_e32 vcc, 0, v0
	v_mov_b32_e32 v17, v22
	v_mov_b32_e32 v18, v58
	;; [unrolled: 1-line block ×3, first 2 shown]
	s_cbranch_vccz .LBB6_121
; %bb.120:                              ;   in Loop: Header=BB6_49 Depth=1
	s_and_saveexec_b64 s[56:57], s[22:23]
	s_cbranch_execnz .LBB6_2054
	s_branch .LBB6_2810
.LBB6_121:                              ;   in Loop: Header=BB6_49 Depth=1
	v_lshrrev_b32_e32 v0, 11, v22
	v_sub_u32_e32 v47, v0, v40
	v_accvgpr_write_b32 a37, v22
	v_cmp_lt_i32_e32 vcc, 0, v47
	s_and_saveexec_b64 s[26:27], vcc
	s_cbranch_execz .LBB6_1405
; %bb.122:                              ;   in Loop: Header=BB6_49 Depth=1
	s_trap 2
	ds_read_b128 v[0:3], v0
	v_accvgpr_read_b32 v6, a30
	v_accvgpr_read_b32 v7, a31
	v_accvgpr_write_b32 a3, v59
	s_bitcmp1_b32 s68, 0
	s_waitcnt lgkmcnt(0)
	ds_read_b64 v[4:5], v0
	v_add_co_u32_e32 v58, vcc, v0, v6
	v_addc_co_u32_e32 v59, vcc, v1, v7, vcc
	v_add_co_u32_e32 v60, vcc, v2, v6
	v_addc_co_u32_e32 v61, vcc, v3, v7, vcc
	s_waitcnt lgkmcnt(0)
	v_add_co_u32_e32 v40, vcc, v4, v6
	v_accvgpr_write_b32 a0, v31
	v_mov_b32_e32 v39, v46
	v_addc_co_u32_e32 v41, vcc, v5, v7, vcc
	s_mov_b64 s[56:57], 0
	s_cselect_b64 s[58:59], -1, 0
	s_branch .LBB6_124
.LBB6_123:                              ;   in Loop: Header=BB6_124 Depth=2
	s_or_b64 exec, exec, s[22:23]
	v_lshlrev_b32_e32 v3, 8, v30
	v_perm_b32 v3, v3, v35, s79
	v_lshl_or_b32 v3, v31, 16, v3
	v_lshl_or_b32 v7, v23, 24, v3
	v_and_b32_e32 v3, 0xff, v43
	v_lshlrev_b32_e32 v1, 8, v1
	v_lshlrev_b32_e32 v6, 24, v34
	;; [unrolled: 1-line block ×3, first 2 shown]
	v_perm_b32 v1, v1, v57, s79
	v_or3_b32 v6, v6, v3, v1
	v_and_b32_e32 v1, 0xff, v52
	v_lshlrev_b32_e32 v8, 8, v42
	v_lshlrev_b32_e32 v3, 24, v46
	;; [unrolled: 1-line block ×3, first 2 shown]
	v_perm_b32 v8, v8, v28, s79
	v_or3_b32 v8, v3, v1, v8
	v_lshlrev_b32_e32 v1, 8, v22
	v_perm_b32 v1, v1, v56, s79
	v_lshl_or_b32 v1, v53, 16, v1
	v_lshl_or_b32 v9, v21, 24, v1
	v_lshlrev_b32_e32 v1, 8, v19
	v_perm_b32 v0, v1, v0, s79
	v_lshl_or_b32 v0, v20, 16, v0
	v_lshl_or_b32 v17, v15, 24, v0
	v_and_b32_e32 v0, 0xff, v29
	v_lshlrev_b32_e32 v3, 8, v25
	v_lshlrev_b32_e32 v1, 24, v27
	;; [unrolled: 1-line block ×3, first 2 shown]
	v_perm_b32 v3, v3, v24, s79
	v_or3_b32 v16, v1, v0, v3
	v_and_b32_e32 v0, 0xff, v49
	v_lshlrev_b32_e32 v3, 8, v48
	v_lshlrev_b32_e32 v1, 24, v4
	;; [unrolled: 1-line block ×3, first 2 shown]
	v_perm_b32 v3, v3, v18, s79
	v_or3_b32 v18, v1, v0, v3
	v_lshlrev_b32_e32 v0, 8, v11
	v_perm_b32 v0, v0, v5, s79
	v_lshl_or_b32 v0, v14, 16, v0
	v_accvgpr_read_b32 v1, a32
	v_lshl_or_b32 v19, v2, 24, v0
	v_add_co_u32_e32 v58, vcc, v58, v1
	v_accvgpr_read_b32 v2, a33
	v_addc_co_u32_e32 v59, vcc, v59, v2, vcc
	v_add_co_u32_e32 v60, vcc, v60, v1
	v_accvgpr_read_b32 v0, a8
	v_addc_co_u32_e32 v61, vcc, v61, v2, vcc
	v_sub_u32_e32 v47, v47, v0
	v_cmp_gt_i32_e32 vcc, 1, v47
	global_store_dwordx4 v[40:41], v[6:9], off glc slc
	global_store_dwordx4 v[40:41], v[16:19], off offset:1024 glc slc
	s_or_b64 s[56:57], vcc, s[56:57]
	v_add_co_u32_e32 v40, vcc, v40, v1
	v_addc_co_u32_e32 v41, vcc, v41, v2, vcc
	s_andn2_b64 exec, exec, s[56:57]
	s_cbranch_execz .LBB6_1404
.LBB6_124:                              ;   Parent Loop BB6_49 Depth=1
                                        ; =>  This Inner Loop Header: Depth=2
	global_load_dwordx4 v[22:25], v[58:59], off glc slc
	global_load_dwordx4 v[14:17], v[58:59], off offset:1024 glc slc
	global_load_dwordx4 v[18:21], v[60:61], off glc slc
	global_load_dwordx4 v[10:13], v[60:61], off offset:1024 glc slc
	s_and_b64 vcc, exec, s[58:59]
	s_waitcnt vmcnt(0)
	v_cmp_ne_u16_sdwa s[22:23], v22, v55 src0_sel:BYTE_0 src1_sel:DWORD
	s_cbranch_vccz .LBB6_138
; %bb.125:                              ;   in Loop: Header=BB6_124 Depth=2
	v_mov_b32_e32 v1, 0
	v_mov_b32_e32 v0, 0
	s_and_saveexec_b64 s[24:25], s[22:23]
	s_cbranch_execz .LBB6_131
; %bb.126:                              ;   in Loop: Header=BB6_124 Depth=2
	v_cmp_ne_u16_sdwa vcc, v22, s75 src0_sel:BYTE_0 src1_sel:DWORD
	v_bfrev_b32_e32 v0, 1
	s_and_saveexec_b64 s[60:61], vcc
	s_cbranch_execz .LBB6_130
; %bb.127:                              ;   in Loop: Header=BB6_124 Depth=2
	v_and_b32_e32 v2, 0x7f, v22
	v_cmp_ne_u32_e32 vcc, s76, v2
	v_mov_b32_e32 v0, 0x7f800001
	s_and_saveexec_b64 s[62:63], vcc
	s_cbranch_execz .LBB6_129
; %bb.128:                              ;   in Loop: Header=BB6_124 Depth=2
	v_and_b32_e32 v0, 7, v22
	v_ffbh_u32_e32 v0, v0
	v_min_u32_e32 v0, 32, v0
	v_subrev_u32_e32 v4, 28, v0
	v_cmp_gt_u32_e32 vcc, 8, v2
	v_lshrrev_b32_e32 v3, 3, v2
	v_sub_u32_e32 v0, 29, v0
	v_cndmask_b32_e32 v2, 0, v4, vcc
	v_cndmask_b32_e32 v0, v3, v0, vcc
	v_lshlrev_b64 v[2:3], v2, v[22:23]
	v_lshlrev_b32_e32 v2, 20, v2
	v_lshlrev_b32_e32 v3, 24, v22
	v_and_b32_e32 v2, 0x700000, v2
	v_and_b32_e32 v3, 0x80000000, v3
	v_lshl_add_u32 v0, v0, 23, v26
	v_or3_b32 v0, v3, v0, v2
.LBB6_129:                              ;   in Loop: Header=BB6_124 Depth=2
	s_or_b64 exec, exec, s[62:63]
.LBB6_130:                              ;   in Loop: Header=BB6_124 Depth=2
	s_or_b64 exec, exec, s[60:61]
.LBB6_131:                              ;   in Loop: Header=BB6_124 Depth=2
	s_or_b64 exec, exec, s[24:25]
	v_cmp_ne_u16_sdwa vcc, v18, v55 src0_sel:BYTE_0 src1_sel:DWORD
	s_and_saveexec_b64 s[24:25], vcc
	s_cbranch_execz .LBB6_137
; %bb.132:                              ;   in Loop: Header=BB6_124 Depth=2
	v_cmp_ne_u16_sdwa vcc, v18, s75 src0_sel:BYTE_0 src1_sel:DWORD
	v_bfrev_b32_e32 v1, 1
	s_and_saveexec_b64 s[60:61], vcc
	s_cbranch_execz .LBB6_136
; %bb.133:                              ;   in Loop: Header=BB6_124 Depth=2
	v_and_b32_e32 v2, 0x7f, v18
	v_cmp_ne_u32_e32 vcc, s76, v2
	v_mov_b32_e32 v1, 0x7f800001
	s_and_saveexec_b64 s[62:63], vcc
	s_cbranch_execz .LBB6_135
; %bb.134:                              ;   in Loop: Header=BB6_124 Depth=2
	v_and_b32_e32 v1, 7, v18
	v_ffbh_u32_e32 v1, v1
	v_min_u32_e32 v1, 32, v1
	v_subrev_u32_e32 v4, 28, v1
	v_cmp_gt_u32_e32 vcc, 8, v2
	v_lshrrev_b32_e32 v3, 3, v2
	v_sub_u32_e32 v1, 29, v1
	v_cndmask_b32_e32 v2, 0, v4, vcc
	v_cndmask_b32_e32 v1, v3, v1, vcc
	v_lshlrev_b64 v[2:3], v2, v[18:19]
	v_lshlrev_b32_e32 v2, 20, v2
	v_lshlrev_b32_e32 v3, 24, v18
	v_and_b32_e32 v2, 0x700000, v2
	v_and_b32_e32 v3, 0x80000000, v3
	v_lshl_add_u32 v1, v1, 23, v26
	v_or3_b32 v1, v3, v1, v2
.LBB6_135:                              ;   in Loop: Header=BB6_124 Depth=2
	s_or_b64 exec, exec, s[62:63]
.LBB6_136:                              ;   in Loop: Header=BB6_124 Depth=2
	s_or_b64 exec, exec, s[60:61]
.LBB6_137:                              ;   in Loop: Header=BB6_124 Depth=2
	s_or_b64 exec, exec, s[24:25]
	v_max_f32_e32 v1, v1, v1
	v_max_f32_e32 v0, v0, v0
	;; [unrolled: 1-line block ×3, first 2 shown]
	s_branch .LBB6_152
.LBB6_138:                              ;   in Loop: Header=BB6_124 Depth=2
                                        ; implicit-def: $vgpr1
	s_cbranch_execz .LBB6_152
; %bb.139:                              ;   in Loop: Header=BB6_124 Depth=2
	v_mov_b32_e32 v1, 0
	v_mov_b32_e32 v0, 0
	s_and_saveexec_b64 s[24:25], s[22:23]
	s_cbranch_execz .LBB6_145
; %bb.140:                              ;   in Loop: Header=BB6_124 Depth=2
	v_cmp_ne_u16_sdwa vcc, v22, s75 src0_sel:BYTE_0 src1_sel:DWORD
	v_bfrev_b32_e32 v0, 1
	s_and_saveexec_b64 s[22:23], vcc
	s_cbranch_execz .LBB6_144
; %bb.141:                              ;   in Loop: Header=BB6_124 Depth=2
	v_and_b32_e32 v2, 0x7f, v22
	v_cmp_ne_u32_e32 vcc, s76, v2
	v_mov_b32_e32 v0, 0x7f800001
	s_and_saveexec_b64 s[60:61], vcc
	s_cbranch_execz .LBB6_143
; %bb.142:                              ;   in Loop: Header=BB6_124 Depth=2
	v_and_b32_e32 v0, 7, v22
	v_ffbh_u32_e32 v0, v0
	v_min_u32_e32 v0, 32, v0
	v_subrev_u32_e32 v4, 28, v0
	v_cmp_gt_u32_e32 vcc, 8, v2
	v_lshrrev_b32_e32 v3, 3, v2
	v_sub_u32_e32 v0, 29, v0
	v_cndmask_b32_e32 v2, 0, v4, vcc
	v_cndmask_b32_e32 v0, v3, v0, vcc
	v_lshlrev_b64 v[2:3], v2, v[22:23]
	v_lshlrev_b32_e32 v2, 20, v2
	v_lshlrev_b32_e32 v3, 24, v22
	v_and_b32_e32 v2, 0x700000, v2
	v_and_b32_e32 v3, 0x80000000, v3
	v_lshl_add_u32 v0, v0, 23, v26
	v_or3_b32 v0, v3, v0, v2
.LBB6_143:                              ;   in Loop: Header=BB6_124 Depth=2
	s_or_b64 exec, exec, s[60:61]
.LBB6_144:                              ;   in Loop: Header=BB6_124 Depth=2
	s_or_b64 exec, exec, s[22:23]
.LBB6_145:                              ;   in Loop: Header=BB6_124 Depth=2
	s_or_b64 exec, exec, s[24:25]
	v_cmp_ne_u16_sdwa s[24:25], v18, v55 src0_sel:BYTE_0 src1_sel:DWORD
	s_and_saveexec_b64 s[22:23], s[24:25]
	s_cbranch_execz .LBB6_151
; %bb.146:                              ;   in Loop: Header=BB6_124 Depth=2
	v_cmp_ne_u16_sdwa vcc, v18, s75 src0_sel:BYTE_0 src1_sel:DWORD
	v_bfrev_b32_e32 v1, 1
	s_and_saveexec_b64 s[24:25], vcc
	s_cbranch_execz .LBB6_150
; %bb.147:                              ;   in Loop: Header=BB6_124 Depth=2
	v_and_b32_e32 v2, 0x7f, v18
	v_cmp_ne_u32_e32 vcc, s76, v2
	v_mov_b32_e32 v1, 0x7f800001
	s_and_saveexec_b64 s[60:61], vcc
	s_cbranch_execz .LBB6_149
; %bb.148:                              ;   in Loop: Header=BB6_124 Depth=2
	v_and_b32_e32 v1, 7, v18
	v_ffbh_u32_e32 v1, v1
	v_min_u32_e32 v1, 32, v1
	v_subrev_u32_e32 v4, 28, v1
	v_cmp_gt_u32_e32 vcc, 8, v2
	v_lshrrev_b32_e32 v3, 3, v2
	v_sub_u32_e32 v1, 29, v1
	v_cndmask_b32_e32 v2, 0, v4, vcc
	v_cndmask_b32_e32 v1, v3, v1, vcc
	v_lshlrev_b64 v[2:3], v2, v[18:19]
	v_lshlrev_b32_e32 v2, 20, v2
	v_lshlrev_b32_e32 v3, 24, v18
	v_and_b32_e32 v2, 0x700000, v2
	v_and_b32_e32 v3, 0x80000000, v3
	v_lshl_add_u32 v1, v1, 23, v26
	v_or3_b32 v1, v3, v1, v2
.LBB6_149:                              ;   in Loop: Header=BB6_124 Depth=2
	s_or_b64 exec, exec, s[60:61]
.LBB6_150:                              ;   in Loop: Header=BB6_124 Depth=2
	s_or_b64 exec, exec, s[24:25]
.LBB6_151:                              ;   in Loop: Header=BB6_124 Depth=2
	s_or_b64 exec, exec, s[22:23]
	v_max_f32_e32 v1, v1, v1
	v_max_f32_e32 v0, v0, v0
	v_min_f32_e32 v1, v0, v1
.LBB6_152:                              ;   in Loop: Header=BB6_124 Depth=2
	v_and_b32_sdwa v0, v1, s75 dst_sel:DWORD dst_unused:UNUSED_PAD src0_sel:BYTE_3 src1_sel:DWORD
	v_and_b32_e32 v2, 0x7f800000, v1
	v_mov_b32_e32 v3, v55
	v_and_b32_e32 v54, 0x7fffff, v1
	v_or_b32_e32 v57, 0x7e, v0
	v_cmp_ne_u64_e32 vcc, s[44:45], v[2:3]
	s_and_saveexec_b64 s[22:23], vcc
	s_xor_b64 s[24:25], exec, s[22:23]
	s_cbranch_execz .LBB6_162
; %bb.153:                              ;   in Loop: Header=BB6_124 Depth=2
	v_and_b32_e32 v2, 0x7fffffff, v1
	v_mov_b32_e32 v3, v55
	v_cmp_gt_u64_e32 vcc, s[46:47], v[2:3]
	s_and_saveexec_b64 s[60:61], vcc
	s_cbranch_execz .LBB6_161
; %bb.154:                              ;   in Loop: Header=BB6_124 Depth=2
	v_cmp_ne_u32_e32 vcc, 0, v1
	v_mov_b32_e32 v57, 0
	s_and_saveexec_b64 s[62:63], vcc
	s_cbranch_execz .LBB6_160
; %bb.155:                              ;   in Loop: Header=BB6_124 Depth=2
	v_bfe_u32 v1, v1, 23, 8
	v_sub_u32_e32 v3, 0x79, v1
	v_cmp_gt_u32_e32 vcc, s78, v1
	v_cndmask_b32_e32 v3, 0, v3, vcc
	v_cmp_eq_u32_e32 vcc, 0, v1
	v_add_u32_e32 v2, 0xffffff81, v1
	v_or_b32_e32 v4, 0x800000, v54
	v_cndmask_b32_e32 v5, v3, v32, vcc
	v_cndmask_b32_e32 v1, v2, v33, vcc
	;; [unrolled: 1-line block ×3, first 2 shown]
	v_add_u32_e32 v2, 20, v5
	v_lshlrev_b64 v[2:3], v2, -1
	v_add_u32_e32 v4, 19, v5
	v_lshrrev_b64 v[8:9], v5, v[54:55]
	v_not_b32_e32 v3, v3
	v_not_b32_e32 v2, v2
	v_lshlrev_b64 v[6:7], v4, 1
	v_lshrrev_b32_e32 v4, 23, v8
	v_and_b32_e32 v3, 0, v3
	v_and_b32_e32 v2, v54, v2
	v_add3_u32 v5, v5, v1, v4
	v_bfe_u32 v1, v8, 20, 1
	v_add_u32_e32 v1, -1, v1
	v_cmp_eq_u64_e32 vcc, v[2:3], v[6:7]
	v_cndmask_b32_e32 v1, 0, v1, vcc
	v_add_u32_e32 v1, v1, v8
	v_and_b32_e32 v1, 0xfffff, v1
	v_add_co_u32_e32 v2, vcc, v1, v8
	v_add_u32_e32 v4, 6, v5
	v_addc_co_u32_e32 v3, vcc, 0, v9, vcc
	v_cmp_ne_u32_e32 vcc, 0, v4
                                        ; implicit-def: $vgpr1
	s_and_saveexec_b64 s[22:23], vcc
	s_xor_b64 s[22:23], exec, s[22:23]
; %bb.156:                              ;   in Loop: Header=BB6_124 Depth=2
	v_add_u32_e32 v1, 7, v5
	v_cmp_lt_u64_e32 vcc, s[50:51], v[2:3]
	v_cndmask_b32_e32 v1, v4, v1, vcc
	v_cndmask_b32_e64 v4, 0, 1, vcc
	v_lshrrev_b64 v[2:3], v4, v[2:3]
; %bb.157:                              ;   in Loop: Header=BB6_124 Depth=2
	s_andn2_saveexec_b64 s[22:23], s[22:23]
; %bb.158:                              ;   in Loop: Header=BB6_124 Depth=2
	v_bfe_u32 v1, v2, 23, 1
; %bb.159:                              ;   in Loop: Header=BB6_124 Depth=2
	s_or_b64 exec, exec, s[22:23]
	v_lshrrev_b64 v[2:3], 20, v[2:3]
	v_cmp_gt_i32_e32 vcc, 16, v1
	v_cndmask_b32_e32 v3, 0, v3, vcc
	v_cndmask_b32_e32 v2, 7, v2, vcc
	v_cmp_eq_u32_e32 vcc, 0, v1
	v_min_i32_e32 v1, 15, v1
	v_cmp_eq_u64_e64 s[22:23], 0, v[2:3]
	v_lshlrev_b32_e32 v1, 3, v1
	v_and_or_b32 v1, v2, 7, v1
	s_and_b64 s[22:23], vcc, s[22:23]
	v_cndmask_b32_e64 v1, v1, 0, s[22:23]
	v_or_b32_e32 v57, v1, v0
.LBB6_160:                              ;   in Loop: Header=BB6_124 Depth=2
	s_or_b64 exec, exec, s[62:63]
.LBB6_161:                              ;   in Loop: Header=BB6_124 Depth=2
	s_or_b64 exec, exec, s[60:61]
                                        ; implicit-def: $vgpr1
.LBB6_162:                              ;   in Loop: Header=BB6_124 Depth=2
	s_andn2_saveexec_b64 s[22:23], s[24:25]
; %bb.163:                              ;   in Loop: Header=BB6_124 Depth=2
	v_or_b32_sdwa v0, v1, s76 dst_sel:DWORD dst_unused:UNUSED_PAD src0_sel:BYTE_3 src1_sel:DWORD
	v_cmp_eq_u64_e32 vcc, 0, v[54:55]
	v_cndmask_b32_e32 v57, v0, v57, vcc
; %bb.164:                              ;   in Loop: Header=BB6_124 Depth=2
	s_or_b64 exec, exec, s[22:23]
	v_lshrrev_b16_e32 v28, 8, v22
	v_lshrrev_b16_e32 v2, 8, v18
	v_cmp_ne_u16_e64 s[22:23], 0, v28
	s_and_b64 vcc, exec, s[58:59]
	s_cbranch_vccz .LBB6_178
; %bb.165:                              ;   in Loop: Header=BB6_124 Depth=2
	v_mov_b32_e32 v1, 0
	v_mov_b32_e32 v0, 0
	s_and_saveexec_b64 s[24:25], s[22:23]
	s_cbranch_execz .LBB6_171
; %bb.166:                              ;   in Loop: Header=BB6_124 Depth=2
	v_cmp_ne_u16_e32 vcc, s75, v28
	v_bfrev_b32_e32 v0, 1
	s_and_saveexec_b64 s[60:61], vcc
	s_cbranch_execz .LBB6_170
; %bb.167:                              ;   in Loop: Header=BB6_124 Depth=2
	v_and_b32_e32 v3, 0x7f, v28
	v_cmp_ne_u32_e32 vcc, s76, v3
	v_mov_b32_e32 v0, 0x7f800001
	s_and_saveexec_b64 s[62:63], vcc
	s_cbranch_execz .LBB6_169
; %bb.168:                              ;   in Loop: Header=BB6_124 Depth=2
	v_and_b32_e32 v0, 7, v28
	v_ffbh_u32_e32 v4, v0
	v_min_u32_e32 v7, 32, v4
	v_subrev_u32_e32 v4, 28, v7
	v_lshlrev_b64 v[4:5], v4, v[28:29]
	v_lshrrev_b32_e32 v6, 3, v3
	v_sub_u32_e32 v5, 29, v7
	v_and_b32_e32 v4, 7, v4
	v_cmp_gt_u32_e32 vcc, 8, v3
	v_cndmask_b32_e32 v3, v6, v5, vcc
	v_cndmask_b32_e32 v0, v0, v4, vcc
	v_lshlrev_b32_e32 v4, 16, v22
	v_lshlrev_b32_e32 v0, 20, v0
	v_and_b32_e32 v4, 0x80000000, v4
	v_lshl_add_u32 v3, v3, 23, v26
	v_or3_b32 v0, v4, v3, v0
.LBB6_169:                              ;   in Loop: Header=BB6_124 Depth=2
	s_or_b64 exec, exec, s[62:63]
.LBB6_170:                              ;   in Loop: Header=BB6_124 Depth=2
	s_or_b64 exec, exec, s[60:61]
.LBB6_171:                              ;   in Loop: Header=BB6_124 Depth=2
	s_or_b64 exec, exec, s[24:25]
	v_cmp_ne_u16_e32 vcc, 0, v2
	s_and_saveexec_b64 s[24:25], vcc
	s_cbranch_execz .LBB6_177
; %bb.172:                              ;   in Loop: Header=BB6_124 Depth=2
	v_cmp_ne_u16_e32 vcc, s75, v2
	v_bfrev_b32_e32 v1, 1
	s_and_saveexec_b64 s[60:61], vcc
	s_cbranch_execz .LBB6_176
; %bb.173:                              ;   in Loop: Header=BB6_124 Depth=2
	v_and_b32_e32 v3, 0x7f, v2
	v_cmp_ne_u32_e32 vcc, s76, v3
	v_mov_b32_e32 v1, 0x7f800001
	s_and_saveexec_b64 s[62:63], vcc
	s_cbranch_execz .LBB6_175
; %bb.174:                              ;   in Loop: Header=BB6_124 Depth=2
	v_and_b32_e32 v1, 7, v2
	v_ffbh_u32_e32 v4, v1
	v_min_u32_e32 v7, 32, v4
	v_subrev_u32_e32 v4, 28, v7
	v_lshlrev_b64 v[4:5], v4, v[2:3]
	v_lshrrev_b32_e32 v6, 3, v3
	v_sub_u32_e32 v5, 29, v7
	v_and_b32_e32 v4, 7, v4
	v_cmp_gt_u32_e32 vcc, 8, v3
	v_cndmask_b32_e32 v3, v6, v5, vcc
	v_cndmask_b32_e32 v1, v1, v4, vcc
	v_lshlrev_b32_e32 v4, 16, v18
	v_lshlrev_b32_e32 v1, 20, v1
	v_and_b32_e32 v4, 0x80000000, v4
	v_lshl_add_u32 v3, v3, 23, v26
	v_or3_b32 v1, v4, v3, v1
.LBB6_175:                              ;   in Loop: Header=BB6_124 Depth=2
	s_or_b64 exec, exec, s[62:63]
.LBB6_176:                              ;   in Loop: Header=BB6_124 Depth=2
	s_or_b64 exec, exec, s[60:61]
.LBB6_177:                              ;   in Loop: Header=BB6_124 Depth=2
	s_or_b64 exec, exec, s[24:25]
	v_max_f32_e32 v1, v1, v1
	v_max_f32_e32 v0, v0, v0
	;; [unrolled: 1-line block ×3, first 2 shown]
	s_branch .LBB6_192
.LBB6_178:                              ;   in Loop: Header=BB6_124 Depth=2
                                        ; implicit-def: $vgpr3
	s_cbranch_execz .LBB6_192
; %bb.179:                              ;   in Loop: Header=BB6_124 Depth=2
	v_mov_b32_e32 v1, 0
	v_mov_b32_e32 v0, 0
	s_and_saveexec_b64 s[24:25], s[22:23]
	s_cbranch_execz .LBB6_185
; %bb.180:                              ;   in Loop: Header=BB6_124 Depth=2
	v_cmp_ne_u16_e32 vcc, s75, v28
	v_bfrev_b32_e32 v0, 1
	s_and_saveexec_b64 s[22:23], vcc
	s_cbranch_execz .LBB6_184
; %bb.181:                              ;   in Loop: Header=BB6_124 Depth=2
	v_and_b32_e32 v3, 0x7f, v28
	v_cmp_ne_u32_e32 vcc, s76, v3
	v_mov_b32_e32 v0, 0x7f800001
	s_and_saveexec_b64 s[60:61], vcc
	s_cbranch_execz .LBB6_183
; %bb.182:                              ;   in Loop: Header=BB6_124 Depth=2
	v_and_b32_e32 v0, 7, v28
	v_ffbh_u32_e32 v4, v0
	v_min_u32_e32 v7, 32, v4
	v_subrev_u32_e32 v4, 28, v7
	v_lshlrev_b64 v[4:5], v4, v[28:29]
	v_lshrrev_b32_e32 v6, 3, v3
	v_sub_u32_e32 v5, 29, v7
	v_and_b32_e32 v4, 7, v4
	v_cmp_gt_u32_e32 vcc, 8, v3
	v_cndmask_b32_e32 v3, v6, v5, vcc
	v_cndmask_b32_e32 v0, v0, v4, vcc
	v_lshlrev_b32_e32 v4, 16, v22
	v_lshlrev_b32_e32 v0, 20, v0
	v_and_b32_e32 v4, 0x80000000, v4
	v_lshl_add_u32 v3, v3, 23, v26
	v_or3_b32 v0, v4, v3, v0
.LBB6_183:                              ;   in Loop: Header=BB6_124 Depth=2
	s_or_b64 exec, exec, s[60:61]
.LBB6_184:                              ;   in Loop: Header=BB6_124 Depth=2
	s_or_b64 exec, exec, s[22:23]
.LBB6_185:                              ;   in Loop: Header=BB6_124 Depth=2
	s_or_b64 exec, exec, s[24:25]
	v_cmp_ne_u16_e32 vcc, 0, v2
	s_and_saveexec_b64 s[22:23], vcc
	s_cbranch_execz .LBB6_191
; %bb.186:                              ;   in Loop: Header=BB6_124 Depth=2
	v_cmp_ne_u16_e32 vcc, s75, v2
	v_bfrev_b32_e32 v1, 1
	s_and_saveexec_b64 s[24:25], vcc
	s_cbranch_execz .LBB6_190
; %bb.187:                              ;   in Loop: Header=BB6_124 Depth=2
	v_and_b32_e32 v3, 0x7f, v2
	v_cmp_ne_u32_e32 vcc, s76, v3
	v_mov_b32_e32 v1, 0x7f800001
	s_and_saveexec_b64 s[60:61], vcc
	s_cbranch_execz .LBB6_189
; %bb.188:                              ;   in Loop: Header=BB6_124 Depth=2
	v_and_b32_e32 v1, 7, v2
	v_ffbh_u32_e32 v4, v1
	v_min_u32_e32 v7, 32, v4
	v_subrev_u32_e32 v4, 28, v7
	v_lshlrev_b64 v[4:5], v4, v[2:3]
	v_lshrrev_b32_e32 v6, 3, v3
	v_sub_u32_e32 v2, 29, v7
	v_and_b32_e32 v4, 7, v4
	v_cmp_gt_u32_e32 vcc, 8, v3
	v_cndmask_b32_e32 v2, v6, v2, vcc
	v_cndmask_b32_e32 v1, v1, v4, vcc
	v_lshlrev_b32_e32 v3, 16, v18
	v_lshlrev_b32_e32 v1, 20, v1
	v_and_b32_e32 v3, 0x80000000, v3
	v_lshl_add_u32 v2, v2, 23, v26
	v_or3_b32 v1, v3, v2, v1
.LBB6_189:                              ;   in Loop: Header=BB6_124 Depth=2
	s_or_b64 exec, exec, s[60:61]
.LBB6_190:                              ;   in Loop: Header=BB6_124 Depth=2
	s_or_b64 exec, exec, s[24:25]
.LBB6_191:                              ;   in Loop: Header=BB6_124 Depth=2
	s_or_b64 exec, exec, s[22:23]
	v_max_f32_e32 v1, v1, v1
	v_max_f32_e32 v0, v0, v0
	v_min_f32_e32 v3, v0, v1
.LBB6_192:                              ;   in Loop: Header=BB6_124 Depth=2
	v_and_b32_sdwa v0, v3, s75 dst_sel:DWORD dst_unused:UNUSED_PAD src0_sel:BYTE_3 src1_sel:DWORD
	v_and_b32_e32 v4, 0x7f800000, v3
	v_mov_b32_e32 v5, v55
	v_and_b32_e32 v54, 0x7fffff, v3
	v_or_b32_e32 v1, 0x7e, v0
	v_cmp_ne_u64_e32 vcc, s[44:45], v[4:5]
	s_and_saveexec_b64 s[22:23], vcc
	s_xor_b64 s[24:25], exec, s[22:23]
	s_cbranch_execz .LBB6_202
; %bb.193:                              ;   in Loop: Header=BB6_124 Depth=2
	v_and_b32_e32 v4, 0x7fffffff, v3
	v_mov_b32_e32 v5, v55
	v_cmp_gt_u64_e32 vcc, s[46:47], v[4:5]
	s_and_saveexec_b64 s[60:61], vcc
	s_cbranch_execz .LBB6_201
; %bb.194:                              ;   in Loop: Header=BB6_124 Depth=2
	v_cmp_ne_u32_e32 vcc, 0, v3
	v_mov_b32_e32 v1, 0
	s_and_saveexec_b64 s[62:63], vcc
	s_cbranch_execz .LBB6_200
; %bb.195:                              ;   in Loop: Header=BB6_124 Depth=2
	v_bfe_u32 v1, v3, 23, 8
	v_sub_u32_e32 v3, 0x79, v1
	v_cmp_gt_u32_e32 vcc, s78, v1
	v_cndmask_b32_e32 v3, 0, v3, vcc
	v_cmp_eq_u32_e32 vcc, 0, v1
	v_add_u32_e32 v2, 0xffffff81, v1
	v_or_b32_e32 v4, 0x800000, v54
	v_cndmask_b32_e32 v5, v3, v32, vcc
	v_cndmask_b32_e32 v1, v2, v33, vcc
	;; [unrolled: 1-line block ×3, first 2 shown]
	v_add_u32_e32 v2, 20, v5
	v_lshlrev_b64 v[2:3], v2, -1
	v_add_u32_e32 v4, 19, v5
	v_lshrrev_b64 v[8:9], v5, v[54:55]
	v_not_b32_e32 v3, v3
	v_not_b32_e32 v2, v2
	v_lshlrev_b64 v[6:7], v4, 1
	v_lshrrev_b32_e32 v4, 23, v8
	v_and_b32_e32 v3, 0, v3
	v_and_b32_e32 v2, v54, v2
	v_add3_u32 v5, v5, v1, v4
	v_bfe_u32 v1, v8, 20, 1
	v_add_u32_e32 v1, -1, v1
	v_cmp_eq_u64_e32 vcc, v[2:3], v[6:7]
	v_cndmask_b32_e32 v1, 0, v1, vcc
	v_add_u32_e32 v1, v1, v8
	v_and_b32_e32 v1, 0xfffff, v1
	v_add_co_u32_e32 v2, vcc, v1, v8
	v_add_u32_e32 v4, 6, v5
	v_addc_co_u32_e32 v3, vcc, 0, v9, vcc
	v_cmp_ne_u32_e32 vcc, 0, v4
                                        ; implicit-def: $vgpr1
	s_and_saveexec_b64 s[22:23], vcc
	s_xor_b64 s[22:23], exec, s[22:23]
; %bb.196:                              ;   in Loop: Header=BB6_124 Depth=2
	v_add_u32_e32 v1, 7, v5
	v_cmp_lt_u64_e32 vcc, s[50:51], v[2:3]
	v_cndmask_b32_e32 v1, v4, v1, vcc
	v_cndmask_b32_e64 v4, 0, 1, vcc
	v_lshrrev_b64 v[2:3], v4, v[2:3]
; %bb.197:                              ;   in Loop: Header=BB6_124 Depth=2
	s_andn2_saveexec_b64 s[22:23], s[22:23]
; %bb.198:                              ;   in Loop: Header=BB6_124 Depth=2
	v_bfe_u32 v1, v2, 23, 1
; %bb.199:                              ;   in Loop: Header=BB6_124 Depth=2
	s_or_b64 exec, exec, s[22:23]
	v_lshrrev_b64 v[2:3], 20, v[2:3]
	v_cmp_gt_i32_e32 vcc, 16, v1
	v_cndmask_b32_e32 v3, 0, v3, vcc
	v_cndmask_b32_e32 v2, 7, v2, vcc
	v_cmp_eq_u32_e32 vcc, 0, v1
	v_min_i32_e32 v1, 15, v1
	v_cmp_eq_u64_e64 s[22:23], 0, v[2:3]
	v_lshlrev_b32_e32 v1, 3, v1
	v_and_or_b32 v1, v2, 7, v1
	s_and_b64 s[22:23], vcc, s[22:23]
	v_cndmask_b32_e64 v1, v1, 0, s[22:23]
	v_or_b32_e32 v1, v1, v0
.LBB6_200:                              ;   in Loop: Header=BB6_124 Depth=2
	s_or_b64 exec, exec, s[62:63]
.LBB6_201:                              ;   in Loop: Header=BB6_124 Depth=2
	s_or_b64 exec, exec, s[60:61]
                                        ; implicit-def: $vgpr3
.LBB6_202:                              ;   in Loop: Header=BB6_124 Depth=2
	s_andn2_saveexec_b64 s[22:23], s[24:25]
; %bb.203:                              ;   in Loop: Header=BB6_124 Depth=2
	v_or_b32_sdwa v0, v3, s76 dst_sel:DWORD dst_unused:UNUSED_PAD src0_sel:BYTE_3 src1_sel:DWORD
	v_cmp_eq_u64_e32 vcc, 0, v[54:55]
	v_cndmask_b32_e32 v1, v0, v1, vcc
; %bb.204:                              ;   in Loop: Header=BB6_124 Depth=2
	s_or_b64 exec, exec, s[22:23]
	v_lshrrev_b32_e32 v28, 16, v22
	v_lshrrev_b32_e32 v2, 16, v18
	v_cmp_ne_u16_sdwa s[22:23], v28, v55 src0_sel:BYTE_0 src1_sel:DWORD
	s_and_b64 vcc, exec, s[58:59]
	s_cbranch_vccz .LBB6_218
; %bb.205:                              ;   in Loop: Header=BB6_124 Depth=2
	v_mov_b32_e32 v3, 0
	v_mov_b32_e32 v0, 0
	s_and_saveexec_b64 s[24:25], s[22:23]
	s_cbranch_execz .LBB6_211
; %bb.206:                              ;   in Loop: Header=BB6_124 Depth=2
	v_cmp_ne_u16_sdwa vcc, v28, s75 src0_sel:BYTE_0 src1_sel:DWORD
	v_bfrev_b32_e32 v0, 1
	s_and_saveexec_b64 s[60:61], vcc
	s_cbranch_execz .LBB6_210
; %bb.207:                              ;   in Loop: Header=BB6_124 Depth=2
	v_bfe_u32 v4, v22, 16, 7
	v_cmp_ne_u32_e32 vcc, s76, v4
	v_mov_b32_e32 v0, 0x7f800001
	s_and_saveexec_b64 s[62:63], vcc
	s_cbranch_execz .LBB6_209
; %bb.208:                              ;   in Loop: Header=BB6_124 Depth=2
	v_and_b32_e32 v0, 7, v28
	v_ffbh_u32_e32 v6, v0
	v_min_u32_e32 v8, 32, v6
	v_subrev_u32_e32 v6, 28, v8
	v_lshlrev_b64 v[6:7], v6, v[28:29]
	v_lshrrev_b32_e32 v5, 3, v4
	v_sub_u32_e32 v7, 29, v8
	v_and_b32_e32 v6, 7, v6
	v_cmp_gt_u32_e32 vcc, 8, v4
	v_cndmask_b32_e32 v4, v5, v7, vcc
	v_cndmask_b32_e32 v0, v0, v6, vcc
	v_lshlrev_b32_e32 v5, 24, v28
	v_lshlrev_b32_e32 v0, 20, v0
	v_and_b32_e32 v5, 0x80000000, v5
	v_lshl_add_u32 v4, v4, 23, v26
	v_or3_b32 v0, v5, v4, v0
.LBB6_209:                              ;   in Loop: Header=BB6_124 Depth=2
	s_or_b64 exec, exec, s[62:63]
.LBB6_210:                              ;   in Loop: Header=BB6_124 Depth=2
	s_or_b64 exec, exec, s[60:61]
.LBB6_211:                              ;   in Loop: Header=BB6_124 Depth=2
	s_or_b64 exec, exec, s[24:25]
	v_cmp_ne_u16_sdwa vcc, v2, v55 src0_sel:BYTE_0 src1_sel:DWORD
	s_and_saveexec_b64 s[24:25], vcc
	s_cbranch_execz .LBB6_217
; %bb.212:                              ;   in Loop: Header=BB6_124 Depth=2
	v_cmp_ne_u16_sdwa vcc, v2, s75 src0_sel:BYTE_0 src1_sel:DWORD
	v_bfrev_b32_e32 v3, 1
	s_and_saveexec_b64 s[60:61], vcc
	s_cbranch_execz .LBB6_216
; %bb.213:                              ;   in Loop: Header=BB6_124 Depth=2
	v_bfe_u32 v4, v18, 16, 7
	v_cmp_ne_u32_e32 vcc, s76, v4
	v_mov_b32_e32 v3, 0x7f800001
	s_and_saveexec_b64 s[62:63], vcc
	s_cbranch_execz .LBB6_215
; %bb.214:                              ;   in Loop: Header=BB6_124 Depth=2
	v_and_b32_e32 v3, 7, v2
	v_ffbh_u32_e32 v6, v3
	v_min_u32_e32 v8, 32, v6
	v_subrev_u32_e32 v6, 28, v8
	v_lshlrev_b64 v[6:7], v6, v[2:3]
	v_lshrrev_b32_e32 v5, 3, v4
	v_sub_u32_e32 v7, 29, v8
	v_and_b32_e32 v6, 7, v6
	v_cmp_gt_u32_e32 vcc, 8, v4
	v_cndmask_b32_e32 v4, v5, v7, vcc
	v_cndmask_b32_e32 v3, v3, v6, vcc
	v_lshlrev_b32_e32 v5, 24, v2
	v_lshlrev_b32_e32 v3, 20, v3
	v_and_b32_e32 v5, 0x80000000, v5
	v_lshl_add_u32 v4, v4, 23, v26
	v_or3_b32 v3, v5, v4, v3
.LBB6_215:                              ;   in Loop: Header=BB6_124 Depth=2
	s_or_b64 exec, exec, s[62:63]
.LBB6_216:                              ;   in Loop: Header=BB6_124 Depth=2
	s_or_b64 exec, exec, s[60:61]
.LBB6_217:                              ;   in Loop: Header=BB6_124 Depth=2
	s_or_b64 exec, exec, s[24:25]
	v_max_f32_e32 v3, v3, v3
	v_max_f32_e32 v0, v0, v0
	;; [unrolled: 1-line block ×3, first 2 shown]
	s_branch .LBB6_232
.LBB6_218:                              ;   in Loop: Header=BB6_124 Depth=2
                                        ; implicit-def: $vgpr3
	s_cbranch_execz .LBB6_232
; %bb.219:                              ;   in Loop: Header=BB6_124 Depth=2
	v_mov_b32_e32 v3, 0
	v_mov_b32_e32 v0, 0
	s_and_saveexec_b64 s[24:25], s[22:23]
	s_cbranch_execz .LBB6_225
; %bb.220:                              ;   in Loop: Header=BB6_124 Depth=2
	v_cmp_ne_u16_sdwa vcc, v28, s75 src0_sel:BYTE_0 src1_sel:DWORD
	v_bfrev_b32_e32 v0, 1
	s_and_saveexec_b64 s[22:23], vcc
	s_cbranch_execz .LBB6_224
; %bb.221:                              ;   in Loop: Header=BB6_124 Depth=2
	v_bfe_u32 v4, v22, 16, 7
	v_cmp_ne_u32_e32 vcc, s76, v4
	v_mov_b32_e32 v0, 0x7f800001
	s_and_saveexec_b64 s[60:61], vcc
	s_cbranch_execz .LBB6_223
; %bb.222:                              ;   in Loop: Header=BB6_124 Depth=2
	v_and_b32_e32 v0, 7, v28
	v_ffbh_u32_e32 v6, v0
	v_min_u32_e32 v8, 32, v6
	v_subrev_u32_e32 v6, 28, v8
	v_lshlrev_b64 v[6:7], v6, v[28:29]
	v_lshrrev_b32_e32 v5, 3, v4
	v_sub_u32_e32 v7, 29, v8
	v_and_b32_e32 v6, 7, v6
	v_cmp_gt_u32_e32 vcc, 8, v4
	v_cndmask_b32_e32 v4, v5, v7, vcc
	v_cndmask_b32_e32 v0, v0, v6, vcc
	v_lshlrev_b32_e32 v5, 24, v28
	v_lshlrev_b32_e32 v0, 20, v0
	v_and_b32_e32 v5, 0x80000000, v5
	v_lshl_add_u32 v4, v4, 23, v26
	v_or3_b32 v0, v5, v4, v0
.LBB6_223:                              ;   in Loop: Header=BB6_124 Depth=2
	s_or_b64 exec, exec, s[60:61]
.LBB6_224:                              ;   in Loop: Header=BB6_124 Depth=2
	s_or_b64 exec, exec, s[22:23]
.LBB6_225:                              ;   in Loop: Header=BB6_124 Depth=2
	s_or_b64 exec, exec, s[24:25]
	v_cmp_ne_u16_sdwa s[24:25], v2, v55 src0_sel:BYTE_0 src1_sel:DWORD
	s_and_saveexec_b64 s[22:23], s[24:25]
	s_cbranch_execz .LBB6_231
; %bb.226:                              ;   in Loop: Header=BB6_124 Depth=2
	v_cmp_ne_u16_sdwa vcc, v2, s75 src0_sel:BYTE_0 src1_sel:DWORD
	v_bfrev_b32_e32 v3, 1
	s_and_saveexec_b64 s[24:25], vcc
	s_cbranch_execz .LBB6_230
; %bb.227:                              ;   in Loop: Header=BB6_124 Depth=2
	v_bfe_u32 v4, v18, 16, 7
	v_cmp_ne_u32_e32 vcc, s76, v4
	v_mov_b32_e32 v3, 0x7f800001
	s_and_saveexec_b64 s[60:61], vcc
	s_cbranch_execz .LBB6_229
; %bb.228:                              ;   in Loop: Header=BB6_124 Depth=2
	v_and_b32_e32 v3, 7, v2
	v_ffbh_u32_e32 v6, v3
	v_min_u32_e32 v8, 32, v6
	v_subrev_u32_e32 v6, 28, v8
	v_lshlrev_b64 v[6:7], v6, v[2:3]
	v_lshrrev_b32_e32 v5, 3, v4
	v_sub_u32_e32 v7, 29, v8
	v_and_b32_e32 v6, 7, v6
	v_cmp_gt_u32_e32 vcc, 8, v4
	v_cndmask_b32_e32 v4, v5, v7, vcc
	v_cndmask_b32_e32 v3, v3, v6, vcc
	v_lshlrev_b32_e32 v2, 24, v2
	v_lshlrev_b32_e32 v3, 20, v3
	v_and_b32_e32 v2, 0x80000000, v2
	v_lshl_add_u32 v4, v4, 23, v26
	v_or3_b32 v3, v2, v4, v3
.LBB6_229:                              ;   in Loop: Header=BB6_124 Depth=2
	s_or_b64 exec, exec, s[60:61]
.LBB6_230:                              ;   in Loop: Header=BB6_124 Depth=2
	s_or_b64 exec, exec, s[24:25]
.LBB6_231:                              ;   in Loop: Header=BB6_124 Depth=2
	s_or_b64 exec, exec, s[22:23]
	v_max_f32_e32 v2, v3, v3
	v_max_f32_e32 v0, v0, v0
	v_min_f32_e32 v3, v0, v2
.LBB6_232:                              ;   in Loop: Header=BB6_124 Depth=2
	v_and_b32_sdwa v0, v3, s75 dst_sel:DWORD dst_unused:UNUSED_PAD src0_sel:BYTE_3 src1_sel:DWORD
	v_and_b32_e32 v4, 0x7f800000, v3
	v_mov_b32_e32 v5, v55
	v_and_b32_e32 v54, 0x7fffff, v3
	v_or_b32_e32 v43, 0x7e, v0
	v_cmp_ne_u64_e32 vcc, s[44:45], v[4:5]
	s_and_saveexec_b64 s[22:23], vcc
	s_xor_b64 s[24:25], exec, s[22:23]
	s_cbranch_execz .LBB6_242
; %bb.233:                              ;   in Loop: Header=BB6_124 Depth=2
	v_and_b32_e32 v4, 0x7fffffff, v3
	v_mov_b32_e32 v5, v55
	v_cmp_gt_u64_e32 vcc, s[46:47], v[4:5]
	s_and_saveexec_b64 s[60:61], vcc
	s_cbranch_execz .LBB6_241
; %bb.234:                              ;   in Loop: Header=BB6_124 Depth=2
	v_cmp_ne_u32_e32 vcc, 0, v3
	v_mov_b32_e32 v43, 0
	s_and_saveexec_b64 s[62:63], vcc
	s_cbranch_execz .LBB6_240
; %bb.235:                              ;   in Loop: Header=BB6_124 Depth=2
	v_bfe_u32 v2, v3, 23, 8
	v_sub_u32_e32 v4, 0x79, v2
	v_cmp_gt_u32_e32 vcc, s78, v2
	v_cndmask_b32_e32 v4, 0, v4, vcc
	v_cmp_eq_u32_e32 vcc, 0, v2
	v_or_b32_e32 v5, 0x800000, v54
	v_cndmask_b32_e32 v4, v4, v32, vcc
	v_add_u32_e32 v3, 0xffffff81, v2
	v_cndmask_b32_e32 v54, v5, v54, vcc
	v_add_u32_e32 v2, 20, v4
	v_cndmask_b32_e32 v27, v3, v33, vcc
	v_lshlrev_b64 v[2:3], v2, -1
	v_add_u32_e32 v5, 19, v4
	v_lshrrev_b64 v[8:9], v4, v[54:55]
	v_not_b32_e32 v3, v3
	v_not_b32_e32 v2, v2
	v_lshlrev_b64 v[6:7], v5, 1
	v_lshrrev_b32_e32 v5, 23, v8
	v_and_b32_e32 v3, 0, v3
	v_and_b32_e32 v2, v54, v2
	v_add3_u32 v27, v4, v27, v5
	v_bfe_u32 v4, v8, 20, 1
	v_add_u32_e32 v4, -1, v4
	v_cmp_eq_u64_e32 vcc, v[2:3], v[6:7]
	v_cndmask_b32_e32 v2, 0, v4, vcc
	v_add_u32_e32 v2, v2, v8
	v_and_b32_e32 v2, 0xfffff, v2
	v_add_co_u32_e32 v2, vcc, v2, v8
	v_add_u32_e32 v5, 6, v27
	v_addc_co_u32_e32 v3, vcc, 0, v9, vcc
	v_cmp_ne_u32_e32 vcc, 0, v5
                                        ; implicit-def: $vgpr4
	s_and_saveexec_b64 s[22:23], vcc
	s_xor_b64 s[22:23], exec, s[22:23]
; %bb.236:                              ;   in Loop: Header=BB6_124 Depth=2
	v_add_u32_e32 v4, 7, v27
	v_cmp_lt_u64_e32 vcc, s[50:51], v[2:3]
	v_cndmask_b32_e32 v4, v5, v4, vcc
	v_cndmask_b32_e64 v5, 0, 1, vcc
	v_lshrrev_b64 v[2:3], v5, v[2:3]
; %bb.237:                              ;   in Loop: Header=BB6_124 Depth=2
	s_andn2_saveexec_b64 s[22:23], s[22:23]
; %bb.238:                              ;   in Loop: Header=BB6_124 Depth=2
	v_bfe_u32 v4, v2, 23, 1
; %bb.239:                              ;   in Loop: Header=BB6_124 Depth=2
	s_or_b64 exec, exec, s[22:23]
	v_lshrrev_b64 v[2:3], 20, v[2:3]
	v_cmp_gt_i32_e32 vcc, 16, v4
	v_cndmask_b32_e32 v3, 0, v3, vcc
	v_cndmask_b32_e32 v2, 7, v2, vcc
	v_cmp_eq_u64_e64 s[22:23], 0, v[2:3]
	v_min_i32_e32 v3, 15, v4
	v_cmp_eq_u32_e32 vcc, 0, v4
	v_lshlrev_b32_e32 v3, 3, v3
	v_and_or_b32 v2, v2, 7, v3
	s_and_b64 s[22:23], vcc, s[22:23]
	v_cndmask_b32_e64 v2, v2, 0, s[22:23]
	v_or_b32_e32 v43, v2, v0
.LBB6_240:                              ;   in Loop: Header=BB6_124 Depth=2
	s_or_b64 exec, exec, s[62:63]
.LBB6_241:                              ;   in Loop: Header=BB6_124 Depth=2
	s_or_b64 exec, exec, s[60:61]
                                        ; implicit-def: $vgpr3
.LBB6_242:                              ;   in Loop: Header=BB6_124 Depth=2
	s_andn2_saveexec_b64 s[22:23], s[24:25]
; %bb.243:                              ;   in Loop: Header=BB6_124 Depth=2
	v_or_b32_sdwa v0, v3, s76 dst_sel:DWORD dst_unused:UNUSED_PAD src0_sel:BYTE_3 src1_sel:DWORD
	v_cmp_eq_u64_e32 vcc, 0, v[54:55]
	v_cndmask_b32_e32 v43, v0, v43, vcc
; %bb.244:                              ;   in Loop: Header=BB6_124 Depth=2
	s_or_b64 exec, exec, s[22:23]
	v_lshrrev_b32_e32 v28, 24, v22
	v_lshrrev_b32_e32 v2, 24, v18
	v_cmp_lt_u32_e64 s[22:23], s49, v22
	s_and_b64 vcc, exec, s[58:59]
	s_cbranch_vccz .LBB6_258
; %bb.245:                              ;   in Loop: Header=BB6_124 Depth=2
	v_mov_b32_e32 v3, 0
	v_mov_b32_e32 v0, 0
	s_and_saveexec_b64 s[24:25], s[22:23]
	s_cbranch_execz .LBB6_251
; %bb.246:                              ;   in Loop: Header=BB6_124 Depth=2
	v_cmp_ne_u32_e32 vcc, s75, v28
	v_bfrev_b32_e32 v0, 1
	s_and_saveexec_b64 s[60:61], vcc
	s_cbranch_execz .LBB6_250
; %bb.247:                              ;   in Loop: Header=BB6_124 Depth=2
	v_bfe_u32 v4, v22, 24, 7
	v_cmp_ne_u32_e32 vcc, s76, v4
	v_mov_b32_e32 v0, 0x7f800001
	s_and_saveexec_b64 s[62:63], vcc
	s_cbranch_execz .LBB6_249
; %bb.248:                              ;   in Loop: Header=BB6_124 Depth=2
	v_and_b32_e32 v0, 7, v28
	v_ffbh_u32_e32 v6, v0
	v_min_u32_e32 v8, 32, v6
	v_subrev_u32_e32 v6, 28, v8
	v_lshlrev_b64 v[6:7], v6, v[28:29]
	v_lshrrev_b32_e32 v5, 3, v4
	v_sub_u32_e32 v7, 29, v8
	v_and_b32_e32 v6, 7, v6
	v_cmp_gt_u32_e32 vcc, 8, v4
	v_cndmask_b32_e32 v4, v5, v7, vcc
	v_cndmask_b32_e32 v0, v0, v6, vcc
	v_lshlrev_b32_e32 v5, 24, v28
	v_lshlrev_b32_e32 v0, 20, v0
	v_and_b32_e32 v5, 0x80000000, v5
	v_lshl_add_u32 v4, v4, 23, v26
	v_or3_b32 v0, v5, v4, v0
.LBB6_249:                              ;   in Loop: Header=BB6_124 Depth=2
	s_or_b64 exec, exec, s[62:63]
.LBB6_250:                              ;   in Loop: Header=BB6_124 Depth=2
	s_or_b64 exec, exec, s[60:61]
.LBB6_251:                              ;   in Loop: Header=BB6_124 Depth=2
	s_or_b64 exec, exec, s[24:25]
	v_cmp_lt_u32_e32 vcc, s49, v18
	s_and_saveexec_b64 s[24:25], vcc
	s_cbranch_execz .LBB6_257
; %bb.252:                              ;   in Loop: Header=BB6_124 Depth=2
	v_cmp_ne_u32_e32 vcc, s75, v2
	v_bfrev_b32_e32 v3, 1
	s_and_saveexec_b64 s[60:61], vcc
	s_cbranch_execz .LBB6_256
; %bb.253:                              ;   in Loop: Header=BB6_124 Depth=2
	v_bfe_u32 v4, v18, 24, 7
	v_cmp_ne_u32_e32 vcc, s76, v4
	v_mov_b32_e32 v3, 0x7f800001
	s_and_saveexec_b64 s[62:63], vcc
	s_cbranch_execz .LBB6_255
; %bb.254:                              ;   in Loop: Header=BB6_124 Depth=2
	v_and_b32_e32 v3, 7, v2
	v_ffbh_u32_e32 v6, v3
	v_min_u32_e32 v8, 32, v6
	v_subrev_u32_e32 v6, 28, v8
	v_lshlrev_b64 v[6:7], v6, v[2:3]
	v_lshrrev_b32_e32 v5, 3, v4
	v_sub_u32_e32 v7, 29, v8
	v_and_b32_e32 v6, 7, v6
	v_cmp_gt_u32_e32 vcc, 8, v4
	v_cndmask_b32_e32 v4, v5, v7, vcc
	v_cndmask_b32_e32 v3, v3, v6, vcc
	v_lshlrev_b32_e32 v5, 24, v2
	v_lshlrev_b32_e32 v3, 20, v3
	v_and_b32_e32 v5, 0x80000000, v5
	v_lshl_add_u32 v4, v4, 23, v26
	v_or3_b32 v3, v5, v4, v3
.LBB6_255:                              ;   in Loop: Header=BB6_124 Depth=2
	s_or_b64 exec, exec, s[62:63]
.LBB6_256:                              ;   in Loop: Header=BB6_124 Depth=2
	s_or_b64 exec, exec, s[60:61]
.LBB6_257:                              ;   in Loop: Header=BB6_124 Depth=2
	s_or_b64 exec, exec, s[24:25]
	v_max_f32_e32 v3, v3, v3
	v_max_f32_e32 v0, v0, v0
	;; [unrolled: 1-line block ×3, first 2 shown]
	s_branch .LBB6_272
.LBB6_258:                              ;   in Loop: Header=BB6_124 Depth=2
                                        ; implicit-def: $vgpr3
	s_cbranch_execz .LBB6_272
; %bb.259:                              ;   in Loop: Header=BB6_124 Depth=2
	v_mov_b32_e32 v3, 0
	v_mov_b32_e32 v0, 0
	s_and_saveexec_b64 s[24:25], s[22:23]
	s_cbranch_execz .LBB6_265
; %bb.260:                              ;   in Loop: Header=BB6_124 Depth=2
	v_cmp_ne_u32_e32 vcc, s75, v28
	v_bfrev_b32_e32 v0, 1
	s_and_saveexec_b64 s[22:23], vcc
	s_cbranch_execz .LBB6_264
; %bb.261:                              ;   in Loop: Header=BB6_124 Depth=2
	v_bfe_u32 v4, v22, 24, 7
	v_cmp_ne_u32_e32 vcc, s76, v4
	v_mov_b32_e32 v0, 0x7f800001
	s_and_saveexec_b64 s[60:61], vcc
	s_cbranch_execz .LBB6_263
; %bb.262:                              ;   in Loop: Header=BB6_124 Depth=2
	v_and_b32_e32 v0, 7, v28
	v_ffbh_u32_e32 v6, v0
	v_min_u32_e32 v8, 32, v6
	v_subrev_u32_e32 v6, 28, v8
	v_lshlrev_b64 v[6:7], v6, v[28:29]
	v_lshrrev_b32_e32 v5, 3, v4
	v_sub_u32_e32 v7, 29, v8
	v_and_b32_e32 v6, 7, v6
	v_cmp_gt_u32_e32 vcc, 8, v4
	v_cndmask_b32_e32 v4, v5, v7, vcc
	v_cndmask_b32_e32 v0, v0, v6, vcc
	v_lshlrev_b32_e32 v5, 24, v28
	v_lshlrev_b32_e32 v0, 20, v0
	v_and_b32_e32 v5, 0x80000000, v5
	v_lshl_add_u32 v4, v4, 23, v26
	v_or3_b32 v0, v5, v4, v0
.LBB6_263:                              ;   in Loop: Header=BB6_124 Depth=2
	s_or_b64 exec, exec, s[60:61]
.LBB6_264:                              ;   in Loop: Header=BB6_124 Depth=2
	s_or_b64 exec, exec, s[22:23]
.LBB6_265:                              ;   in Loop: Header=BB6_124 Depth=2
	s_or_b64 exec, exec, s[24:25]
	v_cmp_lt_u32_e32 vcc, s49, v18
	s_and_saveexec_b64 s[22:23], vcc
	s_cbranch_execz .LBB6_271
; %bb.266:                              ;   in Loop: Header=BB6_124 Depth=2
	v_cmp_ne_u32_e32 vcc, s75, v2
	v_bfrev_b32_e32 v3, 1
	s_and_saveexec_b64 s[24:25], vcc
	s_cbranch_execz .LBB6_270
; %bb.267:                              ;   in Loop: Header=BB6_124 Depth=2
	v_bfe_u32 v4, v18, 24, 7
	v_cmp_ne_u32_e32 vcc, s76, v4
	v_mov_b32_e32 v3, 0x7f800001
	s_and_saveexec_b64 s[60:61], vcc
	s_cbranch_execz .LBB6_269
; %bb.268:                              ;   in Loop: Header=BB6_124 Depth=2
	v_and_b32_e32 v3, 7, v2
	v_ffbh_u32_e32 v6, v3
	v_min_u32_e32 v8, 32, v6
	v_subrev_u32_e32 v6, 28, v8
	v_lshlrev_b64 v[6:7], v6, v[2:3]
	v_lshrrev_b32_e32 v5, 3, v4
	v_sub_u32_e32 v7, 29, v8
	v_and_b32_e32 v6, 7, v6
	v_cmp_gt_u32_e32 vcc, 8, v4
	v_cndmask_b32_e32 v4, v5, v7, vcc
	v_cndmask_b32_e32 v3, v3, v6, vcc
	v_lshlrev_b32_e32 v2, 24, v2
	v_lshlrev_b32_e32 v3, 20, v3
	v_and_b32_e32 v2, 0x80000000, v2
	v_lshl_add_u32 v4, v4, 23, v26
	v_or3_b32 v3, v2, v4, v3
.LBB6_269:                              ;   in Loop: Header=BB6_124 Depth=2
	s_or_b64 exec, exec, s[60:61]
.LBB6_270:                              ;   in Loop: Header=BB6_124 Depth=2
	s_or_b64 exec, exec, s[24:25]
.LBB6_271:                              ;   in Loop: Header=BB6_124 Depth=2
	s_or_b64 exec, exec, s[22:23]
	v_max_f32_e32 v2, v3, v3
	v_max_f32_e32 v0, v0, v0
	v_min_f32_e32 v3, v0, v2
.LBB6_272:                              ;   in Loop: Header=BB6_124 Depth=2
	v_and_b32_sdwa v0, v3, s75 dst_sel:DWORD dst_unused:UNUSED_PAD src0_sel:BYTE_3 src1_sel:DWORD
	v_and_b32_e32 v4, 0x7f800000, v3
	v_mov_b32_e32 v5, v55
	v_and_b32_e32 v54, 0x7fffff, v3
	v_or_b32_e32 v34, 0x7e, v0
	v_cmp_ne_u64_e32 vcc, s[44:45], v[4:5]
	s_and_saveexec_b64 s[22:23], vcc
	s_xor_b64 s[24:25], exec, s[22:23]
	s_cbranch_execz .LBB6_282
; %bb.273:                              ;   in Loop: Header=BB6_124 Depth=2
	v_and_b32_e32 v4, 0x7fffffff, v3
	v_mov_b32_e32 v5, v55
	v_cmp_gt_u64_e32 vcc, s[46:47], v[4:5]
	s_and_saveexec_b64 s[60:61], vcc
	s_cbranch_execz .LBB6_281
; %bb.274:                              ;   in Loop: Header=BB6_124 Depth=2
	v_cmp_ne_u32_e32 vcc, 0, v3
	v_mov_b32_e32 v34, 0
	s_and_saveexec_b64 s[62:63], vcc
	s_cbranch_execz .LBB6_280
; %bb.275:                              ;   in Loop: Header=BB6_124 Depth=2
	v_bfe_u32 v2, v3, 23, 8
	v_sub_u32_e32 v4, 0x79, v2
	v_cmp_gt_u32_e32 vcc, s78, v2
	v_cndmask_b32_e32 v4, 0, v4, vcc
	v_cmp_eq_u32_e32 vcc, 0, v2
	v_or_b32_e32 v5, 0x800000, v54
	v_cndmask_b32_e32 v4, v4, v32, vcc
	v_add_u32_e32 v3, 0xffffff81, v2
	v_cndmask_b32_e32 v54, v5, v54, vcc
	v_add_u32_e32 v2, 20, v4
	v_cndmask_b32_e32 v27, v3, v33, vcc
	v_lshlrev_b64 v[2:3], v2, -1
	v_add_u32_e32 v5, 19, v4
	v_lshrrev_b64 v[8:9], v4, v[54:55]
	v_not_b32_e32 v3, v3
	v_not_b32_e32 v2, v2
	v_lshlrev_b64 v[6:7], v5, 1
	v_lshrrev_b32_e32 v5, 23, v8
	v_and_b32_e32 v3, 0, v3
	v_and_b32_e32 v2, v54, v2
	v_add3_u32 v27, v4, v27, v5
	v_bfe_u32 v4, v8, 20, 1
	v_add_u32_e32 v4, -1, v4
	v_cmp_eq_u64_e32 vcc, v[2:3], v[6:7]
	v_cndmask_b32_e32 v2, 0, v4, vcc
	v_add_u32_e32 v2, v2, v8
	v_and_b32_e32 v2, 0xfffff, v2
	v_add_co_u32_e32 v2, vcc, v2, v8
	v_add_u32_e32 v5, 6, v27
	v_addc_co_u32_e32 v3, vcc, 0, v9, vcc
	v_cmp_ne_u32_e32 vcc, 0, v5
                                        ; implicit-def: $vgpr4
	s_and_saveexec_b64 s[22:23], vcc
	s_xor_b64 s[22:23], exec, s[22:23]
; %bb.276:                              ;   in Loop: Header=BB6_124 Depth=2
	v_add_u32_e32 v4, 7, v27
	v_cmp_lt_u64_e32 vcc, s[50:51], v[2:3]
	v_cndmask_b32_e32 v4, v5, v4, vcc
	v_cndmask_b32_e64 v5, 0, 1, vcc
	v_lshrrev_b64 v[2:3], v5, v[2:3]
; %bb.277:                              ;   in Loop: Header=BB6_124 Depth=2
	s_andn2_saveexec_b64 s[22:23], s[22:23]
; %bb.278:                              ;   in Loop: Header=BB6_124 Depth=2
	v_bfe_u32 v4, v2, 23, 1
; %bb.279:                              ;   in Loop: Header=BB6_124 Depth=2
	s_or_b64 exec, exec, s[22:23]
	v_lshrrev_b64 v[2:3], 20, v[2:3]
	v_cmp_gt_i32_e32 vcc, 16, v4
	v_cndmask_b32_e32 v3, 0, v3, vcc
	v_cndmask_b32_e32 v2, 7, v2, vcc
	v_cmp_eq_u64_e64 s[22:23], 0, v[2:3]
	v_min_i32_e32 v3, 15, v4
	v_cmp_eq_u32_e32 vcc, 0, v4
	v_lshlrev_b32_e32 v3, 3, v3
	v_and_or_b32 v2, v2, 7, v3
	s_and_b64 s[22:23], vcc, s[22:23]
	v_cndmask_b32_e64 v2, v2, 0, s[22:23]
	v_or_b32_e32 v34, v2, v0
.LBB6_280:                              ;   in Loop: Header=BB6_124 Depth=2
	s_or_b64 exec, exec, s[62:63]
.LBB6_281:                              ;   in Loop: Header=BB6_124 Depth=2
	s_or_b64 exec, exec, s[60:61]
                                        ; implicit-def: $vgpr3
.LBB6_282:                              ;   in Loop: Header=BB6_124 Depth=2
	s_andn2_saveexec_b64 s[22:23], s[24:25]
; %bb.283:                              ;   in Loop: Header=BB6_124 Depth=2
	v_or_b32_sdwa v0, v3, s76 dst_sel:DWORD dst_unused:UNUSED_PAD src0_sel:BYTE_3 src1_sel:DWORD
	v_cmp_eq_u64_e32 vcc, 0, v[54:55]
	v_cndmask_b32_e32 v34, v0, v34, vcc
; %bb.284:                              ;   in Loop: Header=BB6_124 Depth=2
	s_or_b64 exec, exec, s[22:23]
	v_mov_b32_e32 v54, v23
	v_mov_b32_e32 v2, v19
	;; [unrolled: 1-line block ×3, first 2 shown]
	v_cmp_ne_u16_sdwa s[22:23], v23, v55 src0_sel:BYTE_0 src1_sel:DWORD
	s_and_b64 vcc, exec, s[58:59]
	s_cbranch_vccz .LBB6_298
; %bb.285:                              ;   in Loop: Header=BB6_124 Depth=2
	v_mov_b32_e32 v4, 0
	v_mov_b32_e32 v0, 0
	s_and_saveexec_b64 s[24:25], s[22:23]
	s_cbranch_execz .LBB6_291
; %bb.286:                              ;   in Loop: Header=BB6_124 Depth=2
	v_cmp_ne_u16_sdwa vcc, v23, s75 src0_sel:BYTE_0 src1_sel:DWORD
	v_bfrev_b32_e32 v0, 1
	s_and_saveexec_b64 s[60:61], vcc
	s_cbranch_execz .LBB6_290
; %bb.287:                              ;   in Loop: Header=BB6_124 Depth=2
	v_and_b32_e32 v5, 0x7f, v23
	v_cmp_ne_u32_e32 vcc, s76, v5
	v_mov_b32_e32 v0, 0x7f800001
	s_and_saveexec_b64 s[62:63], vcc
	s_cbranch_execz .LBB6_289
; %bb.288:                              ;   in Loop: Header=BB6_124 Depth=2
	v_and_b32_e32 v0, 7, v23
	v_ffbh_u32_e32 v0, v0
	v_min_u32_e32 v0, 32, v0
	v_subrev_u32_e32 v7, 28, v0
	v_cmp_gt_u32_e32 vcc, 8, v5
	v_lshrrev_b32_e32 v6, 3, v5
	v_sub_u32_e32 v0, 29, v0
	v_cndmask_b32_e32 v5, 0, v7, vcc
	v_cndmask_b32_e32 v0, v6, v0, vcc
	v_lshlrev_b64 v[6:7], v5, v[54:55]
	v_lshlrev_b32_e32 v5, 20, v6
	v_lshlrev_b32_e32 v6, 24, v54
	v_and_b32_e32 v5, 0x700000, v5
	v_and_b32_e32 v6, 0x80000000, v6
	v_lshl_add_u32 v0, v0, 23, v26
	v_or3_b32 v0, v6, v0, v5
.LBB6_289:                              ;   in Loop: Header=BB6_124 Depth=2
	s_or_b64 exec, exec, s[62:63]
.LBB6_290:                              ;   in Loop: Header=BB6_124 Depth=2
	s_or_b64 exec, exec, s[60:61]
.LBB6_291:                              ;   in Loop: Header=BB6_124 Depth=2
	s_or_b64 exec, exec, s[24:25]
	v_cmp_ne_u16_sdwa vcc, v19, v55 src0_sel:BYTE_0 src1_sel:DWORD
	s_and_saveexec_b64 s[24:25], vcc
	s_cbranch_execz .LBB6_297
; %bb.292:                              ;   in Loop: Header=BB6_124 Depth=2
	v_cmp_ne_u16_sdwa vcc, v19, s75 src0_sel:BYTE_0 src1_sel:DWORD
	v_bfrev_b32_e32 v4, 1
	s_and_saveexec_b64 s[60:61], vcc
	s_cbranch_execz .LBB6_296
; %bb.293:                              ;   in Loop: Header=BB6_124 Depth=2
	v_and_b32_e32 v5, 0x7f, v19
	v_cmp_ne_u32_e32 vcc, s76, v5
	v_mov_b32_e32 v4, 0x7f800001
	s_and_saveexec_b64 s[62:63], vcc
	s_cbranch_execz .LBB6_295
; %bb.294:                              ;   in Loop: Header=BB6_124 Depth=2
	v_and_b32_e32 v4, 7, v19
	v_ffbh_u32_e32 v4, v4
	v_min_u32_e32 v4, 32, v4
	v_lshrrev_b32_e32 v6, 3, v5
	v_subrev_u32_e32 v7, 28, v4
	v_sub_u32_e32 v4, 29, v4
	v_cmp_gt_u32_e32 vcc, 8, v5
	v_cndmask_b32_e32 v6, v6, v4, vcc
	v_cndmask_b32_e32 v4, 0, v7, vcc
	v_lshlrev_b64 v[4:5], v4, v[2:3]
	v_lshlrev_b32_e32 v4, 20, v4
	v_lshlrev_b32_e32 v5, 24, v2
	v_and_b32_e32 v4, 0x700000, v4
	v_and_b32_e32 v5, 0x80000000, v5
	v_lshl_add_u32 v6, v6, 23, v26
	v_or3_b32 v4, v5, v6, v4
.LBB6_295:                              ;   in Loop: Header=BB6_124 Depth=2
	s_or_b64 exec, exec, s[62:63]
.LBB6_296:                              ;   in Loop: Header=BB6_124 Depth=2
	s_or_b64 exec, exec, s[60:61]
.LBB6_297:                              ;   in Loop: Header=BB6_124 Depth=2
	s_or_b64 exec, exec, s[24:25]
	v_max_f32_e32 v4, v4, v4
	v_max_f32_e32 v0, v0, v0
	;; [unrolled: 1-line block ×3, first 2 shown]
	s_branch .LBB6_312
.LBB6_298:                              ;   in Loop: Header=BB6_124 Depth=2
                                        ; implicit-def: $vgpr4
	s_cbranch_execz .LBB6_312
; %bb.299:                              ;   in Loop: Header=BB6_124 Depth=2
	v_mov_b32_e32 v4, 0
	v_mov_b32_e32 v0, 0
	s_and_saveexec_b64 s[24:25], s[22:23]
	s_cbranch_execz .LBB6_305
; %bb.300:                              ;   in Loop: Header=BB6_124 Depth=2
	v_cmp_ne_u16_sdwa vcc, v23, s75 src0_sel:BYTE_0 src1_sel:DWORD
	v_bfrev_b32_e32 v0, 1
	s_and_saveexec_b64 s[22:23], vcc
	s_cbranch_execz .LBB6_304
; %bb.301:                              ;   in Loop: Header=BB6_124 Depth=2
	v_and_b32_e32 v5, 0x7f, v23
	v_cmp_ne_u32_e32 vcc, s76, v5
	v_mov_b32_e32 v0, 0x7f800001
	s_and_saveexec_b64 s[60:61], vcc
	s_cbranch_execz .LBB6_303
; %bb.302:                              ;   in Loop: Header=BB6_124 Depth=2
	v_and_b32_e32 v0, 7, v23
	v_ffbh_u32_e32 v0, v0
	v_min_u32_e32 v0, 32, v0
	v_subrev_u32_e32 v7, 28, v0
	v_cmp_gt_u32_e32 vcc, 8, v5
	v_lshrrev_b32_e32 v6, 3, v5
	v_sub_u32_e32 v0, 29, v0
	v_cndmask_b32_e32 v5, 0, v7, vcc
	v_cndmask_b32_e32 v0, v6, v0, vcc
	v_lshlrev_b64 v[6:7], v5, v[54:55]
	v_lshlrev_b32_e32 v5, 20, v6
	v_lshlrev_b32_e32 v6, 24, v54
	v_and_b32_e32 v5, 0x700000, v5
	v_and_b32_e32 v6, 0x80000000, v6
	v_lshl_add_u32 v0, v0, 23, v26
	v_or3_b32 v0, v6, v0, v5
.LBB6_303:                              ;   in Loop: Header=BB6_124 Depth=2
	s_or_b64 exec, exec, s[60:61]
.LBB6_304:                              ;   in Loop: Header=BB6_124 Depth=2
	s_or_b64 exec, exec, s[22:23]
.LBB6_305:                              ;   in Loop: Header=BB6_124 Depth=2
	s_or_b64 exec, exec, s[24:25]
	v_cmp_ne_u16_sdwa s[24:25], v19, v55 src0_sel:BYTE_0 src1_sel:DWORD
	s_and_saveexec_b64 s[22:23], s[24:25]
	s_cbranch_execz .LBB6_311
; %bb.306:                              ;   in Loop: Header=BB6_124 Depth=2
	v_cmp_ne_u16_sdwa vcc, v19, s75 src0_sel:BYTE_0 src1_sel:DWORD
	v_bfrev_b32_e32 v4, 1
	s_and_saveexec_b64 s[24:25], vcc
	s_cbranch_execz .LBB6_310
; %bb.307:                              ;   in Loop: Header=BB6_124 Depth=2
	v_and_b32_e32 v5, 0x7f, v19
	v_cmp_ne_u32_e32 vcc, s76, v5
	v_mov_b32_e32 v4, 0x7f800001
	s_and_saveexec_b64 s[60:61], vcc
	s_cbranch_execz .LBB6_309
; %bb.308:                              ;   in Loop: Header=BB6_124 Depth=2
	v_and_b32_e32 v4, 7, v19
	v_ffbh_u32_e32 v4, v4
	v_min_u32_e32 v4, 32, v4
	v_lshrrev_b32_e32 v6, 3, v5
	v_subrev_u32_e32 v7, 28, v4
	v_sub_u32_e32 v4, 29, v4
	v_cmp_gt_u32_e32 vcc, 8, v5
	v_cndmask_b32_e32 v6, v6, v4, vcc
	v_cndmask_b32_e32 v4, 0, v7, vcc
	v_lshlrev_b64 v[4:5], v4, v[2:3]
	v_lshlrev_b32_e32 v3, 20, v4
	v_lshlrev_b32_e32 v4, 24, v2
	v_and_b32_e32 v3, 0x700000, v3
	v_and_b32_e32 v4, 0x80000000, v4
	v_lshl_add_u32 v5, v6, 23, v26
	v_or3_b32 v4, v4, v5, v3
.LBB6_309:                              ;   in Loop: Header=BB6_124 Depth=2
	s_or_b64 exec, exec, s[60:61]
.LBB6_310:                              ;   in Loop: Header=BB6_124 Depth=2
	s_or_b64 exec, exec, s[24:25]
.LBB6_311:                              ;   in Loop: Header=BB6_124 Depth=2
	s_or_b64 exec, exec, s[22:23]
	v_max_f32_e32 v3, v4, v4
	v_max_f32_e32 v0, v0, v0
	v_min_f32_e32 v4, v0, v3
.LBB6_312:                              ;   in Loop: Header=BB6_124 Depth=2
	v_and_b32_sdwa v0, v4, s75 dst_sel:DWORD dst_unused:UNUSED_PAD src0_sel:BYTE_3 src1_sel:DWORD
	v_and_b32_e32 v6, 0x7f800000, v4
	v_mov_b32_e32 v7, v55
	v_and_b32_e32 v30, 0x7fffff, v4
	v_mov_b32_e32 v31, v55
	v_or_b32_e32 v35, 0x7e, v0
	v_cmp_ne_u64_e32 vcc, s[44:45], v[6:7]
	s_and_saveexec_b64 s[22:23], vcc
	s_xor_b64 s[24:25], exec, s[22:23]
	s_cbranch_execz .LBB6_322
; %bb.313:                              ;   in Loop: Header=BB6_124 Depth=2
	v_and_b32_e32 v6, 0x7fffffff, v4
	v_mov_b32_e32 v7, v55
	v_cmp_gt_u64_e32 vcc, s[46:47], v[6:7]
	s_and_saveexec_b64 s[60:61], vcc
	s_cbranch_execz .LBB6_321
; %bb.314:                              ;   in Loop: Header=BB6_124 Depth=2
	v_cmp_ne_u32_e32 vcc, 0, v4
	v_mov_b32_e32 v35, 0
	s_and_saveexec_b64 s[62:63], vcc
	s_cbranch_execz .LBB6_320
; %bb.315:                              ;   in Loop: Header=BB6_124 Depth=2
	v_bfe_u32 v3, v4, 23, 8
	v_sub_u32_e32 v5, 0x79, v3
	v_cmp_gt_u32_e32 vcc, s78, v3
	v_cndmask_b32_e32 v5, 0, v5, vcc
	v_cmp_eq_u32_e32 vcc, 0, v3
	v_add_u32_e32 v4, 0xffffff81, v3
	v_cndmask_b32_e32 v27, v5, v32, vcc
	v_cndmask_b32_e32 v3, v4, v33, vcc
	v_add_u32_e32 v4, 20, v27
	v_or_b32_e32 v6, 0x800000, v30
	v_lshlrev_b64 v[4:5], v4, -1
	v_cndmask_b32_e32 v30, v6, v30, vcc
	v_not_b32_e32 v4, v4
	v_and_b32_e32 v6, v30, v4
	v_add_u32_e32 v4, 19, v27
	v_lshrrev_b64 v[28:29], v27, v[30:31]
	v_not_b32_e32 v5, v5
	v_lshlrev_b64 v[8:9], v4, 1
	v_lshrrev_b32_e32 v4, 23, v28
	v_and_b32_e32 v7, 0, v5
	v_add3_u32 v5, v27, v3, v4
	v_bfe_u32 v3, v28, 20, 1
	v_add_u32_e32 v3, -1, v3
	v_cmp_eq_u64_e32 vcc, v[6:7], v[8:9]
	v_cndmask_b32_e32 v3, 0, v3, vcc
	v_add_u32_e32 v3, v3, v28
	v_and_b32_e32 v3, 0xfffff, v3
	v_add_co_u32_e32 v30, vcc, v3, v28
	v_add_u32_e32 v4, 6, v5
	v_addc_co_u32_e32 v31, vcc, 0, v29, vcc
	v_cmp_ne_u32_e32 vcc, 0, v4
                                        ; implicit-def: $vgpr3
	s_and_saveexec_b64 s[22:23], vcc
	s_xor_b64 s[22:23], exec, s[22:23]
; %bb.316:                              ;   in Loop: Header=BB6_124 Depth=2
	v_add_u32_e32 v3, 7, v5
	v_cmp_lt_u64_e32 vcc, s[50:51], v[30:31]
	v_cndmask_b32_e32 v3, v4, v3, vcc
	v_cndmask_b32_e64 v4, 0, 1, vcc
	v_lshrrev_b64 v[30:31], v4, v[30:31]
; %bb.317:                              ;   in Loop: Header=BB6_124 Depth=2
	s_andn2_saveexec_b64 s[22:23], s[22:23]
; %bb.318:                              ;   in Loop: Header=BB6_124 Depth=2
	v_bfe_u32 v3, v30, 23, 1
; %bb.319:                              ;   in Loop: Header=BB6_124 Depth=2
	s_or_b64 exec, exec, s[22:23]
	v_lshrrev_b64 v[4:5], 20, v[30:31]
	v_cmp_gt_i32_e32 vcc, 16, v3
	v_cndmask_b32_e32 v5, 0, v5, vcc
	v_cndmask_b32_e32 v4, 7, v4, vcc
	v_cmp_eq_u32_e32 vcc, 0, v3
	v_min_i32_e32 v3, 15, v3
	v_cmp_eq_u64_e64 s[22:23], 0, v[4:5]
	v_lshlrev_b32_e32 v3, 3, v3
	v_and_or_b32 v3, v4, 7, v3
	s_and_b64 s[22:23], vcc, s[22:23]
	v_cndmask_b32_e64 v3, v3, 0, s[22:23]
	v_or_b32_e32 v35, v3, v0
.LBB6_320:                              ;   in Loop: Header=BB6_124 Depth=2
	s_or_b64 exec, exec, s[62:63]
.LBB6_321:                              ;   in Loop: Header=BB6_124 Depth=2
	s_or_b64 exec, exec, s[60:61]
                                        ; implicit-def: $vgpr4
                                        ; implicit-def: $vgpr30_vgpr31
.LBB6_322:                              ;   in Loop: Header=BB6_124 Depth=2
	s_andn2_saveexec_b64 s[22:23], s[24:25]
; %bb.323:                              ;   in Loop: Header=BB6_124 Depth=2
	v_or_b32_sdwa v0, v4, s76 dst_sel:DWORD dst_unused:UNUSED_PAD src0_sel:BYTE_3 src1_sel:DWORD
	v_cmp_eq_u64_e32 vcc, 0, v[30:31]
	v_cndmask_b32_e32 v35, v0, v35, vcc
; %bb.324:                              ;   in Loop: Header=BB6_124 Depth=2
	s_or_b64 exec, exec, s[22:23]
	v_lshrrev_b16_e32 v30, 8, v54
	v_lshrrev_b16_e32 v28, 8, v2
	v_cmp_ne_u16_e64 s[22:23], 0, v30
	s_and_b64 vcc, exec, s[58:59]
	s_cbranch_vccz .LBB6_338
; %bb.325:                              ;   in Loop: Header=BB6_124 Depth=2
	v_mov_b32_e32 v3, 0
	v_mov_b32_e32 v0, 0
	s_and_saveexec_b64 s[24:25], s[22:23]
	s_cbranch_execz .LBB6_331
; %bb.326:                              ;   in Loop: Header=BB6_124 Depth=2
	v_cmp_ne_u16_e32 vcc, s75, v30
	v_bfrev_b32_e32 v0, 1
	s_and_saveexec_b64 s[60:61], vcc
	s_cbranch_execz .LBB6_330
; %bb.327:                              ;   in Loop: Header=BB6_124 Depth=2
	v_and_b32_e32 v4, 0x7f, v30
	v_cmp_ne_u32_e32 vcc, s76, v4
	v_mov_b32_e32 v0, 0x7f800001
	s_and_saveexec_b64 s[62:63], vcc
	s_cbranch_execz .LBB6_329
; %bb.328:                              ;   in Loop: Header=BB6_124 Depth=2
	v_and_b32_e32 v0, 7, v30
	v_ffbh_u32_e32 v6, v0
	v_min_u32_e32 v8, 32, v6
	v_subrev_u32_e32 v6, 28, v8
	v_lshlrev_b64 v[6:7], v6, v[30:31]
	v_lshrrev_b32_e32 v5, 3, v4
	v_sub_u32_e32 v7, 29, v8
	v_and_b32_e32 v6, 7, v6
	v_cmp_gt_u32_e32 vcc, 8, v4
	v_cndmask_b32_e32 v4, v5, v7, vcc
	v_cndmask_b32_e32 v0, v0, v6, vcc
	v_lshlrev_b32_e32 v5, 16, v54
	v_lshlrev_b32_e32 v0, 20, v0
	v_and_b32_e32 v5, 0x80000000, v5
	v_lshl_add_u32 v4, v4, 23, v26
	v_or3_b32 v0, v5, v4, v0
.LBB6_329:                              ;   in Loop: Header=BB6_124 Depth=2
	s_or_b64 exec, exec, s[62:63]
.LBB6_330:                              ;   in Loop: Header=BB6_124 Depth=2
	s_or_b64 exec, exec, s[60:61]
.LBB6_331:                              ;   in Loop: Header=BB6_124 Depth=2
	s_or_b64 exec, exec, s[24:25]
	v_cmp_ne_u16_e32 vcc, 0, v28
	s_and_saveexec_b64 s[24:25], vcc
	s_cbranch_execz .LBB6_337
; %bb.332:                              ;   in Loop: Header=BB6_124 Depth=2
	v_cmp_ne_u16_e32 vcc, s75, v28
	v_bfrev_b32_e32 v3, 1
	s_and_saveexec_b64 s[60:61], vcc
	s_cbranch_execz .LBB6_336
; %bb.333:                              ;   in Loop: Header=BB6_124 Depth=2
	v_and_b32_e32 v4, 0x7f, v28
	v_cmp_ne_u32_e32 vcc, s76, v4
	v_mov_b32_e32 v3, 0x7f800001
	s_and_saveexec_b64 s[62:63], vcc
	s_cbranch_execz .LBB6_335
; %bb.334:                              ;   in Loop: Header=BB6_124 Depth=2
	v_and_b32_e32 v3, 7, v28
	v_ffbh_u32_e32 v6, v3
	v_min_u32_e32 v8, 32, v6
	v_subrev_u32_e32 v6, 28, v8
	v_lshlrev_b64 v[6:7], v6, v[28:29]
	v_lshrrev_b32_e32 v5, 3, v4
	v_sub_u32_e32 v7, 29, v8
	v_and_b32_e32 v6, 7, v6
	v_cmp_gt_u32_e32 vcc, 8, v4
	v_cndmask_b32_e32 v4, v5, v7, vcc
	v_cndmask_b32_e32 v3, v3, v6, vcc
	v_lshlrev_b32_e32 v5, 16, v2
	v_lshlrev_b32_e32 v3, 20, v3
	v_and_b32_e32 v5, 0x80000000, v5
	v_lshl_add_u32 v4, v4, 23, v26
	v_or3_b32 v3, v5, v4, v3
.LBB6_335:                              ;   in Loop: Header=BB6_124 Depth=2
	s_or_b64 exec, exec, s[62:63]
.LBB6_336:                              ;   in Loop: Header=BB6_124 Depth=2
	s_or_b64 exec, exec, s[60:61]
.LBB6_337:                              ;   in Loop: Header=BB6_124 Depth=2
	s_or_b64 exec, exec, s[24:25]
	v_max_f32_e32 v3, v3, v3
	v_max_f32_e32 v0, v0, v0
	;; [unrolled: 1-line block ×3, first 2 shown]
	s_branch .LBB6_352
.LBB6_338:                              ;   in Loop: Header=BB6_124 Depth=2
                                        ; implicit-def: $vgpr3
	s_cbranch_execz .LBB6_352
; %bb.339:                              ;   in Loop: Header=BB6_124 Depth=2
	v_mov_b32_e32 v3, 0
	v_mov_b32_e32 v0, 0
	s_and_saveexec_b64 s[24:25], s[22:23]
	s_cbranch_execz .LBB6_345
; %bb.340:                              ;   in Loop: Header=BB6_124 Depth=2
	v_cmp_ne_u16_e32 vcc, s75, v30
	v_bfrev_b32_e32 v0, 1
	s_and_saveexec_b64 s[22:23], vcc
	s_cbranch_execz .LBB6_344
; %bb.341:                              ;   in Loop: Header=BB6_124 Depth=2
	v_and_b32_e32 v4, 0x7f, v30
	v_cmp_ne_u32_e32 vcc, s76, v4
	v_mov_b32_e32 v0, 0x7f800001
	s_and_saveexec_b64 s[60:61], vcc
	s_cbranch_execz .LBB6_343
; %bb.342:                              ;   in Loop: Header=BB6_124 Depth=2
	v_and_b32_e32 v0, 7, v30
	v_ffbh_u32_e32 v6, v0
	v_min_u32_e32 v8, 32, v6
	v_subrev_u32_e32 v6, 28, v8
	v_lshlrev_b64 v[6:7], v6, v[30:31]
	v_lshrrev_b32_e32 v5, 3, v4
	v_sub_u32_e32 v7, 29, v8
	v_and_b32_e32 v6, 7, v6
	v_cmp_gt_u32_e32 vcc, 8, v4
	v_cndmask_b32_e32 v4, v5, v7, vcc
	v_cndmask_b32_e32 v0, v0, v6, vcc
	v_lshlrev_b32_e32 v5, 16, v54
	v_lshlrev_b32_e32 v0, 20, v0
	v_and_b32_e32 v5, 0x80000000, v5
	v_lshl_add_u32 v4, v4, 23, v26
	v_or3_b32 v0, v5, v4, v0
.LBB6_343:                              ;   in Loop: Header=BB6_124 Depth=2
	s_or_b64 exec, exec, s[60:61]
.LBB6_344:                              ;   in Loop: Header=BB6_124 Depth=2
	s_or_b64 exec, exec, s[22:23]
.LBB6_345:                              ;   in Loop: Header=BB6_124 Depth=2
	s_or_b64 exec, exec, s[24:25]
	v_cmp_ne_u16_e32 vcc, 0, v28
	s_and_saveexec_b64 s[22:23], vcc
	s_cbranch_execz .LBB6_351
; %bb.346:                              ;   in Loop: Header=BB6_124 Depth=2
	v_cmp_ne_u16_e32 vcc, s75, v28
	v_bfrev_b32_e32 v3, 1
	s_and_saveexec_b64 s[24:25], vcc
	s_cbranch_execz .LBB6_350
; %bb.347:                              ;   in Loop: Header=BB6_124 Depth=2
	v_and_b32_e32 v4, 0x7f, v28
	v_cmp_ne_u32_e32 vcc, s76, v4
	v_mov_b32_e32 v3, 0x7f800001
	s_and_saveexec_b64 s[60:61], vcc
	s_cbranch_execz .LBB6_349
; %bb.348:                              ;   in Loop: Header=BB6_124 Depth=2
	v_and_b32_e32 v3, 7, v28
	v_ffbh_u32_e32 v6, v3
	v_min_u32_e32 v8, 32, v6
	v_subrev_u32_e32 v6, 28, v8
	v_lshlrev_b64 v[6:7], v6, v[28:29]
	v_lshrrev_b32_e32 v5, 3, v4
	v_sub_u32_e32 v7, 29, v8
	v_and_b32_e32 v6, 7, v6
	v_cmp_gt_u32_e32 vcc, 8, v4
	v_cndmask_b32_e32 v4, v5, v7, vcc
	v_cndmask_b32_e32 v3, v3, v6, vcc
	v_lshlrev_b32_e32 v2, 16, v2
	v_lshlrev_b32_e32 v3, 20, v3
	v_and_b32_e32 v2, 0x80000000, v2
	v_lshl_add_u32 v4, v4, 23, v26
	v_or3_b32 v3, v2, v4, v3
.LBB6_349:                              ;   in Loop: Header=BB6_124 Depth=2
	s_or_b64 exec, exec, s[60:61]
.LBB6_350:                              ;   in Loop: Header=BB6_124 Depth=2
	s_or_b64 exec, exec, s[24:25]
.LBB6_351:                              ;   in Loop: Header=BB6_124 Depth=2
	s_or_b64 exec, exec, s[22:23]
	v_max_f32_e32 v2, v3, v3
	v_max_f32_e32 v0, v0, v0
	v_min_f32_e32 v3, v0, v2
.LBB6_352:                              ;   in Loop: Header=BB6_124 Depth=2
	v_and_b32_sdwa v0, v3, s75 dst_sel:DWORD dst_unused:UNUSED_PAD src0_sel:BYTE_3 src1_sel:DWORD
	v_and_b32_e32 v4, 0x7f800000, v3
	v_mov_b32_e32 v5, v55
	v_and_b32_e32 v54, 0x7fffff, v3
	v_or_b32_e32 v30, 0x7e, v0
	v_cmp_ne_u64_e32 vcc, s[44:45], v[4:5]
	s_and_saveexec_b64 s[22:23], vcc
	s_xor_b64 s[24:25], exec, s[22:23]
	s_cbranch_execz .LBB6_362
; %bb.353:                              ;   in Loop: Header=BB6_124 Depth=2
	v_and_b32_e32 v4, 0x7fffffff, v3
	v_mov_b32_e32 v5, v55
	v_cmp_gt_u64_e32 vcc, s[46:47], v[4:5]
	s_and_saveexec_b64 s[60:61], vcc
	s_cbranch_execz .LBB6_361
; %bb.354:                              ;   in Loop: Header=BB6_124 Depth=2
	v_cmp_ne_u32_e32 vcc, 0, v3
	v_mov_b32_e32 v30, 0
	s_and_saveexec_b64 s[62:63], vcc
	s_cbranch_execz .LBB6_360
; %bb.355:                              ;   in Loop: Header=BB6_124 Depth=2
	v_bfe_u32 v2, v3, 23, 8
	v_sub_u32_e32 v4, 0x79, v2
	v_cmp_gt_u32_e32 vcc, s78, v2
	v_cndmask_b32_e32 v4, 0, v4, vcc
	v_cmp_eq_u32_e32 vcc, 0, v2
	v_or_b32_e32 v5, 0x800000, v54
	v_cndmask_b32_e32 v4, v4, v32, vcc
	v_add_u32_e32 v3, 0xffffff81, v2
	v_cndmask_b32_e32 v54, v5, v54, vcc
	v_add_u32_e32 v2, 20, v4
	v_cndmask_b32_e32 v27, v3, v33, vcc
	v_lshlrev_b64 v[2:3], v2, -1
	v_add_u32_e32 v5, 19, v4
	v_lshrrev_b64 v[8:9], v4, v[54:55]
	v_not_b32_e32 v3, v3
	v_not_b32_e32 v2, v2
	v_lshlrev_b64 v[6:7], v5, 1
	v_lshrrev_b32_e32 v5, 23, v8
	v_and_b32_e32 v3, 0, v3
	v_and_b32_e32 v2, v54, v2
	v_add3_u32 v27, v4, v27, v5
	v_bfe_u32 v4, v8, 20, 1
	v_add_u32_e32 v4, -1, v4
	v_cmp_eq_u64_e32 vcc, v[2:3], v[6:7]
	v_cndmask_b32_e32 v2, 0, v4, vcc
	v_add_u32_e32 v2, v2, v8
	v_and_b32_e32 v2, 0xfffff, v2
	v_add_co_u32_e32 v2, vcc, v2, v8
	v_add_u32_e32 v5, 6, v27
	v_addc_co_u32_e32 v3, vcc, 0, v9, vcc
	v_cmp_ne_u32_e32 vcc, 0, v5
                                        ; implicit-def: $vgpr4
	s_and_saveexec_b64 s[22:23], vcc
	s_xor_b64 s[22:23], exec, s[22:23]
; %bb.356:                              ;   in Loop: Header=BB6_124 Depth=2
	v_add_u32_e32 v4, 7, v27
	v_cmp_lt_u64_e32 vcc, s[50:51], v[2:3]
	v_cndmask_b32_e32 v4, v5, v4, vcc
	v_cndmask_b32_e64 v5, 0, 1, vcc
	v_lshrrev_b64 v[2:3], v5, v[2:3]
; %bb.357:                              ;   in Loop: Header=BB6_124 Depth=2
	s_andn2_saveexec_b64 s[22:23], s[22:23]
; %bb.358:                              ;   in Loop: Header=BB6_124 Depth=2
	v_bfe_u32 v4, v2, 23, 1
; %bb.359:                              ;   in Loop: Header=BB6_124 Depth=2
	s_or_b64 exec, exec, s[22:23]
	v_lshrrev_b64 v[2:3], 20, v[2:3]
	v_cmp_gt_i32_e32 vcc, 16, v4
	v_cndmask_b32_e32 v3, 0, v3, vcc
	v_cndmask_b32_e32 v2, 7, v2, vcc
	v_cmp_eq_u64_e64 s[22:23], 0, v[2:3]
	v_min_i32_e32 v3, 15, v4
	v_cmp_eq_u32_e32 vcc, 0, v4
	v_lshlrev_b32_e32 v3, 3, v3
	v_and_or_b32 v2, v2, 7, v3
	s_and_b64 s[22:23], vcc, s[22:23]
	v_cndmask_b32_e64 v2, v2, 0, s[22:23]
	v_or_b32_e32 v30, v2, v0
.LBB6_360:                              ;   in Loop: Header=BB6_124 Depth=2
	s_or_b64 exec, exec, s[62:63]
.LBB6_361:                              ;   in Loop: Header=BB6_124 Depth=2
	s_or_b64 exec, exec, s[60:61]
                                        ; implicit-def: $vgpr3
.LBB6_362:                              ;   in Loop: Header=BB6_124 Depth=2
	s_andn2_saveexec_b64 s[22:23], s[24:25]
; %bb.363:                              ;   in Loop: Header=BB6_124 Depth=2
	v_or_b32_sdwa v0, v3, s76 dst_sel:DWORD dst_unused:UNUSED_PAD src0_sel:BYTE_3 src1_sel:DWORD
	v_cmp_eq_u64_e32 vcc, 0, v[54:55]
	v_cndmask_b32_e32 v30, v0, v30, vcc
; %bb.364:                              ;   in Loop: Header=BB6_124 Depth=2
	s_or_b64 exec, exec, s[22:23]
	v_lshrrev_b32_e32 v28, 16, v23
	v_lshrrev_b32_e32 v2, 16, v19
	v_cmp_ne_u16_sdwa s[22:23], v28, v55 src0_sel:BYTE_0 src1_sel:DWORD
	s_and_b64 vcc, exec, s[58:59]
	s_cbranch_vccz .LBB6_378
; %bb.365:                              ;   in Loop: Header=BB6_124 Depth=2
	v_mov_b32_e32 v3, 0
	v_mov_b32_e32 v0, 0
	s_and_saveexec_b64 s[24:25], s[22:23]
	s_cbranch_execz .LBB6_371
; %bb.366:                              ;   in Loop: Header=BB6_124 Depth=2
	v_cmp_ne_u16_sdwa vcc, v28, s75 src0_sel:BYTE_0 src1_sel:DWORD
	v_bfrev_b32_e32 v0, 1
	s_and_saveexec_b64 s[60:61], vcc
	s_cbranch_execz .LBB6_370
; %bb.367:                              ;   in Loop: Header=BB6_124 Depth=2
	v_bfe_u32 v4, v23, 16, 7
	v_cmp_ne_u32_e32 vcc, s76, v4
	v_mov_b32_e32 v0, 0x7f800001
	s_and_saveexec_b64 s[62:63], vcc
	s_cbranch_execz .LBB6_369
; %bb.368:                              ;   in Loop: Header=BB6_124 Depth=2
	v_and_b32_e32 v0, 7, v28
	v_ffbh_u32_e32 v6, v0
	v_min_u32_e32 v8, 32, v6
	v_subrev_u32_e32 v6, 28, v8
	v_lshlrev_b64 v[6:7], v6, v[28:29]
	v_lshrrev_b32_e32 v5, 3, v4
	v_sub_u32_e32 v7, 29, v8
	v_and_b32_e32 v6, 7, v6
	v_cmp_gt_u32_e32 vcc, 8, v4
	v_cndmask_b32_e32 v4, v5, v7, vcc
	v_cndmask_b32_e32 v0, v0, v6, vcc
	v_lshlrev_b32_e32 v5, 24, v28
	v_lshlrev_b32_e32 v0, 20, v0
	v_and_b32_e32 v5, 0x80000000, v5
	v_lshl_add_u32 v4, v4, 23, v26
	v_or3_b32 v0, v5, v4, v0
.LBB6_369:                              ;   in Loop: Header=BB6_124 Depth=2
	s_or_b64 exec, exec, s[62:63]
.LBB6_370:                              ;   in Loop: Header=BB6_124 Depth=2
	s_or_b64 exec, exec, s[60:61]
.LBB6_371:                              ;   in Loop: Header=BB6_124 Depth=2
	s_or_b64 exec, exec, s[24:25]
	v_cmp_ne_u16_sdwa vcc, v2, v55 src0_sel:BYTE_0 src1_sel:DWORD
	s_and_saveexec_b64 s[24:25], vcc
	s_cbranch_execz .LBB6_377
; %bb.372:                              ;   in Loop: Header=BB6_124 Depth=2
	v_cmp_ne_u16_sdwa vcc, v2, s75 src0_sel:BYTE_0 src1_sel:DWORD
	v_bfrev_b32_e32 v3, 1
	s_and_saveexec_b64 s[60:61], vcc
	s_cbranch_execz .LBB6_376
; %bb.373:                              ;   in Loop: Header=BB6_124 Depth=2
	v_bfe_u32 v4, v19, 16, 7
	v_cmp_ne_u32_e32 vcc, s76, v4
	v_mov_b32_e32 v3, 0x7f800001
	s_and_saveexec_b64 s[62:63], vcc
	s_cbranch_execz .LBB6_375
; %bb.374:                              ;   in Loop: Header=BB6_124 Depth=2
	v_and_b32_e32 v3, 7, v2
	v_ffbh_u32_e32 v6, v3
	v_min_u32_e32 v8, 32, v6
	v_subrev_u32_e32 v6, 28, v8
	v_lshlrev_b64 v[6:7], v6, v[2:3]
	v_lshrrev_b32_e32 v5, 3, v4
	v_sub_u32_e32 v7, 29, v8
	v_and_b32_e32 v6, 7, v6
	v_cmp_gt_u32_e32 vcc, 8, v4
	v_cndmask_b32_e32 v4, v5, v7, vcc
	v_cndmask_b32_e32 v3, v3, v6, vcc
	v_lshlrev_b32_e32 v5, 24, v2
	v_lshlrev_b32_e32 v3, 20, v3
	v_and_b32_e32 v5, 0x80000000, v5
	v_lshl_add_u32 v4, v4, 23, v26
	v_or3_b32 v3, v5, v4, v3
.LBB6_375:                              ;   in Loop: Header=BB6_124 Depth=2
	s_or_b64 exec, exec, s[62:63]
.LBB6_376:                              ;   in Loop: Header=BB6_124 Depth=2
	s_or_b64 exec, exec, s[60:61]
.LBB6_377:                              ;   in Loop: Header=BB6_124 Depth=2
	s_or_b64 exec, exec, s[24:25]
	v_max_f32_e32 v3, v3, v3
	v_max_f32_e32 v0, v0, v0
	;; [unrolled: 1-line block ×3, first 2 shown]
	s_branch .LBB6_392
.LBB6_378:                              ;   in Loop: Header=BB6_124 Depth=2
                                        ; implicit-def: $vgpr3
	s_cbranch_execz .LBB6_392
; %bb.379:                              ;   in Loop: Header=BB6_124 Depth=2
	v_mov_b32_e32 v3, 0
	v_mov_b32_e32 v0, 0
	s_and_saveexec_b64 s[24:25], s[22:23]
	s_cbranch_execz .LBB6_385
; %bb.380:                              ;   in Loop: Header=BB6_124 Depth=2
	v_cmp_ne_u16_sdwa vcc, v28, s75 src0_sel:BYTE_0 src1_sel:DWORD
	v_bfrev_b32_e32 v0, 1
	s_and_saveexec_b64 s[22:23], vcc
	s_cbranch_execz .LBB6_384
; %bb.381:                              ;   in Loop: Header=BB6_124 Depth=2
	v_bfe_u32 v4, v23, 16, 7
	v_cmp_ne_u32_e32 vcc, s76, v4
	v_mov_b32_e32 v0, 0x7f800001
	s_and_saveexec_b64 s[60:61], vcc
	s_cbranch_execz .LBB6_383
; %bb.382:                              ;   in Loop: Header=BB6_124 Depth=2
	v_and_b32_e32 v0, 7, v28
	v_ffbh_u32_e32 v6, v0
	v_min_u32_e32 v8, 32, v6
	v_subrev_u32_e32 v6, 28, v8
	v_lshlrev_b64 v[6:7], v6, v[28:29]
	v_lshrrev_b32_e32 v5, 3, v4
	v_sub_u32_e32 v7, 29, v8
	v_and_b32_e32 v6, 7, v6
	v_cmp_gt_u32_e32 vcc, 8, v4
	v_cndmask_b32_e32 v4, v5, v7, vcc
	v_cndmask_b32_e32 v0, v0, v6, vcc
	v_lshlrev_b32_e32 v5, 24, v28
	v_lshlrev_b32_e32 v0, 20, v0
	v_and_b32_e32 v5, 0x80000000, v5
	v_lshl_add_u32 v4, v4, 23, v26
	v_or3_b32 v0, v5, v4, v0
.LBB6_383:                              ;   in Loop: Header=BB6_124 Depth=2
	s_or_b64 exec, exec, s[60:61]
.LBB6_384:                              ;   in Loop: Header=BB6_124 Depth=2
	s_or_b64 exec, exec, s[22:23]
.LBB6_385:                              ;   in Loop: Header=BB6_124 Depth=2
	s_or_b64 exec, exec, s[24:25]
	v_cmp_ne_u16_sdwa s[24:25], v2, v55 src0_sel:BYTE_0 src1_sel:DWORD
	s_and_saveexec_b64 s[22:23], s[24:25]
	s_cbranch_execz .LBB6_391
; %bb.386:                              ;   in Loop: Header=BB6_124 Depth=2
	v_cmp_ne_u16_sdwa vcc, v2, s75 src0_sel:BYTE_0 src1_sel:DWORD
	v_bfrev_b32_e32 v3, 1
	s_and_saveexec_b64 s[24:25], vcc
	s_cbranch_execz .LBB6_390
; %bb.387:                              ;   in Loop: Header=BB6_124 Depth=2
	v_bfe_u32 v4, v19, 16, 7
	v_cmp_ne_u32_e32 vcc, s76, v4
	v_mov_b32_e32 v3, 0x7f800001
	s_and_saveexec_b64 s[60:61], vcc
	s_cbranch_execz .LBB6_389
; %bb.388:                              ;   in Loop: Header=BB6_124 Depth=2
	v_and_b32_e32 v3, 7, v2
	v_ffbh_u32_e32 v6, v3
	v_min_u32_e32 v8, 32, v6
	v_subrev_u32_e32 v6, 28, v8
	v_lshlrev_b64 v[6:7], v6, v[2:3]
	v_lshrrev_b32_e32 v5, 3, v4
	v_sub_u32_e32 v7, 29, v8
	v_and_b32_e32 v6, 7, v6
	v_cmp_gt_u32_e32 vcc, 8, v4
	v_cndmask_b32_e32 v4, v5, v7, vcc
	v_cndmask_b32_e32 v3, v3, v6, vcc
	v_lshlrev_b32_e32 v2, 24, v2
	v_lshlrev_b32_e32 v3, 20, v3
	v_and_b32_e32 v2, 0x80000000, v2
	v_lshl_add_u32 v4, v4, 23, v26
	v_or3_b32 v3, v2, v4, v3
.LBB6_389:                              ;   in Loop: Header=BB6_124 Depth=2
	s_or_b64 exec, exec, s[60:61]
.LBB6_390:                              ;   in Loop: Header=BB6_124 Depth=2
	s_or_b64 exec, exec, s[24:25]
.LBB6_391:                              ;   in Loop: Header=BB6_124 Depth=2
	s_or_b64 exec, exec, s[22:23]
	v_max_f32_e32 v2, v3, v3
	v_max_f32_e32 v0, v0, v0
	v_min_f32_e32 v3, v0, v2
.LBB6_392:                              ;   in Loop: Header=BB6_124 Depth=2
	v_and_b32_sdwa v0, v3, s75 dst_sel:DWORD dst_unused:UNUSED_PAD src0_sel:BYTE_3 src1_sel:DWORD
	v_and_b32_e32 v4, 0x7f800000, v3
	v_mov_b32_e32 v5, v55
	v_and_b32_e32 v54, 0x7fffff, v3
	v_or_b32_e32 v31, 0x7e, v0
	v_cmp_ne_u64_e32 vcc, s[44:45], v[4:5]
	s_and_saveexec_b64 s[22:23], vcc
	s_xor_b64 s[24:25], exec, s[22:23]
	s_cbranch_execz .LBB6_402
; %bb.393:                              ;   in Loop: Header=BB6_124 Depth=2
	v_and_b32_e32 v4, 0x7fffffff, v3
	v_mov_b32_e32 v5, v55
	v_cmp_gt_u64_e32 vcc, s[46:47], v[4:5]
	s_and_saveexec_b64 s[60:61], vcc
	s_cbranch_execz .LBB6_401
; %bb.394:                              ;   in Loop: Header=BB6_124 Depth=2
	v_cmp_ne_u32_e32 vcc, 0, v3
	v_mov_b32_e32 v31, 0
	s_and_saveexec_b64 s[62:63], vcc
	s_cbranch_execz .LBB6_400
; %bb.395:                              ;   in Loop: Header=BB6_124 Depth=2
	v_bfe_u32 v2, v3, 23, 8
	v_sub_u32_e32 v4, 0x79, v2
	v_cmp_gt_u32_e32 vcc, s78, v2
	v_cndmask_b32_e32 v4, 0, v4, vcc
	v_cmp_eq_u32_e32 vcc, 0, v2
	v_or_b32_e32 v5, 0x800000, v54
	v_cndmask_b32_e32 v4, v4, v32, vcc
	v_add_u32_e32 v3, 0xffffff81, v2
	v_cndmask_b32_e32 v54, v5, v54, vcc
	v_add_u32_e32 v2, 20, v4
	v_cndmask_b32_e32 v27, v3, v33, vcc
	v_lshlrev_b64 v[2:3], v2, -1
	v_add_u32_e32 v5, 19, v4
	v_lshrrev_b64 v[8:9], v4, v[54:55]
	v_not_b32_e32 v3, v3
	v_not_b32_e32 v2, v2
	v_lshlrev_b64 v[6:7], v5, 1
	v_lshrrev_b32_e32 v5, 23, v8
	v_and_b32_e32 v3, 0, v3
	v_and_b32_e32 v2, v54, v2
	v_add3_u32 v27, v4, v27, v5
	v_bfe_u32 v4, v8, 20, 1
	v_add_u32_e32 v4, -1, v4
	v_cmp_eq_u64_e32 vcc, v[2:3], v[6:7]
	v_cndmask_b32_e32 v2, 0, v4, vcc
	v_add_u32_e32 v2, v2, v8
	v_and_b32_e32 v2, 0xfffff, v2
	v_add_co_u32_e32 v2, vcc, v2, v8
	v_add_u32_e32 v5, 6, v27
	v_addc_co_u32_e32 v3, vcc, 0, v9, vcc
	v_cmp_ne_u32_e32 vcc, 0, v5
                                        ; implicit-def: $vgpr4
	s_and_saveexec_b64 s[22:23], vcc
	s_xor_b64 s[22:23], exec, s[22:23]
; %bb.396:                              ;   in Loop: Header=BB6_124 Depth=2
	v_add_u32_e32 v4, 7, v27
	v_cmp_lt_u64_e32 vcc, s[50:51], v[2:3]
	v_cndmask_b32_e32 v4, v5, v4, vcc
	v_cndmask_b32_e64 v5, 0, 1, vcc
	v_lshrrev_b64 v[2:3], v5, v[2:3]
; %bb.397:                              ;   in Loop: Header=BB6_124 Depth=2
	s_andn2_saveexec_b64 s[22:23], s[22:23]
; %bb.398:                              ;   in Loop: Header=BB6_124 Depth=2
	v_bfe_u32 v4, v2, 23, 1
; %bb.399:                              ;   in Loop: Header=BB6_124 Depth=2
	s_or_b64 exec, exec, s[22:23]
	v_lshrrev_b64 v[2:3], 20, v[2:3]
	v_cmp_gt_i32_e32 vcc, 16, v4
	v_cndmask_b32_e32 v3, 0, v3, vcc
	v_cndmask_b32_e32 v2, 7, v2, vcc
	v_cmp_eq_u64_e64 s[22:23], 0, v[2:3]
	v_min_i32_e32 v3, 15, v4
	v_lshlrev_b32_e32 v3, 3, v3
	v_cmp_eq_u32_e32 vcc, 0, v4
	v_and_b32_e32 v3, 0xf8, v3
	v_and_or_b32 v2, v2, 7, v3
	s_and_b64 s[22:23], vcc, s[22:23]
	v_cndmask_b32_e64 v2, v2, 0, s[22:23]
	v_or_b32_e32 v31, v2, v0
.LBB6_400:                              ;   in Loop: Header=BB6_124 Depth=2
	s_or_b64 exec, exec, s[62:63]
.LBB6_401:                              ;   in Loop: Header=BB6_124 Depth=2
	s_or_b64 exec, exec, s[60:61]
                                        ; implicit-def: $vgpr3
.LBB6_402:                              ;   in Loop: Header=BB6_124 Depth=2
	s_andn2_saveexec_b64 s[22:23], s[24:25]
; %bb.403:                              ;   in Loop: Header=BB6_124 Depth=2
	v_or_b32_sdwa v0, v3, s76 dst_sel:DWORD dst_unused:UNUSED_PAD src0_sel:BYTE_3 src1_sel:DWORD
	v_cmp_eq_u64_e32 vcc, 0, v[54:55]
	v_cndmask_b32_e32 v31, v0, v31, vcc
; %bb.404:                              ;   in Loop: Header=BB6_124 Depth=2
	s_or_b64 exec, exec, s[22:23]
	v_lshrrev_b32_e32 v28, 24, v23
	v_lshrrev_b32_e32 v2, 24, v19
	v_cmp_lt_u64_e64 s[22:23], s[48:49], v[22:23]
	s_and_b64 vcc, exec, s[58:59]
	s_cbranch_vccz .LBB6_418
; %bb.405:                              ;   in Loop: Header=BB6_124 Depth=2
	v_mov_b32_e32 v3, 0
	v_mov_b32_e32 v0, 0
	s_and_saveexec_b64 s[24:25], s[22:23]
	s_cbranch_execz .LBB6_411
; %bb.406:                              ;   in Loop: Header=BB6_124 Depth=2
	v_cmp_ne_u32_e32 vcc, s75, v28
	v_bfrev_b32_e32 v0, 1
	s_and_saveexec_b64 s[60:61], vcc
	s_cbranch_execz .LBB6_410
; %bb.407:                              ;   in Loop: Header=BB6_124 Depth=2
	v_bfe_u32 v4, v23, 24, 7
	v_cmp_ne_u32_e32 vcc, s76, v4
	v_mov_b32_e32 v0, 0x7f800001
	s_and_saveexec_b64 s[62:63], vcc
	s_cbranch_execz .LBB6_409
; %bb.408:                              ;   in Loop: Header=BB6_124 Depth=2
	v_and_b32_e32 v0, 7, v28
	v_ffbh_u32_e32 v6, v0
	v_min_u32_e32 v8, 32, v6
	v_subrev_u32_e32 v6, 28, v8
	v_lshlrev_b64 v[6:7], v6, v[28:29]
	v_lshrrev_b32_e32 v5, 3, v4
	v_sub_u32_e32 v7, 29, v8
	v_and_b32_e32 v6, 7, v6
	v_cmp_gt_u32_e32 vcc, 8, v4
	v_cndmask_b32_e32 v4, v5, v7, vcc
	v_cndmask_b32_e32 v0, v0, v6, vcc
	v_lshlrev_b32_e32 v5, 24, v28
	v_lshlrev_b32_e32 v0, 20, v0
	v_and_b32_e32 v5, 0x80000000, v5
	v_lshl_add_u32 v4, v4, 23, v26
	v_or3_b32 v0, v5, v4, v0
.LBB6_409:                              ;   in Loop: Header=BB6_124 Depth=2
	s_or_b64 exec, exec, s[62:63]
.LBB6_410:                              ;   in Loop: Header=BB6_124 Depth=2
	s_or_b64 exec, exec, s[60:61]
.LBB6_411:                              ;   in Loop: Header=BB6_124 Depth=2
	s_or_b64 exec, exec, s[24:25]
	v_cmp_lt_u64_e32 vcc, s[48:49], v[18:19]
	s_and_saveexec_b64 s[24:25], vcc
	s_cbranch_execz .LBB6_417
; %bb.412:                              ;   in Loop: Header=BB6_124 Depth=2
	v_cmp_ne_u32_e32 vcc, s75, v2
	v_bfrev_b32_e32 v3, 1
	s_and_saveexec_b64 s[60:61], vcc
	s_cbranch_execz .LBB6_416
; %bb.413:                              ;   in Loop: Header=BB6_124 Depth=2
	v_bfe_u32 v4, v19, 24, 7
	v_cmp_ne_u32_e32 vcc, s76, v4
	v_mov_b32_e32 v3, 0x7f800001
	s_and_saveexec_b64 s[62:63], vcc
	s_cbranch_execz .LBB6_415
; %bb.414:                              ;   in Loop: Header=BB6_124 Depth=2
	v_and_b32_e32 v3, 7, v2
	v_ffbh_u32_e32 v6, v3
	v_min_u32_e32 v8, 32, v6
	v_subrev_u32_e32 v6, 28, v8
	v_lshlrev_b64 v[6:7], v6, v[2:3]
	v_lshrrev_b32_e32 v5, 3, v4
	v_sub_u32_e32 v7, 29, v8
	v_and_b32_e32 v6, 7, v6
	v_cmp_gt_u32_e32 vcc, 8, v4
	v_cndmask_b32_e32 v4, v5, v7, vcc
	v_cndmask_b32_e32 v3, v3, v6, vcc
	v_lshlrev_b32_e32 v5, 24, v2
	v_lshlrev_b32_e32 v3, 20, v3
	v_and_b32_e32 v5, 0x80000000, v5
	v_lshl_add_u32 v4, v4, 23, v26
	v_or3_b32 v3, v5, v4, v3
.LBB6_415:                              ;   in Loop: Header=BB6_124 Depth=2
	s_or_b64 exec, exec, s[62:63]
.LBB6_416:                              ;   in Loop: Header=BB6_124 Depth=2
	s_or_b64 exec, exec, s[60:61]
.LBB6_417:                              ;   in Loop: Header=BB6_124 Depth=2
	s_or_b64 exec, exec, s[24:25]
	v_max_f32_e32 v3, v3, v3
	v_max_f32_e32 v0, v0, v0
	;; [unrolled: 1-line block ×3, first 2 shown]
	s_branch .LBB6_432
.LBB6_418:                              ;   in Loop: Header=BB6_124 Depth=2
                                        ; implicit-def: $vgpr3
	s_cbranch_execz .LBB6_432
; %bb.419:                              ;   in Loop: Header=BB6_124 Depth=2
	v_mov_b32_e32 v3, 0
	v_mov_b32_e32 v0, 0
	s_and_saveexec_b64 s[24:25], s[22:23]
	s_cbranch_execz .LBB6_425
; %bb.420:                              ;   in Loop: Header=BB6_124 Depth=2
	v_cmp_ne_u32_e32 vcc, s75, v28
	v_bfrev_b32_e32 v0, 1
	s_and_saveexec_b64 s[22:23], vcc
	s_cbranch_execz .LBB6_424
; %bb.421:                              ;   in Loop: Header=BB6_124 Depth=2
	v_bfe_u32 v4, v23, 24, 7
	v_cmp_ne_u32_e32 vcc, s76, v4
	v_mov_b32_e32 v0, 0x7f800001
	s_and_saveexec_b64 s[60:61], vcc
	s_cbranch_execz .LBB6_423
; %bb.422:                              ;   in Loop: Header=BB6_124 Depth=2
	v_and_b32_e32 v0, 7, v28
	v_ffbh_u32_e32 v6, v0
	v_min_u32_e32 v8, 32, v6
	v_subrev_u32_e32 v6, 28, v8
	v_lshlrev_b64 v[6:7], v6, v[28:29]
	v_lshrrev_b32_e32 v5, 3, v4
	v_sub_u32_e32 v7, 29, v8
	v_and_b32_e32 v6, 7, v6
	v_cmp_gt_u32_e32 vcc, 8, v4
	v_cndmask_b32_e32 v4, v5, v7, vcc
	v_cndmask_b32_e32 v0, v0, v6, vcc
	v_lshlrev_b32_e32 v5, 24, v28
	v_lshlrev_b32_e32 v0, 20, v0
	v_and_b32_e32 v5, 0x80000000, v5
	v_lshl_add_u32 v4, v4, 23, v26
	v_or3_b32 v0, v5, v4, v0
.LBB6_423:                              ;   in Loop: Header=BB6_124 Depth=2
	s_or_b64 exec, exec, s[60:61]
.LBB6_424:                              ;   in Loop: Header=BB6_124 Depth=2
	s_or_b64 exec, exec, s[22:23]
.LBB6_425:                              ;   in Loop: Header=BB6_124 Depth=2
	s_or_b64 exec, exec, s[24:25]
	v_cmp_lt_u64_e32 vcc, s[48:49], v[18:19]
	s_and_saveexec_b64 s[22:23], vcc
	s_cbranch_execz .LBB6_431
; %bb.426:                              ;   in Loop: Header=BB6_124 Depth=2
	v_cmp_ne_u32_e32 vcc, s75, v2
	v_bfrev_b32_e32 v3, 1
	s_and_saveexec_b64 s[24:25], vcc
	s_cbranch_execz .LBB6_430
; %bb.427:                              ;   in Loop: Header=BB6_124 Depth=2
	v_bfe_u32 v4, v19, 24, 7
	v_cmp_ne_u32_e32 vcc, s76, v4
	v_mov_b32_e32 v3, 0x7f800001
	s_and_saveexec_b64 s[60:61], vcc
	s_cbranch_execz .LBB6_429
; %bb.428:                              ;   in Loop: Header=BB6_124 Depth=2
	v_and_b32_e32 v3, 7, v2
	v_ffbh_u32_e32 v6, v3
	v_min_u32_e32 v8, 32, v6
	v_subrev_u32_e32 v6, 28, v8
	v_lshlrev_b64 v[6:7], v6, v[2:3]
	v_lshrrev_b32_e32 v5, 3, v4
	v_sub_u32_e32 v7, 29, v8
	v_and_b32_e32 v6, 7, v6
	v_cmp_gt_u32_e32 vcc, 8, v4
	v_cndmask_b32_e32 v4, v5, v7, vcc
	v_cndmask_b32_e32 v3, v3, v6, vcc
	v_lshlrev_b32_e32 v2, 24, v2
	v_lshlrev_b32_e32 v3, 20, v3
	v_and_b32_e32 v2, 0x80000000, v2
	v_lshl_add_u32 v4, v4, 23, v26
	v_or3_b32 v3, v2, v4, v3
.LBB6_429:                              ;   in Loop: Header=BB6_124 Depth=2
	s_or_b64 exec, exec, s[60:61]
.LBB6_430:                              ;   in Loop: Header=BB6_124 Depth=2
	s_or_b64 exec, exec, s[24:25]
.LBB6_431:                              ;   in Loop: Header=BB6_124 Depth=2
	s_or_b64 exec, exec, s[22:23]
	v_max_f32_e32 v2, v3, v3
	v_max_f32_e32 v0, v0, v0
	v_min_f32_e32 v3, v0, v2
.LBB6_432:                              ;   in Loop: Header=BB6_124 Depth=2
	v_and_b32_sdwa v0, v3, s75 dst_sel:DWORD dst_unused:UNUSED_PAD src0_sel:BYTE_3 src1_sel:DWORD
	v_and_b32_e32 v4, 0x7f800000, v3
	v_mov_b32_e32 v5, v55
	v_and_b32_e32 v54, 0x7fffff, v3
	v_or_b32_e32 v23, 0x7e, v0
	v_cmp_ne_u64_e32 vcc, s[44:45], v[4:5]
	s_and_saveexec_b64 s[22:23], vcc
	s_xor_b64 s[24:25], exec, s[22:23]
	s_cbranch_execnz .LBB6_448
; %bb.433:                              ;   in Loop: Header=BB6_124 Depth=2
	s_andn2_saveexec_b64 s[22:23], s[24:25]
	s_cbranch_execnz .LBB6_457
.LBB6_434:                              ;   in Loop: Header=BB6_124 Depth=2
	s_or_b64 exec, exec, s[22:23]
	v_cmp_ne_u16_sdwa s[22:23], v24, v55 src0_sel:BYTE_0 src1_sel:DWORD
	s_and_b64 vcc, exec, s[58:59]
	s_cbranch_vccz .LBB6_458
.LBB6_435:                              ;   in Loop: Header=BB6_124 Depth=2
	v_mov_b32_e32 v2, 0
	v_mov_b32_e32 v0, 0
	s_and_saveexec_b64 s[24:25], s[22:23]
	s_cbranch_execz .LBB6_441
; %bb.436:                              ;   in Loop: Header=BB6_124 Depth=2
	v_cmp_ne_u16_sdwa vcc, v24, s75 src0_sel:BYTE_0 src1_sel:DWORD
	v_bfrev_b32_e32 v0, 1
	s_and_saveexec_b64 s[60:61], vcc
	s_cbranch_execz .LBB6_440
; %bb.437:                              ;   in Loop: Header=BB6_124 Depth=2
	v_and_b32_e32 v3, 0x7f, v24
	v_cmp_ne_u32_e32 vcc, s76, v3
	v_mov_b32_e32 v0, 0x7f800001
	s_and_saveexec_b64 s[62:63], vcc
	s_cbranch_execz .LBB6_439
; %bb.438:                              ;   in Loop: Header=BB6_124 Depth=2
	v_and_b32_e32 v0, 7, v24
	v_ffbh_u32_e32 v0, v0
	v_min_u32_e32 v0, 32, v0
	v_subrev_u32_e32 v5, 28, v0
	v_cmp_gt_u32_e32 vcc, 8, v3
	v_lshrrev_b32_e32 v4, 3, v3
	v_sub_u32_e32 v0, 29, v0
	v_cndmask_b32_e32 v3, 0, v5, vcc
	v_cndmask_b32_e32 v0, v4, v0, vcc
	v_lshlrev_b64 v[4:5], v3, v[24:25]
	v_lshlrev_b32_e32 v3, 20, v4
	v_lshlrev_b32_e32 v4, 24, v24
	v_and_b32_e32 v3, 0x700000, v3
	v_and_b32_e32 v4, 0x80000000, v4
	v_lshl_add_u32 v0, v0, 23, v26
	v_or3_b32 v0, v4, v0, v3
.LBB6_439:                              ;   in Loop: Header=BB6_124 Depth=2
	s_or_b64 exec, exec, s[62:63]
.LBB6_440:                              ;   in Loop: Header=BB6_124 Depth=2
	s_or_b64 exec, exec, s[60:61]
.LBB6_441:                              ;   in Loop: Header=BB6_124 Depth=2
	s_or_b64 exec, exec, s[24:25]
	v_cmp_ne_u16_sdwa vcc, v20, v55 src0_sel:BYTE_0 src1_sel:DWORD
	s_and_saveexec_b64 s[24:25], vcc
	s_cbranch_execz .LBB6_447
; %bb.442:                              ;   in Loop: Header=BB6_124 Depth=2
	v_cmp_ne_u16_sdwa vcc, v20, s75 src0_sel:BYTE_0 src1_sel:DWORD
	v_bfrev_b32_e32 v2, 1
	s_and_saveexec_b64 s[60:61], vcc
	s_cbranch_execz .LBB6_446
; %bb.443:                              ;   in Loop: Header=BB6_124 Depth=2
	v_and_b32_e32 v3, 0x7f, v20
	v_cmp_ne_u32_e32 vcc, s76, v3
	v_mov_b32_e32 v2, 0x7f800001
	s_and_saveexec_b64 s[62:63], vcc
	s_cbranch_execz .LBB6_445
; %bb.444:                              ;   in Loop: Header=BB6_124 Depth=2
	v_and_b32_e32 v2, 7, v20
	v_ffbh_u32_e32 v2, v2
	v_min_u32_e32 v2, 32, v2
	v_lshrrev_b32_e32 v4, 3, v3
	v_subrev_u32_e32 v5, 28, v2
	v_sub_u32_e32 v2, 29, v2
	v_cmp_gt_u32_e32 vcc, 8, v3
	v_cndmask_b32_e32 v4, v4, v2, vcc
	v_cndmask_b32_e32 v2, 0, v5, vcc
	v_lshlrev_b64 v[2:3], v2, v[20:21]
	v_lshlrev_b32_e32 v2, 20, v2
	v_lshlrev_b32_e32 v3, 24, v20
	v_and_b32_e32 v2, 0x700000, v2
	v_and_b32_e32 v3, 0x80000000, v3
	v_lshl_add_u32 v4, v4, 23, v26
	v_or3_b32 v2, v3, v4, v2
.LBB6_445:                              ;   in Loop: Header=BB6_124 Depth=2
	s_or_b64 exec, exec, s[62:63]
.LBB6_446:                              ;   in Loop: Header=BB6_124 Depth=2
	s_or_b64 exec, exec, s[60:61]
.LBB6_447:                              ;   in Loop: Header=BB6_124 Depth=2
	s_or_b64 exec, exec, s[24:25]
	v_max_f32_e32 v2, v2, v2
	v_max_f32_e32 v0, v0, v0
	;; [unrolled: 1-line block ×3, first 2 shown]
	s_branch .LBB6_472
.LBB6_448:                              ;   in Loop: Header=BB6_124 Depth=2
	v_and_b32_e32 v4, 0x7fffffff, v3
	v_mov_b32_e32 v5, v55
	v_cmp_gt_u64_e32 vcc, s[46:47], v[4:5]
	s_and_saveexec_b64 s[60:61], vcc
	s_cbranch_execz .LBB6_456
; %bb.449:                              ;   in Loop: Header=BB6_124 Depth=2
	v_cmp_ne_u32_e32 vcc, 0, v3
	v_mov_b32_e32 v23, 0
	s_and_saveexec_b64 s[62:63], vcc
	s_cbranch_execz .LBB6_455
; %bb.450:                              ;   in Loop: Header=BB6_124 Depth=2
	v_bfe_u32 v2, v3, 23, 8
	v_sub_u32_e32 v4, 0x79, v2
	v_cmp_gt_u32_e32 vcc, s78, v2
	v_cndmask_b32_e32 v4, 0, v4, vcc
	v_cmp_eq_u32_e32 vcc, 0, v2
	v_or_b32_e32 v5, 0x800000, v54
	v_cndmask_b32_e32 v4, v4, v32, vcc
	v_add_u32_e32 v3, 0xffffff81, v2
	v_cndmask_b32_e32 v54, v5, v54, vcc
	v_add_u32_e32 v2, 20, v4
	v_cndmask_b32_e32 v18, v3, v33, vcc
	v_lshlrev_b64 v[2:3], v2, -1
	v_add_u32_e32 v5, 19, v4
	v_lshrrev_b64 v[8:9], v4, v[54:55]
	v_not_b32_e32 v3, v3
	v_not_b32_e32 v2, v2
	v_lshlrev_b64 v[6:7], v5, 1
	v_lshrrev_b32_e32 v5, 23, v8
	v_and_b32_e32 v3, 0, v3
	v_and_b32_e32 v2, v54, v2
	v_add3_u32 v18, v4, v18, v5
	v_bfe_u32 v4, v8, 20, 1
	v_add_u32_e32 v4, -1, v4
	v_cmp_eq_u64_e32 vcc, v[2:3], v[6:7]
	v_cndmask_b32_e32 v2, 0, v4, vcc
	v_add_u32_e32 v2, v2, v8
	v_and_b32_e32 v2, 0xfffff, v2
	v_add_co_u32_e32 v2, vcc, v2, v8
	v_add_u32_e32 v5, 6, v18
	v_addc_co_u32_e32 v3, vcc, 0, v9, vcc
	v_cmp_ne_u32_e32 vcc, 0, v5
                                        ; implicit-def: $vgpr4
	s_and_saveexec_b64 s[22:23], vcc
	s_xor_b64 s[22:23], exec, s[22:23]
; %bb.451:                              ;   in Loop: Header=BB6_124 Depth=2
	v_add_u32_e32 v4, 7, v18
	v_cmp_lt_u64_e32 vcc, s[50:51], v[2:3]
	v_cndmask_b32_e32 v4, v5, v4, vcc
	v_cndmask_b32_e64 v5, 0, 1, vcc
	v_lshrrev_b64 v[2:3], v5, v[2:3]
; %bb.452:                              ;   in Loop: Header=BB6_124 Depth=2
	s_andn2_saveexec_b64 s[22:23], s[22:23]
; %bb.453:                              ;   in Loop: Header=BB6_124 Depth=2
	v_bfe_u32 v4, v2, 23, 1
; %bb.454:                              ;   in Loop: Header=BB6_124 Depth=2
	s_or_b64 exec, exec, s[22:23]
	v_lshrrev_b64 v[2:3], 20, v[2:3]
	v_cmp_gt_i32_e32 vcc, 16, v4
	v_cndmask_b32_e32 v3, 0, v3, vcc
	v_cndmask_b32_e32 v2, 7, v2, vcc
	v_cmp_eq_u64_e64 s[22:23], 0, v[2:3]
	v_min_i32_e32 v3, 15, v4
	v_lshlrev_b32_e32 v3, 3, v3
	v_cmp_eq_u32_e32 vcc, 0, v4
	v_and_b32_e32 v3, 0xf8, v3
	v_and_or_b32 v2, v2, 7, v3
	s_and_b64 s[22:23], vcc, s[22:23]
	v_cndmask_b32_e64 v2, v2, 0, s[22:23]
	v_or_b32_e32 v23, v2, v0
.LBB6_455:                              ;   in Loop: Header=BB6_124 Depth=2
	s_or_b64 exec, exec, s[62:63]
.LBB6_456:                              ;   in Loop: Header=BB6_124 Depth=2
	s_or_b64 exec, exec, s[60:61]
                                        ; implicit-def: $vgpr3
	s_andn2_saveexec_b64 s[22:23], s[24:25]
	s_cbranch_execz .LBB6_434
.LBB6_457:                              ;   in Loop: Header=BB6_124 Depth=2
	v_or_b32_sdwa v0, v3, s76 dst_sel:DWORD dst_unused:UNUSED_PAD src0_sel:BYTE_3 src1_sel:DWORD
	v_cmp_eq_u64_e32 vcc, 0, v[54:55]
	v_cndmask_b32_e32 v23, v0, v23, vcc
	s_or_b64 exec, exec, s[22:23]
	v_cmp_ne_u16_sdwa s[22:23], v24, v55 src0_sel:BYTE_0 src1_sel:DWORD
	s_and_b64 vcc, exec, s[58:59]
	s_cbranch_vccnz .LBB6_435
.LBB6_458:                              ;   in Loop: Header=BB6_124 Depth=2
                                        ; implicit-def: $vgpr2
	s_cbranch_execz .LBB6_472
; %bb.459:                              ;   in Loop: Header=BB6_124 Depth=2
	v_mov_b32_e32 v2, 0
	v_mov_b32_e32 v0, 0
	s_and_saveexec_b64 s[24:25], s[22:23]
	s_cbranch_execz .LBB6_465
; %bb.460:                              ;   in Loop: Header=BB6_124 Depth=2
	v_cmp_ne_u16_sdwa vcc, v24, s75 src0_sel:BYTE_0 src1_sel:DWORD
	v_bfrev_b32_e32 v0, 1
	s_and_saveexec_b64 s[22:23], vcc
	s_cbranch_execz .LBB6_464
; %bb.461:                              ;   in Loop: Header=BB6_124 Depth=2
	v_and_b32_e32 v3, 0x7f, v24
	v_cmp_ne_u32_e32 vcc, s76, v3
	v_mov_b32_e32 v0, 0x7f800001
	s_and_saveexec_b64 s[60:61], vcc
	s_cbranch_execz .LBB6_463
; %bb.462:                              ;   in Loop: Header=BB6_124 Depth=2
	v_and_b32_e32 v0, 7, v24
	v_ffbh_u32_e32 v0, v0
	v_min_u32_e32 v0, 32, v0
	v_subrev_u32_e32 v5, 28, v0
	v_cmp_gt_u32_e32 vcc, 8, v3
	v_lshrrev_b32_e32 v4, 3, v3
	v_sub_u32_e32 v0, 29, v0
	v_cndmask_b32_e32 v3, 0, v5, vcc
	v_cndmask_b32_e32 v0, v4, v0, vcc
	v_lshlrev_b64 v[4:5], v3, v[24:25]
	v_lshlrev_b32_e32 v3, 20, v4
	v_lshlrev_b32_e32 v4, 24, v24
	v_and_b32_e32 v3, 0x700000, v3
	v_and_b32_e32 v4, 0x80000000, v4
	v_lshl_add_u32 v0, v0, 23, v26
	v_or3_b32 v0, v4, v0, v3
.LBB6_463:                              ;   in Loop: Header=BB6_124 Depth=2
	s_or_b64 exec, exec, s[60:61]
.LBB6_464:                              ;   in Loop: Header=BB6_124 Depth=2
	s_or_b64 exec, exec, s[22:23]
.LBB6_465:                              ;   in Loop: Header=BB6_124 Depth=2
	s_or_b64 exec, exec, s[24:25]
	v_cmp_ne_u16_sdwa s[24:25], v20, v55 src0_sel:BYTE_0 src1_sel:DWORD
	s_and_saveexec_b64 s[22:23], s[24:25]
	s_cbranch_execz .LBB6_471
; %bb.466:                              ;   in Loop: Header=BB6_124 Depth=2
	v_cmp_ne_u16_sdwa vcc, v20, s75 src0_sel:BYTE_0 src1_sel:DWORD
	v_bfrev_b32_e32 v2, 1
	s_and_saveexec_b64 s[24:25], vcc
	s_cbranch_execz .LBB6_470
; %bb.467:                              ;   in Loop: Header=BB6_124 Depth=2
	v_and_b32_e32 v3, 0x7f, v20
	v_cmp_ne_u32_e32 vcc, s76, v3
	v_mov_b32_e32 v2, 0x7f800001
	s_and_saveexec_b64 s[60:61], vcc
	s_cbranch_execz .LBB6_469
; %bb.468:                              ;   in Loop: Header=BB6_124 Depth=2
	v_and_b32_e32 v2, 7, v20
	v_ffbh_u32_e32 v2, v2
	v_min_u32_e32 v2, 32, v2
	v_lshrrev_b32_e32 v4, 3, v3
	v_subrev_u32_e32 v5, 28, v2
	v_sub_u32_e32 v2, 29, v2
	v_cmp_gt_u32_e32 vcc, 8, v3
	v_cndmask_b32_e32 v4, v4, v2, vcc
	v_cndmask_b32_e32 v2, 0, v5, vcc
	v_lshlrev_b64 v[2:3], v2, v[20:21]
	v_lshlrev_b32_e32 v2, 20, v2
	v_lshlrev_b32_e32 v3, 24, v20
	v_and_b32_e32 v2, 0x700000, v2
	v_and_b32_e32 v3, 0x80000000, v3
	v_lshl_add_u32 v4, v4, 23, v26
	v_or3_b32 v2, v3, v4, v2
.LBB6_469:                              ;   in Loop: Header=BB6_124 Depth=2
	s_or_b64 exec, exec, s[60:61]
.LBB6_470:                              ;   in Loop: Header=BB6_124 Depth=2
	s_or_b64 exec, exec, s[24:25]
.LBB6_471:                              ;   in Loop: Header=BB6_124 Depth=2
	s_or_b64 exec, exec, s[22:23]
	v_max_f32_e32 v2, v2, v2
	v_max_f32_e32 v0, v0, v0
	v_min_f32_e32 v2, v0, v2
.LBB6_472:                              ;   in Loop: Header=BB6_124 Depth=2
	v_and_b32_sdwa v0, v2, s75 dst_sel:DWORD dst_unused:UNUSED_PAD src0_sel:BYTE_3 src1_sel:DWORD
	v_and_b32_e32 v4, 0x7f800000, v2
	v_mov_b32_e32 v5, v55
	v_and_b32_e32 v54, 0x7fffff, v2
	v_or_b32_e32 v28, 0x7e, v0
	v_cmp_ne_u64_e32 vcc, s[44:45], v[4:5]
	s_and_saveexec_b64 s[22:23], vcc
	s_xor_b64 s[24:25], exec, s[22:23]
	s_cbranch_execz .LBB6_482
; %bb.473:                              ;   in Loop: Header=BB6_124 Depth=2
	v_and_b32_e32 v4, 0x7fffffff, v2
	v_mov_b32_e32 v5, v55
	v_cmp_gt_u64_e32 vcc, s[46:47], v[4:5]
	s_and_saveexec_b64 s[60:61], vcc
	s_cbranch_execz .LBB6_481
; %bb.474:                              ;   in Loop: Header=BB6_124 Depth=2
	v_cmp_ne_u32_e32 vcc, 0, v2
	v_mov_b32_e32 v28, 0
	s_and_saveexec_b64 s[62:63], vcc
	s_cbranch_execz .LBB6_480
; %bb.475:                              ;   in Loop: Header=BB6_124 Depth=2
	v_bfe_u32 v2, v2, 23, 8
	v_sub_u32_e32 v4, 0x79, v2
	v_cmp_gt_u32_e32 vcc, s78, v2
	v_cndmask_b32_e32 v4, 0, v4, vcc
	v_cmp_eq_u32_e32 vcc, 0, v2
	v_or_b32_e32 v5, 0x800000, v54
	v_cndmask_b32_e32 v4, v4, v32, vcc
	v_add_u32_e32 v3, 0xffffff81, v2
	v_cndmask_b32_e32 v54, v5, v54, vcc
	v_add_u32_e32 v2, 20, v4
	v_cndmask_b32_e32 v18, v3, v33, vcc
	v_lshlrev_b64 v[2:3], v2, -1
	v_add_u32_e32 v5, 19, v4
	v_lshrrev_b64 v[8:9], v4, v[54:55]
	v_not_b32_e32 v3, v3
	v_not_b32_e32 v2, v2
	v_lshlrev_b64 v[6:7], v5, 1
	v_lshrrev_b32_e32 v5, 23, v8
	v_and_b32_e32 v3, 0, v3
	v_and_b32_e32 v2, v54, v2
	v_add3_u32 v18, v4, v18, v5
	v_bfe_u32 v4, v8, 20, 1
	v_add_u32_e32 v4, -1, v4
	v_cmp_eq_u64_e32 vcc, v[2:3], v[6:7]
	v_cndmask_b32_e32 v2, 0, v4, vcc
	v_add_u32_e32 v2, v2, v8
	v_and_b32_e32 v2, 0xfffff, v2
	v_add_co_u32_e32 v2, vcc, v2, v8
	v_add_u32_e32 v5, 6, v18
	v_addc_co_u32_e32 v3, vcc, 0, v9, vcc
	v_cmp_ne_u32_e32 vcc, 0, v5
                                        ; implicit-def: $vgpr4
	s_and_saveexec_b64 s[22:23], vcc
	s_xor_b64 s[22:23], exec, s[22:23]
; %bb.476:                              ;   in Loop: Header=BB6_124 Depth=2
	v_add_u32_e32 v4, 7, v18
	v_cmp_lt_u64_e32 vcc, s[50:51], v[2:3]
	v_cndmask_b32_e32 v4, v5, v4, vcc
	v_cndmask_b32_e64 v5, 0, 1, vcc
	v_lshrrev_b64 v[2:3], v5, v[2:3]
; %bb.477:                              ;   in Loop: Header=BB6_124 Depth=2
	s_andn2_saveexec_b64 s[22:23], s[22:23]
; %bb.478:                              ;   in Loop: Header=BB6_124 Depth=2
	v_bfe_u32 v4, v2, 23, 1
; %bb.479:                              ;   in Loop: Header=BB6_124 Depth=2
	s_or_b64 exec, exec, s[22:23]
	v_lshrrev_b64 v[2:3], 20, v[2:3]
	v_cmp_gt_i32_e32 vcc, 16, v4
	v_cndmask_b32_e32 v3, 0, v3, vcc
	v_cndmask_b32_e32 v2, 7, v2, vcc
	v_cmp_eq_u64_e64 s[22:23], 0, v[2:3]
	v_min_i32_e32 v3, 15, v4
	v_cmp_eq_u32_e32 vcc, 0, v4
	v_lshlrev_b32_e32 v3, 3, v3
	v_and_or_b32 v2, v2, 7, v3
	s_and_b64 s[22:23], vcc, s[22:23]
	v_cndmask_b32_e64 v2, v2, 0, s[22:23]
	v_or_b32_e32 v28, v2, v0
.LBB6_480:                              ;   in Loop: Header=BB6_124 Depth=2
	s_or_b64 exec, exec, s[62:63]
.LBB6_481:                              ;   in Loop: Header=BB6_124 Depth=2
	s_or_b64 exec, exec, s[60:61]
                                        ; implicit-def: $vgpr2
.LBB6_482:                              ;   in Loop: Header=BB6_124 Depth=2
	s_andn2_saveexec_b64 s[22:23], s[24:25]
; %bb.483:                              ;   in Loop: Header=BB6_124 Depth=2
	v_or_b32_sdwa v0, v2, s76 dst_sel:DWORD dst_unused:UNUSED_PAD src0_sel:BYTE_3 src1_sel:DWORD
	v_cmp_eq_u64_e32 vcc, 0, v[54:55]
	v_cndmask_b32_e32 v28, v0, v28, vcc
; %bb.484:                              ;   in Loop: Header=BB6_124 Depth=2
	s_or_b64 exec, exec, s[22:23]
	v_lshrrev_b16_e32 v18, 8, v24
	v_lshrrev_b16_e32 v2, 8, v20
	v_cmp_ne_u16_e64 s[22:23], 0, v18
	s_and_b64 vcc, exec, s[58:59]
	s_cbranch_vccz .LBB6_498
; %bb.485:                              ;   in Loop: Header=BB6_124 Depth=2
	v_mov_b32_e32 v3, 0
	v_mov_b32_e32 v0, 0
	s_and_saveexec_b64 s[24:25], s[22:23]
	s_cbranch_execz .LBB6_491
; %bb.486:                              ;   in Loop: Header=BB6_124 Depth=2
	v_cmp_ne_u16_e32 vcc, s75, v18
	v_bfrev_b32_e32 v0, 1
	s_and_saveexec_b64 s[60:61], vcc
	s_cbranch_execz .LBB6_490
; %bb.487:                              ;   in Loop: Header=BB6_124 Depth=2
	v_and_b32_e32 v4, 0x7f, v18
	v_cmp_ne_u32_e32 vcc, s76, v4
	v_mov_b32_e32 v0, 0x7f800001
	s_and_saveexec_b64 s[62:63], vcc
	s_cbranch_execz .LBB6_489
; %bb.488:                              ;   in Loop: Header=BB6_124 Depth=2
	v_and_b32_e32 v0, 7, v18
	v_ffbh_u32_e32 v6, v0
	v_min_u32_e32 v8, 32, v6
	v_subrev_u32_e32 v6, 28, v8
	v_lshlrev_b64 v[6:7], v6, v[18:19]
	v_lshrrev_b32_e32 v5, 3, v4
	v_sub_u32_e32 v7, 29, v8
	v_and_b32_e32 v6, 7, v6
	v_cmp_gt_u32_e32 vcc, 8, v4
	v_cndmask_b32_e32 v4, v5, v7, vcc
	v_cndmask_b32_e32 v0, v0, v6, vcc
	v_lshlrev_b32_e32 v5, 16, v24
	v_lshlrev_b32_e32 v0, 20, v0
	v_and_b32_e32 v5, 0x80000000, v5
	v_lshl_add_u32 v4, v4, 23, v26
	v_or3_b32 v0, v5, v4, v0
.LBB6_489:                              ;   in Loop: Header=BB6_124 Depth=2
	s_or_b64 exec, exec, s[62:63]
.LBB6_490:                              ;   in Loop: Header=BB6_124 Depth=2
	s_or_b64 exec, exec, s[60:61]
.LBB6_491:                              ;   in Loop: Header=BB6_124 Depth=2
	s_or_b64 exec, exec, s[24:25]
	v_cmp_ne_u16_e32 vcc, 0, v2
	s_and_saveexec_b64 s[24:25], vcc
	s_cbranch_execz .LBB6_497
; %bb.492:                              ;   in Loop: Header=BB6_124 Depth=2
	v_cmp_ne_u16_e32 vcc, s75, v2
	v_bfrev_b32_e32 v3, 1
	s_and_saveexec_b64 s[60:61], vcc
	s_cbranch_execz .LBB6_496
; %bb.493:                              ;   in Loop: Header=BB6_124 Depth=2
	v_and_b32_e32 v4, 0x7f, v2
	v_cmp_ne_u32_e32 vcc, s76, v4
	v_mov_b32_e32 v3, 0x7f800001
	s_and_saveexec_b64 s[62:63], vcc
	s_cbranch_execz .LBB6_495
; %bb.494:                              ;   in Loop: Header=BB6_124 Depth=2
	v_and_b32_e32 v3, 7, v2
	v_ffbh_u32_e32 v6, v3
	v_min_u32_e32 v8, 32, v6
	v_subrev_u32_e32 v6, 28, v8
	v_lshlrev_b64 v[6:7], v6, v[2:3]
	v_lshrrev_b32_e32 v5, 3, v4
	v_sub_u32_e32 v7, 29, v8
	v_and_b32_e32 v6, 7, v6
	v_cmp_gt_u32_e32 vcc, 8, v4
	v_cndmask_b32_e32 v4, v5, v7, vcc
	v_cndmask_b32_e32 v3, v3, v6, vcc
	v_lshlrev_b32_e32 v5, 16, v20
	v_lshlrev_b32_e32 v3, 20, v3
	v_and_b32_e32 v5, 0x80000000, v5
	v_lshl_add_u32 v4, v4, 23, v26
	v_or3_b32 v3, v5, v4, v3
.LBB6_495:                              ;   in Loop: Header=BB6_124 Depth=2
	s_or_b64 exec, exec, s[62:63]
.LBB6_496:                              ;   in Loop: Header=BB6_124 Depth=2
	s_or_b64 exec, exec, s[60:61]
.LBB6_497:                              ;   in Loop: Header=BB6_124 Depth=2
	s_or_b64 exec, exec, s[24:25]
	v_max_f32_e32 v3, v3, v3
	v_max_f32_e32 v0, v0, v0
	;; [unrolled: 1-line block ×3, first 2 shown]
	s_branch .LBB6_512
.LBB6_498:                              ;   in Loop: Header=BB6_124 Depth=2
                                        ; implicit-def: $vgpr3
	s_cbranch_execz .LBB6_512
; %bb.499:                              ;   in Loop: Header=BB6_124 Depth=2
	v_mov_b32_e32 v3, 0
	v_mov_b32_e32 v0, 0
	s_and_saveexec_b64 s[24:25], s[22:23]
	s_cbranch_execz .LBB6_505
; %bb.500:                              ;   in Loop: Header=BB6_124 Depth=2
	v_cmp_ne_u16_e32 vcc, s75, v18
	v_bfrev_b32_e32 v0, 1
	s_and_saveexec_b64 s[22:23], vcc
	s_cbranch_execz .LBB6_504
; %bb.501:                              ;   in Loop: Header=BB6_124 Depth=2
	v_and_b32_e32 v4, 0x7f, v18
	v_cmp_ne_u32_e32 vcc, s76, v4
	v_mov_b32_e32 v0, 0x7f800001
	s_and_saveexec_b64 s[60:61], vcc
	s_cbranch_execz .LBB6_503
; %bb.502:                              ;   in Loop: Header=BB6_124 Depth=2
	v_and_b32_e32 v0, 7, v18
	v_ffbh_u32_e32 v6, v0
	v_min_u32_e32 v8, 32, v6
	v_subrev_u32_e32 v6, 28, v8
	v_lshlrev_b64 v[6:7], v6, v[18:19]
	v_lshrrev_b32_e32 v5, 3, v4
	v_sub_u32_e32 v7, 29, v8
	v_and_b32_e32 v6, 7, v6
	v_cmp_gt_u32_e32 vcc, 8, v4
	v_cndmask_b32_e32 v4, v5, v7, vcc
	v_cndmask_b32_e32 v0, v0, v6, vcc
	v_lshlrev_b32_e32 v5, 16, v24
	v_lshlrev_b32_e32 v0, 20, v0
	v_and_b32_e32 v5, 0x80000000, v5
	v_lshl_add_u32 v4, v4, 23, v26
	v_or3_b32 v0, v5, v4, v0
.LBB6_503:                              ;   in Loop: Header=BB6_124 Depth=2
	s_or_b64 exec, exec, s[60:61]
.LBB6_504:                              ;   in Loop: Header=BB6_124 Depth=2
	s_or_b64 exec, exec, s[22:23]
.LBB6_505:                              ;   in Loop: Header=BB6_124 Depth=2
	s_or_b64 exec, exec, s[24:25]
	v_cmp_ne_u16_e32 vcc, 0, v2
	s_and_saveexec_b64 s[22:23], vcc
	s_cbranch_execz .LBB6_511
; %bb.506:                              ;   in Loop: Header=BB6_124 Depth=2
	v_cmp_ne_u16_e32 vcc, s75, v2
	v_bfrev_b32_e32 v3, 1
	s_and_saveexec_b64 s[24:25], vcc
	s_cbranch_execz .LBB6_510
; %bb.507:                              ;   in Loop: Header=BB6_124 Depth=2
	v_and_b32_e32 v4, 0x7f, v2
	v_cmp_ne_u32_e32 vcc, s76, v4
	v_mov_b32_e32 v3, 0x7f800001
	s_and_saveexec_b64 s[60:61], vcc
	s_cbranch_execz .LBB6_509
; %bb.508:                              ;   in Loop: Header=BB6_124 Depth=2
	v_and_b32_e32 v5, 7, v2
	v_ffbh_u32_e32 v3, v5
	v_min_u32_e32 v7, 32, v3
	v_subrev_u32_e32 v3, 28, v7
	v_lshlrev_b64 v[2:3], v3, v[2:3]
	v_lshrrev_b32_e32 v6, 3, v4
	v_sub_u32_e32 v3, 29, v7
	v_and_b32_e32 v2, 7, v2
	v_cmp_gt_u32_e32 vcc, 8, v4
	v_cndmask_b32_e32 v3, v6, v3, vcc
	v_cndmask_b32_e32 v2, v5, v2, vcc
	v_lshlrev_b32_e32 v4, 16, v20
	v_lshlrev_b32_e32 v2, 20, v2
	v_and_b32_e32 v4, 0x80000000, v4
	v_lshl_add_u32 v3, v3, 23, v26
	v_or3_b32 v3, v4, v3, v2
.LBB6_509:                              ;   in Loop: Header=BB6_124 Depth=2
	s_or_b64 exec, exec, s[60:61]
.LBB6_510:                              ;   in Loop: Header=BB6_124 Depth=2
	s_or_b64 exec, exec, s[24:25]
.LBB6_511:                              ;   in Loop: Header=BB6_124 Depth=2
	s_or_b64 exec, exec, s[22:23]
	v_max_f32_e32 v2, v3, v3
	v_max_f32_e32 v0, v0, v0
	v_min_f32_e32 v3, v0, v2
.LBB6_512:                              ;   in Loop: Header=BB6_124 Depth=2
	v_and_b32_sdwa v0, v3, s75 dst_sel:DWORD dst_unused:UNUSED_PAD src0_sel:BYTE_3 src1_sel:DWORD
	v_and_b32_e32 v4, 0x7f800000, v3
	v_mov_b32_e32 v5, v55
	v_and_b32_e32 v54, 0x7fffff, v3
	v_or_b32_e32 v42, 0x7e, v0
	v_cmp_ne_u64_e32 vcc, s[44:45], v[4:5]
	s_and_saveexec_b64 s[22:23], vcc
	s_xor_b64 s[24:25], exec, s[22:23]
	s_cbranch_execz .LBB6_522
; %bb.513:                              ;   in Loop: Header=BB6_124 Depth=2
	v_and_b32_e32 v4, 0x7fffffff, v3
	v_mov_b32_e32 v5, v55
	v_cmp_gt_u64_e32 vcc, s[46:47], v[4:5]
	s_and_saveexec_b64 s[60:61], vcc
	s_cbranch_execz .LBB6_521
; %bb.514:                              ;   in Loop: Header=BB6_124 Depth=2
	v_cmp_ne_u32_e32 vcc, 0, v3
	v_mov_b32_e32 v42, 0
	s_and_saveexec_b64 s[62:63], vcc
	s_cbranch_execz .LBB6_520
; %bb.515:                              ;   in Loop: Header=BB6_124 Depth=2
	v_bfe_u32 v2, v3, 23, 8
	v_sub_u32_e32 v4, 0x79, v2
	v_cmp_gt_u32_e32 vcc, s78, v2
	v_cndmask_b32_e32 v4, 0, v4, vcc
	v_cmp_eq_u32_e32 vcc, 0, v2
	v_or_b32_e32 v5, 0x800000, v54
	v_cndmask_b32_e32 v4, v4, v32, vcc
	v_add_u32_e32 v3, 0xffffff81, v2
	v_cndmask_b32_e32 v54, v5, v54, vcc
	v_add_u32_e32 v2, 20, v4
	v_cndmask_b32_e32 v18, v3, v33, vcc
	v_lshlrev_b64 v[2:3], v2, -1
	v_add_u32_e32 v5, 19, v4
	v_lshrrev_b64 v[8:9], v4, v[54:55]
	v_not_b32_e32 v3, v3
	v_not_b32_e32 v2, v2
	v_lshlrev_b64 v[6:7], v5, 1
	v_lshrrev_b32_e32 v5, 23, v8
	v_and_b32_e32 v3, 0, v3
	v_and_b32_e32 v2, v54, v2
	v_add3_u32 v18, v4, v18, v5
	v_bfe_u32 v4, v8, 20, 1
	v_add_u32_e32 v4, -1, v4
	v_cmp_eq_u64_e32 vcc, v[2:3], v[6:7]
	v_cndmask_b32_e32 v2, 0, v4, vcc
	v_add_u32_e32 v2, v2, v8
	v_and_b32_e32 v2, 0xfffff, v2
	v_add_co_u32_e32 v2, vcc, v2, v8
	v_add_u32_e32 v5, 6, v18
	v_addc_co_u32_e32 v3, vcc, 0, v9, vcc
	v_cmp_ne_u32_e32 vcc, 0, v5
                                        ; implicit-def: $vgpr4
	s_and_saveexec_b64 s[22:23], vcc
	s_xor_b64 s[22:23], exec, s[22:23]
; %bb.516:                              ;   in Loop: Header=BB6_124 Depth=2
	v_add_u32_e32 v4, 7, v18
	v_cmp_lt_u64_e32 vcc, s[50:51], v[2:3]
	v_cndmask_b32_e32 v4, v5, v4, vcc
	v_cndmask_b32_e64 v5, 0, 1, vcc
	v_lshrrev_b64 v[2:3], v5, v[2:3]
; %bb.517:                              ;   in Loop: Header=BB6_124 Depth=2
	s_andn2_saveexec_b64 s[22:23], s[22:23]
; %bb.518:                              ;   in Loop: Header=BB6_124 Depth=2
	v_bfe_u32 v4, v2, 23, 1
; %bb.519:                              ;   in Loop: Header=BB6_124 Depth=2
	s_or_b64 exec, exec, s[22:23]
	v_lshrrev_b64 v[2:3], 20, v[2:3]
	v_cmp_gt_i32_e32 vcc, 16, v4
	v_cndmask_b32_e32 v3, 0, v3, vcc
	v_cndmask_b32_e32 v2, 7, v2, vcc
	v_cmp_eq_u64_e64 s[22:23], 0, v[2:3]
	v_min_i32_e32 v3, 15, v4
	v_cmp_eq_u32_e32 vcc, 0, v4
	v_lshlrev_b32_e32 v3, 3, v3
	v_and_or_b32 v2, v2, 7, v3
	s_and_b64 s[22:23], vcc, s[22:23]
	v_cndmask_b32_e64 v2, v2, 0, s[22:23]
	v_or_b32_e32 v42, v2, v0
.LBB6_520:                              ;   in Loop: Header=BB6_124 Depth=2
	s_or_b64 exec, exec, s[62:63]
.LBB6_521:                              ;   in Loop: Header=BB6_124 Depth=2
	s_or_b64 exec, exec, s[60:61]
                                        ; implicit-def: $vgpr3
.LBB6_522:                              ;   in Loop: Header=BB6_124 Depth=2
	s_andn2_saveexec_b64 s[22:23], s[24:25]
; %bb.523:                              ;   in Loop: Header=BB6_124 Depth=2
	v_or_b32_sdwa v0, v3, s76 dst_sel:DWORD dst_unused:UNUSED_PAD src0_sel:BYTE_3 src1_sel:DWORD
	v_cmp_eq_u64_e32 vcc, 0, v[54:55]
	v_cndmask_b32_e32 v42, v0, v42, vcc
; %bb.524:                              ;   in Loop: Header=BB6_124 Depth=2
	s_or_b64 exec, exec, s[22:23]
	v_lshrrev_b32_e32 v18, 16, v24
	v_lshrrev_b32_e32 v2, 16, v20
	v_cmp_ne_u16_sdwa s[22:23], v18, v55 src0_sel:BYTE_0 src1_sel:DWORD
	s_and_b64 vcc, exec, s[58:59]
	s_cbranch_vccz .LBB6_538
; %bb.525:                              ;   in Loop: Header=BB6_124 Depth=2
	v_mov_b32_e32 v3, 0
	v_mov_b32_e32 v0, 0
	s_and_saveexec_b64 s[24:25], s[22:23]
	s_cbranch_execz .LBB6_531
; %bb.526:                              ;   in Loop: Header=BB6_124 Depth=2
	v_cmp_ne_u16_sdwa vcc, v18, s75 src0_sel:BYTE_0 src1_sel:DWORD
	v_bfrev_b32_e32 v0, 1
	s_and_saveexec_b64 s[60:61], vcc
	s_cbranch_execz .LBB6_530
; %bb.527:                              ;   in Loop: Header=BB6_124 Depth=2
	v_bfe_u32 v4, v24, 16, 7
	v_cmp_ne_u32_e32 vcc, s76, v4
	v_mov_b32_e32 v0, 0x7f800001
	s_and_saveexec_b64 s[62:63], vcc
	s_cbranch_execz .LBB6_529
; %bb.528:                              ;   in Loop: Header=BB6_124 Depth=2
	v_and_b32_e32 v0, 7, v18
	v_ffbh_u32_e32 v6, v0
	v_min_u32_e32 v8, 32, v6
	v_subrev_u32_e32 v6, 28, v8
	v_lshlrev_b64 v[6:7], v6, v[18:19]
	v_lshrrev_b32_e32 v5, 3, v4
	v_sub_u32_e32 v7, 29, v8
	v_and_b32_e32 v6, 7, v6
	v_cmp_gt_u32_e32 vcc, 8, v4
	v_cndmask_b32_e32 v4, v5, v7, vcc
	v_cndmask_b32_e32 v0, v0, v6, vcc
	v_lshlrev_b32_e32 v5, 24, v18
	v_lshlrev_b32_e32 v0, 20, v0
	v_and_b32_e32 v5, 0x80000000, v5
	v_lshl_add_u32 v4, v4, 23, v26
	v_or3_b32 v0, v5, v4, v0
.LBB6_529:                              ;   in Loop: Header=BB6_124 Depth=2
	s_or_b64 exec, exec, s[62:63]
.LBB6_530:                              ;   in Loop: Header=BB6_124 Depth=2
	s_or_b64 exec, exec, s[60:61]
.LBB6_531:                              ;   in Loop: Header=BB6_124 Depth=2
	s_or_b64 exec, exec, s[24:25]
	v_cmp_ne_u16_sdwa vcc, v2, v55 src0_sel:BYTE_0 src1_sel:DWORD
	s_and_saveexec_b64 s[24:25], vcc
	s_cbranch_execz .LBB6_537
; %bb.532:                              ;   in Loop: Header=BB6_124 Depth=2
	v_cmp_ne_u16_sdwa vcc, v2, s75 src0_sel:BYTE_0 src1_sel:DWORD
	v_bfrev_b32_e32 v3, 1
	s_and_saveexec_b64 s[60:61], vcc
	s_cbranch_execz .LBB6_536
; %bb.533:                              ;   in Loop: Header=BB6_124 Depth=2
	v_bfe_u32 v4, v20, 16, 7
	v_cmp_ne_u32_e32 vcc, s76, v4
	v_mov_b32_e32 v3, 0x7f800001
	s_and_saveexec_b64 s[62:63], vcc
	s_cbranch_execz .LBB6_535
; %bb.534:                              ;   in Loop: Header=BB6_124 Depth=2
	v_and_b32_e32 v3, 7, v2
	v_ffbh_u32_e32 v6, v3
	v_min_u32_e32 v8, 32, v6
	v_subrev_u32_e32 v6, 28, v8
	v_lshlrev_b64 v[6:7], v6, v[2:3]
	v_lshrrev_b32_e32 v5, 3, v4
	v_sub_u32_e32 v7, 29, v8
	v_and_b32_e32 v6, 7, v6
	v_cmp_gt_u32_e32 vcc, 8, v4
	v_cndmask_b32_e32 v4, v5, v7, vcc
	v_cndmask_b32_e32 v3, v3, v6, vcc
	v_lshlrev_b32_e32 v5, 24, v2
	v_lshlrev_b32_e32 v3, 20, v3
	v_and_b32_e32 v5, 0x80000000, v5
	v_lshl_add_u32 v4, v4, 23, v26
	v_or3_b32 v3, v5, v4, v3
.LBB6_535:                              ;   in Loop: Header=BB6_124 Depth=2
	s_or_b64 exec, exec, s[62:63]
.LBB6_536:                              ;   in Loop: Header=BB6_124 Depth=2
	s_or_b64 exec, exec, s[60:61]
.LBB6_537:                              ;   in Loop: Header=BB6_124 Depth=2
	s_or_b64 exec, exec, s[24:25]
	v_max_f32_e32 v3, v3, v3
	v_max_f32_e32 v0, v0, v0
	;; [unrolled: 1-line block ×3, first 2 shown]
	s_branch .LBB6_552
.LBB6_538:                              ;   in Loop: Header=BB6_124 Depth=2
                                        ; implicit-def: $vgpr3
	s_cbranch_execz .LBB6_552
; %bb.539:                              ;   in Loop: Header=BB6_124 Depth=2
	v_mov_b32_e32 v3, 0
	v_mov_b32_e32 v0, 0
	s_and_saveexec_b64 s[24:25], s[22:23]
	s_cbranch_execz .LBB6_545
; %bb.540:                              ;   in Loop: Header=BB6_124 Depth=2
	v_cmp_ne_u16_sdwa vcc, v18, s75 src0_sel:BYTE_0 src1_sel:DWORD
	v_bfrev_b32_e32 v0, 1
	s_and_saveexec_b64 s[22:23], vcc
	s_cbranch_execz .LBB6_544
; %bb.541:                              ;   in Loop: Header=BB6_124 Depth=2
	v_bfe_u32 v4, v24, 16, 7
	v_cmp_ne_u32_e32 vcc, s76, v4
	v_mov_b32_e32 v0, 0x7f800001
	s_and_saveexec_b64 s[60:61], vcc
	s_cbranch_execz .LBB6_543
; %bb.542:                              ;   in Loop: Header=BB6_124 Depth=2
	v_and_b32_e32 v0, 7, v18
	v_ffbh_u32_e32 v6, v0
	v_min_u32_e32 v8, 32, v6
	v_subrev_u32_e32 v6, 28, v8
	v_lshlrev_b64 v[6:7], v6, v[18:19]
	v_lshrrev_b32_e32 v5, 3, v4
	v_sub_u32_e32 v7, 29, v8
	v_and_b32_e32 v6, 7, v6
	v_cmp_gt_u32_e32 vcc, 8, v4
	v_cndmask_b32_e32 v4, v5, v7, vcc
	v_cndmask_b32_e32 v0, v0, v6, vcc
	v_lshlrev_b32_e32 v5, 24, v18
	v_lshlrev_b32_e32 v0, 20, v0
	v_and_b32_e32 v5, 0x80000000, v5
	v_lshl_add_u32 v4, v4, 23, v26
	v_or3_b32 v0, v5, v4, v0
.LBB6_543:                              ;   in Loop: Header=BB6_124 Depth=2
	s_or_b64 exec, exec, s[60:61]
.LBB6_544:                              ;   in Loop: Header=BB6_124 Depth=2
	s_or_b64 exec, exec, s[22:23]
.LBB6_545:                              ;   in Loop: Header=BB6_124 Depth=2
	s_or_b64 exec, exec, s[24:25]
	v_cmp_ne_u16_sdwa s[24:25], v2, v55 src0_sel:BYTE_0 src1_sel:DWORD
	s_and_saveexec_b64 s[22:23], s[24:25]
	s_cbranch_execz .LBB6_551
; %bb.546:                              ;   in Loop: Header=BB6_124 Depth=2
	v_cmp_ne_u16_sdwa vcc, v2, s75 src0_sel:BYTE_0 src1_sel:DWORD
	v_bfrev_b32_e32 v3, 1
	s_and_saveexec_b64 s[24:25], vcc
	s_cbranch_execz .LBB6_550
; %bb.547:                              ;   in Loop: Header=BB6_124 Depth=2
	v_bfe_u32 v4, v20, 16, 7
	v_cmp_ne_u32_e32 vcc, s76, v4
	v_mov_b32_e32 v3, 0x7f800001
	s_and_saveexec_b64 s[60:61], vcc
	s_cbranch_execz .LBB6_549
; %bb.548:                              ;   in Loop: Header=BB6_124 Depth=2
	v_and_b32_e32 v3, 7, v2
	v_ffbh_u32_e32 v6, v3
	v_min_u32_e32 v8, 32, v6
	v_subrev_u32_e32 v6, 28, v8
	v_lshlrev_b64 v[6:7], v6, v[2:3]
	v_lshrrev_b32_e32 v5, 3, v4
	v_sub_u32_e32 v7, 29, v8
	v_and_b32_e32 v6, 7, v6
	v_cmp_gt_u32_e32 vcc, 8, v4
	v_cndmask_b32_e32 v4, v5, v7, vcc
	v_cndmask_b32_e32 v3, v3, v6, vcc
	v_lshlrev_b32_e32 v2, 24, v2
	v_lshlrev_b32_e32 v3, 20, v3
	v_and_b32_e32 v2, 0x80000000, v2
	v_lshl_add_u32 v4, v4, 23, v26
	v_or3_b32 v3, v2, v4, v3
.LBB6_549:                              ;   in Loop: Header=BB6_124 Depth=2
	s_or_b64 exec, exec, s[60:61]
.LBB6_550:                              ;   in Loop: Header=BB6_124 Depth=2
	s_or_b64 exec, exec, s[24:25]
.LBB6_551:                              ;   in Loop: Header=BB6_124 Depth=2
	s_or_b64 exec, exec, s[22:23]
	v_max_f32_e32 v2, v3, v3
	v_max_f32_e32 v0, v0, v0
	v_min_f32_e32 v3, v0, v2
.LBB6_552:                              ;   in Loop: Header=BB6_124 Depth=2
	v_and_b32_sdwa v0, v3, s75 dst_sel:DWORD dst_unused:UNUSED_PAD src0_sel:BYTE_3 src1_sel:DWORD
	v_and_b32_e32 v4, 0x7f800000, v3
	v_mov_b32_e32 v5, v55
	v_and_b32_e32 v54, 0x7fffff, v3
	v_or_b32_e32 v52, 0x7e, v0
	v_cmp_ne_u64_e32 vcc, s[44:45], v[4:5]
	s_and_saveexec_b64 s[22:23], vcc
	s_xor_b64 s[24:25], exec, s[22:23]
	s_cbranch_execz .LBB6_562
; %bb.553:                              ;   in Loop: Header=BB6_124 Depth=2
	v_and_b32_e32 v4, 0x7fffffff, v3
	v_mov_b32_e32 v5, v55
	v_cmp_gt_u64_e32 vcc, s[46:47], v[4:5]
	s_and_saveexec_b64 s[60:61], vcc
	s_cbranch_execz .LBB6_561
; %bb.554:                              ;   in Loop: Header=BB6_124 Depth=2
	v_cmp_ne_u32_e32 vcc, 0, v3
	v_mov_b32_e32 v52, 0
	s_and_saveexec_b64 s[62:63], vcc
	s_cbranch_execz .LBB6_560
; %bb.555:                              ;   in Loop: Header=BB6_124 Depth=2
	v_bfe_u32 v2, v3, 23, 8
	v_sub_u32_e32 v4, 0x79, v2
	v_cmp_gt_u32_e32 vcc, s78, v2
	v_cndmask_b32_e32 v4, 0, v4, vcc
	v_cmp_eq_u32_e32 vcc, 0, v2
	v_or_b32_e32 v5, 0x800000, v54
	v_cndmask_b32_e32 v4, v4, v32, vcc
	v_add_u32_e32 v3, 0xffffff81, v2
	v_cndmask_b32_e32 v54, v5, v54, vcc
	v_add_u32_e32 v2, 20, v4
	v_cndmask_b32_e32 v18, v3, v33, vcc
	v_lshlrev_b64 v[2:3], v2, -1
	v_add_u32_e32 v5, 19, v4
	v_lshrrev_b64 v[8:9], v4, v[54:55]
	v_not_b32_e32 v3, v3
	v_not_b32_e32 v2, v2
	v_lshlrev_b64 v[6:7], v5, 1
	v_lshrrev_b32_e32 v5, 23, v8
	v_and_b32_e32 v3, 0, v3
	v_and_b32_e32 v2, v54, v2
	v_add3_u32 v18, v4, v18, v5
	v_bfe_u32 v4, v8, 20, 1
	v_add_u32_e32 v4, -1, v4
	v_cmp_eq_u64_e32 vcc, v[2:3], v[6:7]
	v_cndmask_b32_e32 v2, 0, v4, vcc
	v_add_u32_e32 v2, v2, v8
	v_and_b32_e32 v2, 0xfffff, v2
	v_add_co_u32_e32 v2, vcc, v2, v8
	v_add_u32_e32 v5, 6, v18
	v_addc_co_u32_e32 v3, vcc, 0, v9, vcc
	v_cmp_ne_u32_e32 vcc, 0, v5
                                        ; implicit-def: $vgpr4
	s_and_saveexec_b64 s[22:23], vcc
	s_xor_b64 s[22:23], exec, s[22:23]
; %bb.556:                              ;   in Loop: Header=BB6_124 Depth=2
	v_add_u32_e32 v4, 7, v18
	v_cmp_lt_u64_e32 vcc, s[50:51], v[2:3]
	v_cndmask_b32_e32 v4, v5, v4, vcc
	v_cndmask_b32_e64 v5, 0, 1, vcc
	v_lshrrev_b64 v[2:3], v5, v[2:3]
; %bb.557:                              ;   in Loop: Header=BB6_124 Depth=2
	s_andn2_saveexec_b64 s[22:23], s[22:23]
; %bb.558:                              ;   in Loop: Header=BB6_124 Depth=2
	v_bfe_u32 v4, v2, 23, 1
; %bb.559:                              ;   in Loop: Header=BB6_124 Depth=2
	s_or_b64 exec, exec, s[22:23]
	v_lshrrev_b64 v[2:3], 20, v[2:3]
	v_cmp_gt_i32_e32 vcc, 16, v4
	v_cndmask_b32_e32 v3, 0, v3, vcc
	v_cndmask_b32_e32 v2, 7, v2, vcc
	v_cmp_eq_u64_e64 s[22:23], 0, v[2:3]
	v_min_i32_e32 v3, 15, v4
	v_cmp_eq_u32_e32 vcc, 0, v4
	v_lshlrev_b32_e32 v3, 3, v3
	v_and_or_b32 v2, v2, 7, v3
	s_and_b64 s[22:23], vcc, s[22:23]
	v_cndmask_b32_e64 v2, v2, 0, s[22:23]
	v_or_b32_e32 v52, v2, v0
.LBB6_560:                              ;   in Loop: Header=BB6_124 Depth=2
	s_or_b64 exec, exec, s[62:63]
.LBB6_561:                              ;   in Loop: Header=BB6_124 Depth=2
	s_or_b64 exec, exec, s[60:61]
                                        ; implicit-def: $vgpr3
.LBB6_562:                              ;   in Loop: Header=BB6_124 Depth=2
	s_andn2_saveexec_b64 s[22:23], s[24:25]
; %bb.563:                              ;   in Loop: Header=BB6_124 Depth=2
	v_or_b32_sdwa v0, v3, s76 dst_sel:DWORD dst_unused:UNUSED_PAD src0_sel:BYTE_3 src1_sel:DWORD
	v_cmp_eq_u64_e32 vcc, 0, v[54:55]
	v_cndmask_b32_e32 v52, v0, v52, vcc
; %bb.564:                              ;   in Loop: Header=BB6_124 Depth=2
	s_or_b64 exec, exec, s[22:23]
	v_lshrrev_b32_e32 v18, 24, v24
	v_lshrrev_b32_e32 v2, 24, v20
	v_cmp_lt_u32_e64 s[22:23], s49, v24
	s_and_b64 vcc, exec, s[58:59]
	s_cbranch_vccz .LBB6_578
; %bb.565:                              ;   in Loop: Header=BB6_124 Depth=2
	v_mov_b32_e32 v3, 0
	v_mov_b32_e32 v0, 0
	s_and_saveexec_b64 s[24:25], s[22:23]
	s_cbranch_execz .LBB6_571
; %bb.566:                              ;   in Loop: Header=BB6_124 Depth=2
	v_cmp_ne_u32_e32 vcc, s75, v18
	v_bfrev_b32_e32 v0, 1
	s_and_saveexec_b64 s[60:61], vcc
	s_cbranch_execz .LBB6_570
; %bb.567:                              ;   in Loop: Header=BB6_124 Depth=2
	v_bfe_u32 v4, v24, 24, 7
	v_cmp_ne_u32_e32 vcc, s76, v4
	v_mov_b32_e32 v0, 0x7f800001
	s_and_saveexec_b64 s[62:63], vcc
	s_cbranch_execz .LBB6_569
; %bb.568:                              ;   in Loop: Header=BB6_124 Depth=2
	v_and_b32_e32 v0, 7, v18
	v_ffbh_u32_e32 v6, v0
	v_min_u32_e32 v8, 32, v6
	v_subrev_u32_e32 v6, 28, v8
	v_lshlrev_b64 v[6:7], v6, v[18:19]
	v_lshrrev_b32_e32 v5, 3, v4
	v_sub_u32_e32 v7, 29, v8
	v_and_b32_e32 v6, 7, v6
	v_cmp_gt_u32_e32 vcc, 8, v4
	v_cndmask_b32_e32 v4, v5, v7, vcc
	v_cndmask_b32_e32 v0, v0, v6, vcc
	v_lshlrev_b32_e32 v5, 24, v18
	v_lshlrev_b32_e32 v0, 20, v0
	v_and_b32_e32 v5, 0x80000000, v5
	v_lshl_add_u32 v4, v4, 23, v26
	v_or3_b32 v0, v5, v4, v0
.LBB6_569:                              ;   in Loop: Header=BB6_124 Depth=2
	s_or_b64 exec, exec, s[62:63]
.LBB6_570:                              ;   in Loop: Header=BB6_124 Depth=2
	s_or_b64 exec, exec, s[60:61]
.LBB6_571:                              ;   in Loop: Header=BB6_124 Depth=2
	s_or_b64 exec, exec, s[24:25]
	v_cmp_lt_u32_e32 vcc, s49, v20
	s_and_saveexec_b64 s[24:25], vcc
	s_cbranch_execz .LBB6_577
; %bb.572:                              ;   in Loop: Header=BB6_124 Depth=2
	v_cmp_ne_u32_e32 vcc, s75, v2
	v_bfrev_b32_e32 v3, 1
	s_and_saveexec_b64 s[60:61], vcc
	s_cbranch_execz .LBB6_576
; %bb.573:                              ;   in Loop: Header=BB6_124 Depth=2
	v_bfe_u32 v4, v20, 24, 7
	v_cmp_ne_u32_e32 vcc, s76, v4
	v_mov_b32_e32 v3, 0x7f800001
	s_and_saveexec_b64 s[62:63], vcc
	s_cbranch_execz .LBB6_575
; %bb.574:                              ;   in Loop: Header=BB6_124 Depth=2
	v_and_b32_e32 v3, 7, v2
	v_ffbh_u32_e32 v6, v3
	v_min_u32_e32 v8, 32, v6
	v_subrev_u32_e32 v6, 28, v8
	v_lshlrev_b64 v[6:7], v6, v[2:3]
	v_lshrrev_b32_e32 v5, 3, v4
	v_sub_u32_e32 v7, 29, v8
	v_and_b32_e32 v6, 7, v6
	v_cmp_gt_u32_e32 vcc, 8, v4
	v_cndmask_b32_e32 v4, v5, v7, vcc
	v_cndmask_b32_e32 v3, v3, v6, vcc
	v_lshlrev_b32_e32 v5, 24, v2
	v_lshlrev_b32_e32 v3, 20, v3
	v_and_b32_e32 v5, 0x80000000, v5
	v_lshl_add_u32 v4, v4, 23, v26
	v_or3_b32 v3, v5, v4, v3
.LBB6_575:                              ;   in Loop: Header=BB6_124 Depth=2
	s_or_b64 exec, exec, s[62:63]
.LBB6_576:                              ;   in Loop: Header=BB6_124 Depth=2
	s_or_b64 exec, exec, s[60:61]
.LBB6_577:                              ;   in Loop: Header=BB6_124 Depth=2
	s_or_b64 exec, exec, s[24:25]
	v_max_f32_e32 v3, v3, v3
	v_max_f32_e32 v0, v0, v0
	;; [unrolled: 1-line block ×3, first 2 shown]
	s_branch .LBB6_592
.LBB6_578:                              ;   in Loop: Header=BB6_124 Depth=2
                                        ; implicit-def: $vgpr3
	s_cbranch_execz .LBB6_592
; %bb.579:                              ;   in Loop: Header=BB6_124 Depth=2
	v_mov_b32_e32 v3, 0
	v_mov_b32_e32 v0, 0
	s_and_saveexec_b64 s[24:25], s[22:23]
	s_cbranch_execz .LBB6_585
; %bb.580:                              ;   in Loop: Header=BB6_124 Depth=2
	v_cmp_ne_u32_e32 vcc, s75, v18
	v_bfrev_b32_e32 v0, 1
	s_and_saveexec_b64 s[22:23], vcc
	s_cbranch_execz .LBB6_584
; %bb.581:                              ;   in Loop: Header=BB6_124 Depth=2
	v_bfe_u32 v4, v24, 24, 7
	v_cmp_ne_u32_e32 vcc, s76, v4
	v_mov_b32_e32 v0, 0x7f800001
	s_and_saveexec_b64 s[60:61], vcc
	s_cbranch_execz .LBB6_583
; %bb.582:                              ;   in Loop: Header=BB6_124 Depth=2
	v_and_b32_e32 v0, 7, v18
	v_ffbh_u32_e32 v6, v0
	v_min_u32_e32 v8, 32, v6
	v_subrev_u32_e32 v6, 28, v8
	v_lshlrev_b64 v[6:7], v6, v[18:19]
	v_lshrrev_b32_e32 v5, 3, v4
	v_sub_u32_e32 v7, 29, v8
	v_and_b32_e32 v6, 7, v6
	v_cmp_gt_u32_e32 vcc, 8, v4
	v_cndmask_b32_e32 v4, v5, v7, vcc
	v_cndmask_b32_e32 v0, v0, v6, vcc
	v_lshlrev_b32_e32 v5, 24, v18
	v_lshlrev_b32_e32 v0, 20, v0
	v_and_b32_e32 v5, 0x80000000, v5
	v_lshl_add_u32 v4, v4, 23, v26
	v_or3_b32 v0, v5, v4, v0
.LBB6_583:                              ;   in Loop: Header=BB6_124 Depth=2
	s_or_b64 exec, exec, s[60:61]
.LBB6_584:                              ;   in Loop: Header=BB6_124 Depth=2
	s_or_b64 exec, exec, s[22:23]
.LBB6_585:                              ;   in Loop: Header=BB6_124 Depth=2
	s_or_b64 exec, exec, s[24:25]
	v_cmp_lt_u32_e32 vcc, s49, v20
	s_and_saveexec_b64 s[22:23], vcc
	s_cbranch_execz .LBB6_591
; %bb.586:                              ;   in Loop: Header=BB6_124 Depth=2
	v_cmp_ne_u32_e32 vcc, s75, v2
	v_bfrev_b32_e32 v3, 1
	s_and_saveexec_b64 s[24:25], vcc
	s_cbranch_execz .LBB6_590
; %bb.587:                              ;   in Loop: Header=BB6_124 Depth=2
	v_bfe_u32 v4, v20, 24, 7
	v_cmp_ne_u32_e32 vcc, s76, v4
	v_mov_b32_e32 v3, 0x7f800001
	s_and_saveexec_b64 s[60:61], vcc
	s_cbranch_execz .LBB6_589
; %bb.588:                              ;   in Loop: Header=BB6_124 Depth=2
	v_and_b32_e32 v3, 7, v2
	v_ffbh_u32_e32 v6, v3
	v_min_u32_e32 v8, 32, v6
	v_subrev_u32_e32 v6, 28, v8
	v_lshlrev_b64 v[6:7], v6, v[2:3]
	v_lshrrev_b32_e32 v5, 3, v4
	v_sub_u32_e32 v7, 29, v8
	v_and_b32_e32 v6, 7, v6
	v_cmp_gt_u32_e32 vcc, 8, v4
	v_cndmask_b32_e32 v4, v5, v7, vcc
	v_cndmask_b32_e32 v3, v3, v6, vcc
	v_lshlrev_b32_e32 v2, 24, v2
	v_lshlrev_b32_e32 v3, 20, v3
	v_and_b32_e32 v2, 0x80000000, v2
	v_lshl_add_u32 v4, v4, 23, v26
	v_or3_b32 v3, v2, v4, v3
.LBB6_589:                              ;   in Loop: Header=BB6_124 Depth=2
	s_or_b64 exec, exec, s[60:61]
.LBB6_590:                              ;   in Loop: Header=BB6_124 Depth=2
	s_or_b64 exec, exec, s[24:25]
.LBB6_591:                              ;   in Loop: Header=BB6_124 Depth=2
	s_or_b64 exec, exec, s[22:23]
	v_max_f32_e32 v2, v3, v3
	v_max_f32_e32 v0, v0, v0
	v_min_f32_e32 v3, v0, v2
.LBB6_592:                              ;   in Loop: Header=BB6_124 Depth=2
	v_and_b32_sdwa v0, v3, s75 dst_sel:DWORD dst_unused:UNUSED_PAD src0_sel:BYTE_3 src1_sel:DWORD
	v_and_b32_e32 v4, 0x7f800000, v3
	v_mov_b32_e32 v5, v55
	v_and_b32_e32 v54, 0x7fffff, v3
	v_or_b32_e32 v46, 0x7e, v0
	v_cmp_ne_u64_e32 vcc, s[44:45], v[4:5]
	s_and_saveexec_b64 s[22:23], vcc
	s_xor_b64 s[24:25], exec, s[22:23]
	s_cbranch_execz .LBB6_602
; %bb.593:                              ;   in Loop: Header=BB6_124 Depth=2
	v_and_b32_e32 v4, 0x7fffffff, v3
	v_mov_b32_e32 v5, v55
	v_cmp_gt_u64_e32 vcc, s[46:47], v[4:5]
	s_and_saveexec_b64 s[60:61], vcc
	s_cbranch_execz .LBB6_601
; %bb.594:                              ;   in Loop: Header=BB6_124 Depth=2
	v_cmp_ne_u32_e32 vcc, 0, v3
	v_mov_b32_e32 v46, 0
	s_and_saveexec_b64 s[62:63], vcc
	s_cbranch_execz .LBB6_600
; %bb.595:                              ;   in Loop: Header=BB6_124 Depth=2
	v_bfe_u32 v2, v3, 23, 8
	v_sub_u32_e32 v4, 0x79, v2
	v_cmp_gt_u32_e32 vcc, s78, v2
	v_cndmask_b32_e32 v4, 0, v4, vcc
	v_cmp_eq_u32_e32 vcc, 0, v2
	v_or_b32_e32 v5, 0x800000, v54
	v_cndmask_b32_e32 v4, v4, v32, vcc
	v_add_u32_e32 v3, 0xffffff81, v2
	v_cndmask_b32_e32 v54, v5, v54, vcc
	v_add_u32_e32 v2, 20, v4
	v_cndmask_b32_e32 v18, v3, v33, vcc
	v_lshlrev_b64 v[2:3], v2, -1
	v_add_u32_e32 v5, 19, v4
	v_lshrrev_b64 v[8:9], v4, v[54:55]
	v_not_b32_e32 v3, v3
	v_not_b32_e32 v2, v2
	v_lshlrev_b64 v[6:7], v5, 1
	v_lshrrev_b32_e32 v5, 23, v8
	v_and_b32_e32 v3, 0, v3
	v_and_b32_e32 v2, v54, v2
	v_add3_u32 v18, v4, v18, v5
	v_bfe_u32 v4, v8, 20, 1
	v_add_u32_e32 v4, -1, v4
	v_cmp_eq_u64_e32 vcc, v[2:3], v[6:7]
	v_cndmask_b32_e32 v2, 0, v4, vcc
	v_add_u32_e32 v2, v2, v8
	v_and_b32_e32 v2, 0xfffff, v2
	v_add_co_u32_e32 v2, vcc, v2, v8
	v_add_u32_e32 v5, 6, v18
	v_addc_co_u32_e32 v3, vcc, 0, v9, vcc
	v_cmp_ne_u32_e32 vcc, 0, v5
                                        ; implicit-def: $vgpr4
	s_and_saveexec_b64 s[22:23], vcc
	s_xor_b64 s[22:23], exec, s[22:23]
; %bb.596:                              ;   in Loop: Header=BB6_124 Depth=2
	v_add_u32_e32 v4, 7, v18
	v_cmp_lt_u64_e32 vcc, s[50:51], v[2:3]
	v_cndmask_b32_e32 v4, v5, v4, vcc
	v_cndmask_b32_e64 v5, 0, 1, vcc
	v_lshrrev_b64 v[2:3], v5, v[2:3]
; %bb.597:                              ;   in Loop: Header=BB6_124 Depth=2
	s_andn2_saveexec_b64 s[22:23], s[22:23]
; %bb.598:                              ;   in Loop: Header=BB6_124 Depth=2
	v_bfe_u32 v4, v2, 23, 1
; %bb.599:                              ;   in Loop: Header=BB6_124 Depth=2
	s_or_b64 exec, exec, s[22:23]
	v_lshrrev_b64 v[2:3], 20, v[2:3]
	v_cmp_gt_i32_e32 vcc, 16, v4
	v_cndmask_b32_e32 v3, 0, v3, vcc
	v_cndmask_b32_e32 v2, 7, v2, vcc
	v_cmp_eq_u64_e64 s[22:23], 0, v[2:3]
	v_min_i32_e32 v3, 15, v4
	v_cmp_eq_u32_e32 vcc, 0, v4
	v_lshlrev_b32_e32 v3, 3, v3
	v_and_or_b32 v2, v2, 7, v3
	s_and_b64 s[22:23], vcc, s[22:23]
	v_cndmask_b32_e64 v2, v2, 0, s[22:23]
	v_or_b32_e32 v46, v2, v0
.LBB6_600:                              ;   in Loop: Header=BB6_124 Depth=2
	s_or_b64 exec, exec, s[62:63]
.LBB6_601:                              ;   in Loop: Header=BB6_124 Depth=2
	s_or_b64 exec, exec, s[60:61]
                                        ; implicit-def: $vgpr3
.LBB6_602:                              ;   in Loop: Header=BB6_124 Depth=2
	s_andn2_saveexec_b64 s[22:23], s[24:25]
; %bb.603:                              ;   in Loop: Header=BB6_124 Depth=2
	v_or_b32_sdwa v0, v3, s76 dst_sel:DWORD dst_unused:UNUSED_PAD src0_sel:BYTE_3 src1_sel:DWORD
	v_cmp_eq_u64_e32 vcc, 0, v[54:55]
	v_cndmask_b32_e32 v46, v0, v46, vcc
; %bb.604:                              ;   in Loop: Header=BB6_124 Depth=2
	s_or_b64 exec, exec, s[22:23]
	v_mov_b32_e32 v54, v25
	v_mov_b32_e32 v18, v21
	v_mov_b32_e32 v19, v55
	v_cmp_ne_u16_sdwa s[22:23], v25, v55 src0_sel:BYTE_0 src1_sel:DWORD
	s_and_b64 vcc, exec, s[58:59]
	s_cbranch_vccz .LBB6_618
; %bb.605:                              ;   in Loop: Header=BB6_124 Depth=2
	v_mov_b32_e32 v2, 0
	v_mov_b32_e32 v0, 0
	s_and_saveexec_b64 s[24:25], s[22:23]
	s_cbranch_execz .LBB6_611
; %bb.606:                              ;   in Loop: Header=BB6_124 Depth=2
	v_cmp_ne_u16_sdwa vcc, v25, s75 src0_sel:BYTE_0 src1_sel:DWORD
	v_bfrev_b32_e32 v0, 1
	s_and_saveexec_b64 s[60:61], vcc
	s_cbranch_execz .LBB6_610
; %bb.607:                              ;   in Loop: Header=BB6_124 Depth=2
	v_and_b32_e32 v3, 0x7f, v25
	v_cmp_ne_u32_e32 vcc, s76, v3
	v_mov_b32_e32 v0, 0x7f800001
	s_and_saveexec_b64 s[62:63], vcc
	s_cbranch_execz .LBB6_609
; %bb.608:                              ;   in Loop: Header=BB6_124 Depth=2
	v_and_b32_e32 v0, 7, v25
	v_ffbh_u32_e32 v0, v0
	v_min_u32_e32 v0, 32, v0
	v_subrev_u32_e32 v5, 28, v0
	v_cmp_gt_u32_e32 vcc, 8, v3
	v_lshrrev_b32_e32 v4, 3, v3
	v_sub_u32_e32 v0, 29, v0
	v_cndmask_b32_e32 v3, 0, v5, vcc
	v_cndmask_b32_e32 v0, v4, v0, vcc
	v_lshlrev_b64 v[4:5], v3, v[54:55]
	v_lshlrev_b32_e32 v3, 20, v4
	v_lshlrev_b32_e32 v4, 24, v54
	v_and_b32_e32 v3, 0x700000, v3
	v_and_b32_e32 v4, 0x80000000, v4
	v_lshl_add_u32 v0, v0, 23, v26
	v_or3_b32 v0, v4, v0, v3
.LBB6_609:                              ;   in Loop: Header=BB6_124 Depth=2
	s_or_b64 exec, exec, s[62:63]
.LBB6_610:                              ;   in Loop: Header=BB6_124 Depth=2
	s_or_b64 exec, exec, s[60:61]
.LBB6_611:                              ;   in Loop: Header=BB6_124 Depth=2
	s_or_b64 exec, exec, s[24:25]
	v_cmp_ne_u16_sdwa vcc, v21, v55 src0_sel:BYTE_0 src1_sel:DWORD
	s_and_saveexec_b64 s[24:25], vcc
	s_cbranch_execz .LBB6_617
; %bb.612:                              ;   in Loop: Header=BB6_124 Depth=2
	v_cmp_ne_u16_sdwa vcc, v21, s75 src0_sel:BYTE_0 src1_sel:DWORD
	v_bfrev_b32_e32 v2, 1
	s_and_saveexec_b64 s[60:61], vcc
	s_cbranch_execz .LBB6_616
; %bb.613:                              ;   in Loop: Header=BB6_124 Depth=2
	v_and_b32_e32 v3, 0x7f, v21
	v_cmp_ne_u32_e32 vcc, s76, v3
	v_mov_b32_e32 v2, 0x7f800001
	s_and_saveexec_b64 s[62:63], vcc
	s_cbranch_execz .LBB6_615
; %bb.614:                              ;   in Loop: Header=BB6_124 Depth=2
	v_and_b32_e32 v2, 7, v21
	v_ffbh_u32_e32 v2, v2
	v_min_u32_e32 v2, 32, v2
	v_lshrrev_b32_e32 v4, 3, v3
	v_subrev_u32_e32 v5, 28, v2
	v_sub_u32_e32 v2, 29, v2
	v_cmp_gt_u32_e32 vcc, 8, v3
	v_cndmask_b32_e32 v4, v4, v2, vcc
	v_cndmask_b32_e32 v2, 0, v5, vcc
	v_lshlrev_b64 v[2:3], v2, v[18:19]
	v_lshlrev_b32_e32 v2, 20, v2
	v_lshlrev_b32_e32 v3, 24, v18
	v_and_b32_e32 v2, 0x700000, v2
	v_and_b32_e32 v3, 0x80000000, v3
	v_lshl_add_u32 v4, v4, 23, v26
	v_or3_b32 v2, v3, v4, v2
.LBB6_615:                              ;   in Loop: Header=BB6_124 Depth=2
	s_or_b64 exec, exec, s[62:63]
.LBB6_616:                              ;   in Loop: Header=BB6_124 Depth=2
	s_or_b64 exec, exec, s[60:61]
.LBB6_617:                              ;   in Loop: Header=BB6_124 Depth=2
	s_or_b64 exec, exec, s[24:25]
	v_max_f32_e32 v2, v2, v2
	v_max_f32_e32 v0, v0, v0
	;; [unrolled: 1-line block ×3, first 2 shown]
	s_branch .LBB6_632
.LBB6_618:                              ;   in Loop: Header=BB6_124 Depth=2
                                        ; implicit-def: $vgpr4
	s_cbranch_execz .LBB6_632
; %bb.619:                              ;   in Loop: Header=BB6_124 Depth=2
	v_mov_b32_e32 v2, 0
	v_mov_b32_e32 v0, 0
	s_and_saveexec_b64 s[24:25], s[22:23]
	s_cbranch_execz .LBB6_625
; %bb.620:                              ;   in Loop: Header=BB6_124 Depth=2
	v_cmp_ne_u16_sdwa vcc, v25, s75 src0_sel:BYTE_0 src1_sel:DWORD
	v_bfrev_b32_e32 v0, 1
	s_and_saveexec_b64 s[22:23], vcc
	s_cbranch_execz .LBB6_624
; %bb.621:                              ;   in Loop: Header=BB6_124 Depth=2
	v_and_b32_e32 v3, 0x7f, v25
	v_cmp_ne_u32_e32 vcc, s76, v3
	v_mov_b32_e32 v0, 0x7f800001
	s_and_saveexec_b64 s[60:61], vcc
	s_cbranch_execz .LBB6_623
; %bb.622:                              ;   in Loop: Header=BB6_124 Depth=2
	v_and_b32_e32 v0, 7, v25
	v_ffbh_u32_e32 v0, v0
	v_min_u32_e32 v0, 32, v0
	v_subrev_u32_e32 v5, 28, v0
	v_cmp_gt_u32_e32 vcc, 8, v3
	v_lshrrev_b32_e32 v4, 3, v3
	v_sub_u32_e32 v0, 29, v0
	v_cndmask_b32_e32 v3, 0, v5, vcc
	v_cndmask_b32_e32 v0, v4, v0, vcc
	v_lshlrev_b64 v[4:5], v3, v[54:55]
	v_lshlrev_b32_e32 v3, 20, v4
	v_lshlrev_b32_e32 v4, 24, v54
	v_and_b32_e32 v3, 0x700000, v3
	v_and_b32_e32 v4, 0x80000000, v4
	v_lshl_add_u32 v0, v0, 23, v26
	v_or3_b32 v0, v4, v0, v3
.LBB6_623:                              ;   in Loop: Header=BB6_124 Depth=2
	s_or_b64 exec, exec, s[60:61]
.LBB6_624:                              ;   in Loop: Header=BB6_124 Depth=2
	s_or_b64 exec, exec, s[22:23]
.LBB6_625:                              ;   in Loop: Header=BB6_124 Depth=2
	s_or_b64 exec, exec, s[24:25]
	v_cmp_ne_u16_sdwa s[24:25], v21, v55 src0_sel:BYTE_0 src1_sel:DWORD
	s_and_saveexec_b64 s[22:23], s[24:25]
	s_cbranch_execz .LBB6_631
; %bb.626:                              ;   in Loop: Header=BB6_124 Depth=2
	v_cmp_ne_u16_sdwa vcc, v21, s75 src0_sel:BYTE_0 src1_sel:DWORD
	v_bfrev_b32_e32 v2, 1
	s_and_saveexec_b64 s[24:25], vcc
	s_cbranch_execz .LBB6_630
; %bb.627:                              ;   in Loop: Header=BB6_124 Depth=2
	v_and_b32_e32 v3, 0x7f, v21
	v_cmp_ne_u32_e32 vcc, s76, v3
	v_mov_b32_e32 v2, 0x7f800001
	s_and_saveexec_b64 s[60:61], vcc
	s_cbranch_execz .LBB6_629
; %bb.628:                              ;   in Loop: Header=BB6_124 Depth=2
	v_and_b32_e32 v2, 7, v21
	v_ffbh_u32_e32 v2, v2
	v_min_u32_e32 v2, 32, v2
	v_lshrrev_b32_e32 v4, 3, v3
	v_subrev_u32_e32 v5, 28, v2
	v_sub_u32_e32 v2, 29, v2
	v_cmp_gt_u32_e32 vcc, 8, v3
	v_cndmask_b32_e32 v4, v4, v2, vcc
	v_cndmask_b32_e32 v2, 0, v5, vcc
	v_lshlrev_b64 v[2:3], v2, v[18:19]
	v_lshlrev_b32_e32 v2, 20, v2
	v_lshlrev_b32_e32 v3, 24, v18
	v_and_b32_e32 v2, 0x700000, v2
	v_and_b32_e32 v3, 0x80000000, v3
	v_lshl_add_u32 v4, v4, 23, v26
	v_or3_b32 v2, v3, v4, v2
.LBB6_629:                              ;   in Loop: Header=BB6_124 Depth=2
	s_or_b64 exec, exec, s[60:61]
.LBB6_630:                              ;   in Loop: Header=BB6_124 Depth=2
	s_or_b64 exec, exec, s[24:25]
.LBB6_631:                              ;   in Loop: Header=BB6_124 Depth=2
	s_or_b64 exec, exec, s[22:23]
	v_max_f32_e32 v2, v2, v2
	v_max_f32_e32 v0, v0, v0
	v_min_f32_e32 v4, v0, v2
.LBB6_632:                              ;   in Loop: Header=BB6_124 Depth=2
	v_and_b32_sdwa v0, v4, s75 dst_sel:DWORD dst_unused:UNUSED_PAD src0_sel:BYTE_3 src1_sel:DWORD
	v_and_b32_e32 v6, 0x7f800000, v4
	v_mov_b32_e32 v7, v55
	v_and_b32_e32 v2, 0x7fffff, v4
	v_mov_b32_e32 v3, v55
	v_or_b32_e32 v56, 0x7e, v0
	v_cmp_ne_u64_e32 vcc, s[44:45], v[6:7]
	s_and_saveexec_b64 s[22:23], vcc
	s_xor_b64 s[24:25], exec, s[22:23]
	s_cbranch_execz .LBB6_642
; %bb.633:                              ;   in Loop: Header=BB6_124 Depth=2
	v_and_b32_e32 v6, 0x7fffffff, v4
	v_mov_b32_e32 v7, v55
	v_cmp_gt_u64_e32 vcc, s[46:47], v[6:7]
	s_and_saveexec_b64 s[60:61], vcc
	s_cbranch_execz .LBB6_641
; %bb.634:                              ;   in Loop: Header=BB6_124 Depth=2
	v_cmp_ne_u32_e32 vcc, 0, v4
	v_mov_b32_e32 v56, 0
	s_and_saveexec_b64 s[62:63], vcc
	s_cbranch_execz .LBB6_640
; %bb.635:                              ;   in Loop: Header=BB6_124 Depth=2
	v_bfe_u32 v4, v4, 23, 8
	v_sub_u32_e32 v6, 0x79, v4
	v_cmp_gt_u32_e32 vcc, s78, v4
	v_cndmask_b32_e32 v6, 0, v6, vcc
	v_cmp_eq_u32_e32 vcc, 0, v4
	v_cndmask_b32_e32 v22, v6, v32, vcc
	v_add_u32_e32 v5, 0xffffff81, v4
	v_add_u32_e32 v4, 20, v22
	v_or_b32_e32 v7, 0x800000, v2
	v_cndmask_b32_e32 v19, v5, v33, vcc
	v_lshlrev_b64 v[4:5], v4, -1
	v_cndmask_b32_e32 v2, v7, v2, vcc
	v_not_b32_e32 v4, v4
	v_and_b32_e32 v6, v2, v4
	v_add_u32_e32 v4, 19, v22
	v_lshrrev_b64 v[2:3], v22, v[2:3]
	v_not_b32_e32 v5, v5
	v_lshlrev_b64 v[8:9], v4, 1
	v_lshrrev_b32_e32 v4, 23, v2
	v_and_b32_e32 v7, 0, v5
	v_add3_u32 v19, v22, v19, v4
	v_bfe_u32 v4, v2, 20, 1
	v_add_u32_e32 v4, -1, v4
	v_cmp_eq_u64_e32 vcc, v[6:7], v[8:9]
	v_cndmask_b32_e32 v4, 0, v4, vcc
	v_add_u32_e32 v4, v4, v2
	v_and_b32_e32 v4, 0xfffff, v4
	v_add_co_u32_e32 v2, vcc, v4, v2
	v_add_u32_e32 v5, 6, v19
	v_addc_co_u32_e32 v3, vcc, 0, v3, vcc
	v_cmp_ne_u32_e32 vcc, 0, v5
                                        ; implicit-def: $vgpr4
	s_and_saveexec_b64 s[22:23], vcc
	s_xor_b64 s[22:23], exec, s[22:23]
; %bb.636:                              ;   in Loop: Header=BB6_124 Depth=2
	v_add_u32_e32 v4, 7, v19
	v_cmp_lt_u64_e32 vcc, s[50:51], v[2:3]
	v_cndmask_b32_e32 v4, v5, v4, vcc
	v_cndmask_b32_e64 v5, 0, 1, vcc
	v_lshrrev_b64 v[2:3], v5, v[2:3]
; %bb.637:                              ;   in Loop: Header=BB6_124 Depth=2
	s_andn2_saveexec_b64 s[22:23], s[22:23]
; %bb.638:                              ;   in Loop: Header=BB6_124 Depth=2
	v_bfe_u32 v4, v2, 23, 1
; %bb.639:                              ;   in Loop: Header=BB6_124 Depth=2
	s_or_b64 exec, exec, s[22:23]
	v_lshrrev_b64 v[2:3], 20, v[2:3]
	v_cmp_gt_i32_e32 vcc, 16, v4
	v_cndmask_b32_e32 v3, 0, v3, vcc
	v_cndmask_b32_e32 v2, 7, v2, vcc
	v_cmp_eq_u64_e64 s[22:23], 0, v[2:3]
	v_min_i32_e32 v3, 15, v4
	v_cmp_eq_u32_e32 vcc, 0, v4
	v_lshlrev_b32_e32 v3, 3, v3
	v_and_or_b32 v2, v2, 7, v3
	s_and_b64 s[22:23], vcc, s[22:23]
	v_cndmask_b32_e64 v2, v2, 0, s[22:23]
	v_or_b32_e32 v56, v2, v0
.LBB6_640:                              ;   in Loop: Header=BB6_124 Depth=2
	s_or_b64 exec, exec, s[62:63]
.LBB6_641:                              ;   in Loop: Header=BB6_124 Depth=2
	s_or_b64 exec, exec, s[60:61]
                                        ; implicit-def: $vgpr4
                                        ; implicit-def: $vgpr2_vgpr3
.LBB6_642:                              ;   in Loop: Header=BB6_124 Depth=2
	s_andn2_saveexec_b64 s[22:23], s[24:25]
; %bb.643:                              ;   in Loop: Header=BB6_124 Depth=2
	v_or_b32_sdwa v0, v4, s76 dst_sel:DWORD dst_unused:UNUSED_PAD src0_sel:BYTE_3 src1_sel:DWORD
	v_cmp_eq_u64_e32 vcc, 0, v[2:3]
	v_cndmask_b32_e32 v56, v0, v56, vcc
; %bb.644:                              ;   in Loop: Header=BB6_124 Depth=2
	s_or_b64 exec, exec, s[22:23]
	v_lshrrev_b16_e32 v22, 8, v54
	v_lshrrev_b16_e32 v2, 8, v18
	v_cmp_ne_u16_e64 s[22:23], 0, v22
	s_and_b64 vcc, exec, s[58:59]
	s_cbranch_vccz .LBB6_658
; %bb.645:                              ;   in Loop: Header=BB6_124 Depth=2
	v_mov_b32_e32 v3, 0
	v_mov_b32_e32 v0, 0
	s_and_saveexec_b64 s[24:25], s[22:23]
	s_cbranch_execz .LBB6_651
; %bb.646:                              ;   in Loop: Header=BB6_124 Depth=2
	v_cmp_ne_u16_e32 vcc, s75, v22
	v_bfrev_b32_e32 v0, 1
	s_and_saveexec_b64 s[60:61], vcc
	s_cbranch_execz .LBB6_650
; %bb.647:                              ;   in Loop: Header=BB6_124 Depth=2
	v_and_b32_e32 v4, 0x7f, v22
	v_cmp_ne_u32_e32 vcc, s76, v4
	v_mov_b32_e32 v0, 0x7f800001
	s_and_saveexec_b64 s[62:63], vcc
	s_cbranch_execz .LBB6_649
; %bb.648:                              ;   in Loop: Header=BB6_124 Depth=2
	v_and_b32_e32 v0, 7, v22
	v_ffbh_u32_e32 v6, v0
	v_min_u32_e32 v8, 32, v6
	v_subrev_u32_e32 v6, 28, v8
	v_lshlrev_b64 v[6:7], v6, v[22:23]
	v_lshrrev_b32_e32 v5, 3, v4
	v_sub_u32_e32 v7, 29, v8
	v_and_b32_e32 v6, 7, v6
	v_cmp_gt_u32_e32 vcc, 8, v4
	v_cndmask_b32_e32 v4, v5, v7, vcc
	v_cndmask_b32_e32 v0, v0, v6, vcc
	v_lshlrev_b32_e32 v5, 16, v54
	v_lshlrev_b32_e32 v0, 20, v0
	v_and_b32_e32 v5, 0x80000000, v5
	v_lshl_add_u32 v4, v4, 23, v26
	v_or3_b32 v0, v5, v4, v0
.LBB6_649:                              ;   in Loop: Header=BB6_124 Depth=2
	s_or_b64 exec, exec, s[62:63]
.LBB6_650:                              ;   in Loop: Header=BB6_124 Depth=2
	s_or_b64 exec, exec, s[60:61]
.LBB6_651:                              ;   in Loop: Header=BB6_124 Depth=2
	s_or_b64 exec, exec, s[24:25]
	v_cmp_ne_u16_e32 vcc, 0, v2
	s_and_saveexec_b64 s[24:25], vcc
	s_cbranch_execz .LBB6_657
; %bb.652:                              ;   in Loop: Header=BB6_124 Depth=2
	v_cmp_ne_u16_e32 vcc, s75, v2
	v_bfrev_b32_e32 v3, 1
	s_and_saveexec_b64 s[60:61], vcc
	s_cbranch_execz .LBB6_656
; %bb.653:                              ;   in Loop: Header=BB6_124 Depth=2
	v_and_b32_e32 v4, 0x7f, v2
	v_cmp_ne_u32_e32 vcc, s76, v4
	v_mov_b32_e32 v3, 0x7f800001
	s_and_saveexec_b64 s[62:63], vcc
	s_cbranch_execz .LBB6_655
; %bb.654:                              ;   in Loop: Header=BB6_124 Depth=2
	v_and_b32_e32 v3, 7, v2
	v_ffbh_u32_e32 v6, v3
	v_min_u32_e32 v8, 32, v6
	v_subrev_u32_e32 v6, 28, v8
	v_lshlrev_b64 v[6:7], v6, v[2:3]
	v_lshrrev_b32_e32 v5, 3, v4
	v_sub_u32_e32 v7, 29, v8
	v_and_b32_e32 v6, 7, v6
	v_cmp_gt_u32_e32 vcc, 8, v4
	v_cndmask_b32_e32 v4, v5, v7, vcc
	v_cndmask_b32_e32 v3, v3, v6, vcc
	v_lshlrev_b32_e32 v5, 16, v18
	v_lshlrev_b32_e32 v3, 20, v3
	v_and_b32_e32 v5, 0x80000000, v5
	v_lshl_add_u32 v4, v4, 23, v26
	v_or3_b32 v3, v5, v4, v3
.LBB6_655:                              ;   in Loop: Header=BB6_124 Depth=2
	s_or_b64 exec, exec, s[62:63]
.LBB6_656:                              ;   in Loop: Header=BB6_124 Depth=2
	s_or_b64 exec, exec, s[60:61]
.LBB6_657:                              ;   in Loop: Header=BB6_124 Depth=2
	s_or_b64 exec, exec, s[24:25]
	v_max_f32_e32 v3, v3, v3
	v_max_f32_e32 v0, v0, v0
	v_max_f32_e32 v3, v0, v3
	s_branch .LBB6_672
.LBB6_658:                              ;   in Loop: Header=BB6_124 Depth=2
                                        ; implicit-def: $vgpr3
	s_cbranch_execz .LBB6_672
; %bb.659:                              ;   in Loop: Header=BB6_124 Depth=2
	v_mov_b32_e32 v3, 0
	v_mov_b32_e32 v0, 0
	s_and_saveexec_b64 s[24:25], s[22:23]
	s_cbranch_execz .LBB6_665
; %bb.660:                              ;   in Loop: Header=BB6_124 Depth=2
	v_cmp_ne_u16_e32 vcc, s75, v22
	v_bfrev_b32_e32 v0, 1
	s_and_saveexec_b64 s[22:23], vcc
	s_cbranch_execz .LBB6_664
; %bb.661:                              ;   in Loop: Header=BB6_124 Depth=2
	v_and_b32_e32 v4, 0x7f, v22
	v_cmp_ne_u32_e32 vcc, s76, v4
	v_mov_b32_e32 v0, 0x7f800001
	s_and_saveexec_b64 s[60:61], vcc
	s_cbranch_execz .LBB6_663
; %bb.662:                              ;   in Loop: Header=BB6_124 Depth=2
	v_and_b32_e32 v0, 7, v22
	v_ffbh_u32_e32 v6, v0
	v_min_u32_e32 v8, 32, v6
	v_subrev_u32_e32 v6, 28, v8
	v_lshlrev_b64 v[6:7], v6, v[22:23]
	v_lshrrev_b32_e32 v5, 3, v4
	v_sub_u32_e32 v7, 29, v8
	v_and_b32_e32 v6, 7, v6
	v_cmp_gt_u32_e32 vcc, 8, v4
	v_cndmask_b32_e32 v4, v5, v7, vcc
	v_cndmask_b32_e32 v0, v0, v6, vcc
	v_lshlrev_b32_e32 v5, 16, v54
	v_lshlrev_b32_e32 v0, 20, v0
	v_and_b32_e32 v5, 0x80000000, v5
	v_lshl_add_u32 v4, v4, 23, v26
	v_or3_b32 v0, v5, v4, v0
.LBB6_663:                              ;   in Loop: Header=BB6_124 Depth=2
	s_or_b64 exec, exec, s[60:61]
.LBB6_664:                              ;   in Loop: Header=BB6_124 Depth=2
	s_or_b64 exec, exec, s[22:23]
.LBB6_665:                              ;   in Loop: Header=BB6_124 Depth=2
	s_or_b64 exec, exec, s[24:25]
	v_cmp_ne_u16_e32 vcc, 0, v2
	s_and_saveexec_b64 s[22:23], vcc
	s_cbranch_execz .LBB6_671
; %bb.666:                              ;   in Loop: Header=BB6_124 Depth=2
	v_cmp_ne_u16_e32 vcc, s75, v2
	v_bfrev_b32_e32 v3, 1
	s_and_saveexec_b64 s[24:25], vcc
	s_cbranch_execz .LBB6_670
; %bb.667:                              ;   in Loop: Header=BB6_124 Depth=2
	v_and_b32_e32 v4, 0x7f, v2
	v_cmp_ne_u32_e32 vcc, s76, v4
	v_mov_b32_e32 v3, 0x7f800001
	s_and_saveexec_b64 s[60:61], vcc
	s_cbranch_execz .LBB6_669
; %bb.668:                              ;   in Loop: Header=BB6_124 Depth=2
	v_and_b32_e32 v5, 7, v2
	v_ffbh_u32_e32 v3, v5
	v_min_u32_e32 v7, 32, v3
	v_subrev_u32_e32 v3, 28, v7
	v_lshlrev_b64 v[2:3], v3, v[2:3]
	v_lshrrev_b32_e32 v6, 3, v4
	v_sub_u32_e32 v3, 29, v7
	v_and_b32_e32 v2, 7, v2
	v_cmp_gt_u32_e32 vcc, 8, v4
	v_cndmask_b32_e32 v3, v6, v3, vcc
	v_cndmask_b32_e32 v2, v5, v2, vcc
	v_lshlrev_b32_e32 v4, 16, v18
	v_lshlrev_b32_e32 v2, 20, v2
	v_and_b32_e32 v4, 0x80000000, v4
	v_lshl_add_u32 v3, v3, 23, v26
	v_or3_b32 v3, v4, v3, v2
.LBB6_669:                              ;   in Loop: Header=BB6_124 Depth=2
	s_or_b64 exec, exec, s[60:61]
.LBB6_670:                              ;   in Loop: Header=BB6_124 Depth=2
	s_or_b64 exec, exec, s[24:25]
.LBB6_671:                              ;   in Loop: Header=BB6_124 Depth=2
	s_or_b64 exec, exec, s[22:23]
	v_max_f32_e32 v2, v3, v3
	v_max_f32_e32 v0, v0, v0
	v_min_f32_e32 v3, v0, v2
.LBB6_672:                              ;   in Loop: Header=BB6_124 Depth=2
	v_and_b32_sdwa v0, v3, s75 dst_sel:DWORD dst_unused:UNUSED_PAD src0_sel:BYTE_3 src1_sel:DWORD
	v_and_b32_e32 v4, 0x7f800000, v3
	v_mov_b32_e32 v5, v55
	v_and_b32_e32 v54, 0x7fffff, v3
	v_or_b32_e32 v22, 0x7e, v0
	v_cmp_ne_u64_e32 vcc, s[44:45], v[4:5]
	s_and_saveexec_b64 s[22:23], vcc
	s_xor_b64 s[24:25], exec, s[22:23]
	s_cbranch_execz .LBB6_682
; %bb.673:                              ;   in Loop: Header=BB6_124 Depth=2
	v_and_b32_e32 v4, 0x7fffffff, v3
	v_mov_b32_e32 v5, v55
	v_cmp_gt_u64_e32 vcc, s[46:47], v[4:5]
	s_and_saveexec_b64 s[60:61], vcc
	s_cbranch_execz .LBB6_681
; %bb.674:                              ;   in Loop: Header=BB6_124 Depth=2
	v_cmp_ne_u32_e32 vcc, 0, v3
	v_mov_b32_e32 v22, 0
	s_and_saveexec_b64 s[62:63], vcc
	s_cbranch_execz .LBB6_680
; %bb.675:                              ;   in Loop: Header=BB6_124 Depth=2
	v_bfe_u32 v2, v3, 23, 8
	v_sub_u32_e32 v4, 0x79, v2
	v_cmp_gt_u32_e32 vcc, s78, v2
	v_cndmask_b32_e32 v4, 0, v4, vcc
	v_cmp_eq_u32_e32 vcc, 0, v2
	v_or_b32_e32 v5, 0x800000, v54
	v_cndmask_b32_e32 v4, v4, v32, vcc
	v_add_u32_e32 v3, 0xffffff81, v2
	v_cndmask_b32_e32 v54, v5, v54, vcc
	v_add_u32_e32 v2, 20, v4
	v_cndmask_b32_e32 v18, v3, v33, vcc
	v_lshlrev_b64 v[2:3], v2, -1
	v_add_u32_e32 v5, 19, v4
	v_lshrrev_b64 v[8:9], v4, v[54:55]
	v_not_b32_e32 v3, v3
	v_not_b32_e32 v2, v2
	v_lshlrev_b64 v[6:7], v5, 1
	v_lshrrev_b32_e32 v5, 23, v8
	v_and_b32_e32 v3, 0, v3
	v_and_b32_e32 v2, v54, v2
	v_add3_u32 v18, v4, v18, v5
	v_bfe_u32 v4, v8, 20, 1
	v_add_u32_e32 v4, -1, v4
	v_cmp_eq_u64_e32 vcc, v[2:3], v[6:7]
	v_cndmask_b32_e32 v2, 0, v4, vcc
	v_add_u32_e32 v2, v2, v8
	v_and_b32_e32 v2, 0xfffff, v2
	v_add_co_u32_e32 v2, vcc, v2, v8
	v_add_u32_e32 v5, 6, v18
	v_addc_co_u32_e32 v3, vcc, 0, v9, vcc
	v_cmp_ne_u32_e32 vcc, 0, v5
                                        ; implicit-def: $vgpr4
	s_and_saveexec_b64 s[22:23], vcc
	s_xor_b64 s[22:23], exec, s[22:23]
; %bb.676:                              ;   in Loop: Header=BB6_124 Depth=2
	v_add_u32_e32 v4, 7, v18
	v_cmp_lt_u64_e32 vcc, s[50:51], v[2:3]
	v_cndmask_b32_e32 v4, v5, v4, vcc
	v_cndmask_b32_e64 v5, 0, 1, vcc
	v_lshrrev_b64 v[2:3], v5, v[2:3]
; %bb.677:                              ;   in Loop: Header=BB6_124 Depth=2
	s_andn2_saveexec_b64 s[22:23], s[22:23]
; %bb.678:                              ;   in Loop: Header=BB6_124 Depth=2
	v_bfe_u32 v4, v2, 23, 1
; %bb.679:                              ;   in Loop: Header=BB6_124 Depth=2
	s_or_b64 exec, exec, s[22:23]
	v_lshrrev_b64 v[2:3], 20, v[2:3]
	v_cmp_gt_i32_e32 vcc, 16, v4
	v_cndmask_b32_e32 v3, 0, v3, vcc
	v_cndmask_b32_e32 v2, 7, v2, vcc
	v_cmp_eq_u64_e64 s[22:23], 0, v[2:3]
	v_min_i32_e32 v3, 15, v4
	v_cmp_eq_u32_e32 vcc, 0, v4
	v_lshlrev_b32_e32 v3, 3, v3
	v_and_or_b32 v2, v2, 7, v3
	s_and_b64 s[22:23], vcc, s[22:23]
	v_cndmask_b32_e64 v2, v2, 0, s[22:23]
	v_or_b32_e32 v22, v2, v0
.LBB6_680:                              ;   in Loop: Header=BB6_124 Depth=2
	s_or_b64 exec, exec, s[62:63]
.LBB6_681:                              ;   in Loop: Header=BB6_124 Depth=2
	s_or_b64 exec, exec, s[60:61]
                                        ; implicit-def: $vgpr3
.LBB6_682:                              ;   in Loop: Header=BB6_124 Depth=2
	s_andn2_saveexec_b64 s[22:23], s[24:25]
; %bb.683:                              ;   in Loop: Header=BB6_124 Depth=2
	v_or_b32_sdwa v0, v3, s76 dst_sel:DWORD dst_unused:UNUSED_PAD src0_sel:BYTE_3 src1_sel:DWORD
	v_cmp_eq_u64_e32 vcc, 0, v[54:55]
	v_cndmask_b32_e32 v22, v0, v22, vcc
; %bb.684:                              ;   in Loop: Header=BB6_124 Depth=2
	s_or_b64 exec, exec, s[22:23]
	v_lshrrev_b32_e32 v18, 16, v25
	v_lshrrev_b32_e32 v2, 16, v21
	v_cmp_ne_u16_sdwa s[22:23], v18, v55 src0_sel:BYTE_0 src1_sel:DWORD
	s_and_b64 vcc, exec, s[58:59]
	s_cbranch_vccz .LBB6_698
; %bb.685:                              ;   in Loop: Header=BB6_124 Depth=2
	v_mov_b32_e32 v3, 0
	v_mov_b32_e32 v0, 0
	s_and_saveexec_b64 s[24:25], s[22:23]
	s_cbranch_execz .LBB6_691
; %bb.686:                              ;   in Loop: Header=BB6_124 Depth=2
	v_cmp_ne_u16_sdwa vcc, v18, s75 src0_sel:BYTE_0 src1_sel:DWORD
	v_bfrev_b32_e32 v0, 1
	s_and_saveexec_b64 s[60:61], vcc
	s_cbranch_execz .LBB6_690
; %bb.687:                              ;   in Loop: Header=BB6_124 Depth=2
	v_bfe_u32 v4, v25, 16, 7
	v_cmp_ne_u32_e32 vcc, s76, v4
	v_mov_b32_e32 v0, 0x7f800001
	s_and_saveexec_b64 s[62:63], vcc
	s_cbranch_execz .LBB6_689
; %bb.688:                              ;   in Loop: Header=BB6_124 Depth=2
	v_and_b32_e32 v0, 7, v18
	v_ffbh_u32_e32 v6, v0
	v_min_u32_e32 v8, 32, v6
	v_subrev_u32_e32 v6, 28, v8
	v_lshlrev_b64 v[6:7], v6, v[18:19]
	v_lshrrev_b32_e32 v5, 3, v4
	v_sub_u32_e32 v7, 29, v8
	v_and_b32_e32 v6, 7, v6
	v_cmp_gt_u32_e32 vcc, 8, v4
	v_cndmask_b32_e32 v4, v5, v7, vcc
	v_cndmask_b32_e32 v0, v0, v6, vcc
	v_lshlrev_b32_e32 v5, 24, v18
	v_lshlrev_b32_e32 v0, 20, v0
	v_and_b32_e32 v5, 0x80000000, v5
	v_lshl_add_u32 v4, v4, 23, v26
	v_or3_b32 v0, v5, v4, v0
.LBB6_689:                              ;   in Loop: Header=BB6_124 Depth=2
	s_or_b64 exec, exec, s[62:63]
.LBB6_690:                              ;   in Loop: Header=BB6_124 Depth=2
	s_or_b64 exec, exec, s[60:61]
.LBB6_691:                              ;   in Loop: Header=BB6_124 Depth=2
	s_or_b64 exec, exec, s[24:25]
	v_cmp_ne_u16_sdwa vcc, v2, v55 src0_sel:BYTE_0 src1_sel:DWORD
	s_and_saveexec_b64 s[24:25], vcc
	s_cbranch_execz .LBB6_697
; %bb.692:                              ;   in Loop: Header=BB6_124 Depth=2
	v_cmp_ne_u16_sdwa vcc, v2, s75 src0_sel:BYTE_0 src1_sel:DWORD
	v_bfrev_b32_e32 v3, 1
	s_and_saveexec_b64 s[60:61], vcc
	s_cbranch_execz .LBB6_696
; %bb.693:                              ;   in Loop: Header=BB6_124 Depth=2
	v_bfe_u32 v4, v21, 16, 7
	v_cmp_ne_u32_e32 vcc, s76, v4
	v_mov_b32_e32 v3, 0x7f800001
	s_and_saveexec_b64 s[62:63], vcc
	s_cbranch_execz .LBB6_695
; %bb.694:                              ;   in Loop: Header=BB6_124 Depth=2
	v_and_b32_e32 v3, 7, v2
	v_ffbh_u32_e32 v6, v3
	v_min_u32_e32 v8, 32, v6
	v_subrev_u32_e32 v6, 28, v8
	v_lshlrev_b64 v[6:7], v6, v[2:3]
	v_lshrrev_b32_e32 v5, 3, v4
	v_sub_u32_e32 v7, 29, v8
	v_and_b32_e32 v6, 7, v6
	v_cmp_gt_u32_e32 vcc, 8, v4
	v_cndmask_b32_e32 v4, v5, v7, vcc
	v_cndmask_b32_e32 v3, v3, v6, vcc
	v_lshlrev_b32_e32 v5, 24, v2
	v_lshlrev_b32_e32 v3, 20, v3
	v_and_b32_e32 v5, 0x80000000, v5
	v_lshl_add_u32 v4, v4, 23, v26
	v_or3_b32 v3, v5, v4, v3
.LBB6_695:                              ;   in Loop: Header=BB6_124 Depth=2
	s_or_b64 exec, exec, s[62:63]
.LBB6_696:                              ;   in Loop: Header=BB6_124 Depth=2
	s_or_b64 exec, exec, s[60:61]
.LBB6_697:                              ;   in Loop: Header=BB6_124 Depth=2
	s_or_b64 exec, exec, s[24:25]
	v_max_f32_e32 v3, v3, v3
	v_max_f32_e32 v0, v0, v0
	;; [unrolled: 1-line block ×3, first 2 shown]
	s_branch .LBB6_712
.LBB6_698:                              ;   in Loop: Header=BB6_124 Depth=2
                                        ; implicit-def: $vgpr3
	s_cbranch_execz .LBB6_712
; %bb.699:                              ;   in Loop: Header=BB6_124 Depth=2
	v_mov_b32_e32 v3, 0
	v_mov_b32_e32 v0, 0
	s_and_saveexec_b64 s[24:25], s[22:23]
	s_cbranch_execz .LBB6_705
; %bb.700:                              ;   in Loop: Header=BB6_124 Depth=2
	v_cmp_ne_u16_sdwa vcc, v18, s75 src0_sel:BYTE_0 src1_sel:DWORD
	v_bfrev_b32_e32 v0, 1
	s_and_saveexec_b64 s[22:23], vcc
	s_cbranch_execz .LBB6_704
; %bb.701:                              ;   in Loop: Header=BB6_124 Depth=2
	v_bfe_u32 v4, v25, 16, 7
	v_cmp_ne_u32_e32 vcc, s76, v4
	v_mov_b32_e32 v0, 0x7f800001
	s_and_saveexec_b64 s[60:61], vcc
	s_cbranch_execz .LBB6_703
; %bb.702:                              ;   in Loop: Header=BB6_124 Depth=2
	v_and_b32_e32 v0, 7, v18
	v_ffbh_u32_e32 v6, v0
	v_min_u32_e32 v8, 32, v6
	v_subrev_u32_e32 v6, 28, v8
	v_lshlrev_b64 v[6:7], v6, v[18:19]
	v_lshrrev_b32_e32 v5, 3, v4
	v_sub_u32_e32 v7, 29, v8
	v_and_b32_e32 v6, 7, v6
	v_cmp_gt_u32_e32 vcc, 8, v4
	v_cndmask_b32_e32 v4, v5, v7, vcc
	v_cndmask_b32_e32 v0, v0, v6, vcc
	v_lshlrev_b32_e32 v5, 24, v18
	v_lshlrev_b32_e32 v0, 20, v0
	v_and_b32_e32 v5, 0x80000000, v5
	v_lshl_add_u32 v4, v4, 23, v26
	v_or3_b32 v0, v5, v4, v0
.LBB6_703:                              ;   in Loop: Header=BB6_124 Depth=2
	s_or_b64 exec, exec, s[60:61]
.LBB6_704:                              ;   in Loop: Header=BB6_124 Depth=2
	s_or_b64 exec, exec, s[22:23]
.LBB6_705:                              ;   in Loop: Header=BB6_124 Depth=2
	s_or_b64 exec, exec, s[24:25]
	v_cmp_ne_u16_sdwa s[24:25], v2, v55 src0_sel:BYTE_0 src1_sel:DWORD
	s_and_saveexec_b64 s[22:23], s[24:25]
	s_cbranch_execz .LBB6_711
; %bb.706:                              ;   in Loop: Header=BB6_124 Depth=2
	v_cmp_ne_u16_sdwa vcc, v2, s75 src0_sel:BYTE_0 src1_sel:DWORD
	v_bfrev_b32_e32 v3, 1
	s_and_saveexec_b64 s[24:25], vcc
	s_cbranch_execz .LBB6_710
; %bb.707:                              ;   in Loop: Header=BB6_124 Depth=2
	v_bfe_u32 v4, v21, 16, 7
	v_cmp_ne_u32_e32 vcc, s76, v4
	v_mov_b32_e32 v3, 0x7f800001
	s_and_saveexec_b64 s[60:61], vcc
	s_cbranch_execz .LBB6_709
; %bb.708:                              ;   in Loop: Header=BB6_124 Depth=2
	v_and_b32_e32 v3, 7, v2
	v_ffbh_u32_e32 v6, v3
	v_min_u32_e32 v8, 32, v6
	v_subrev_u32_e32 v6, 28, v8
	v_lshlrev_b64 v[6:7], v6, v[2:3]
	v_lshrrev_b32_e32 v5, 3, v4
	v_sub_u32_e32 v7, 29, v8
	v_and_b32_e32 v6, 7, v6
	v_cmp_gt_u32_e32 vcc, 8, v4
	v_cndmask_b32_e32 v4, v5, v7, vcc
	v_cndmask_b32_e32 v3, v3, v6, vcc
	v_lshlrev_b32_e32 v2, 24, v2
	v_lshlrev_b32_e32 v3, 20, v3
	v_and_b32_e32 v2, 0x80000000, v2
	v_lshl_add_u32 v4, v4, 23, v26
	v_or3_b32 v3, v2, v4, v3
.LBB6_709:                              ;   in Loop: Header=BB6_124 Depth=2
	s_or_b64 exec, exec, s[60:61]
.LBB6_710:                              ;   in Loop: Header=BB6_124 Depth=2
	s_or_b64 exec, exec, s[24:25]
.LBB6_711:                              ;   in Loop: Header=BB6_124 Depth=2
	s_or_b64 exec, exec, s[22:23]
	v_max_f32_e32 v2, v3, v3
	v_max_f32_e32 v0, v0, v0
	v_min_f32_e32 v3, v0, v2
.LBB6_712:                              ;   in Loop: Header=BB6_124 Depth=2
	v_and_b32_sdwa v0, v3, s75 dst_sel:DWORD dst_unused:UNUSED_PAD src0_sel:BYTE_3 src1_sel:DWORD
	v_and_b32_e32 v4, 0x7f800000, v3
	v_mov_b32_e32 v5, v55
	v_and_b32_e32 v54, 0x7fffff, v3
	v_or_b32_e32 v53, 0x7e, v0
	v_cmp_ne_u64_e32 vcc, s[44:45], v[4:5]
	s_and_saveexec_b64 s[22:23], vcc
	s_xor_b64 s[24:25], exec, s[22:23]
	s_cbranch_execz .LBB6_722
; %bb.713:                              ;   in Loop: Header=BB6_124 Depth=2
	v_and_b32_e32 v4, 0x7fffffff, v3
	v_mov_b32_e32 v5, v55
	v_cmp_gt_u64_e32 vcc, s[46:47], v[4:5]
	s_and_saveexec_b64 s[60:61], vcc
	s_cbranch_execz .LBB6_721
; %bb.714:                              ;   in Loop: Header=BB6_124 Depth=2
	v_cmp_ne_u32_e32 vcc, 0, v3
	v_mov_b32_e32 v53, 0
	s_and_saveexec_b64 s[62:63], vcc
	s_cbranch_execz .LBB6_720
; %bb.715:                              ;   in Loop: Header=BB6_124 Depth=2
	v_bfe_u32 v2, v3, 23, 8
	v_sub_u32_e32 v4, 0x79, v2
	v_cmp_gt_u32_e32 vcc, s78, v2
	v_cndmask_b32_e32 v4, 0, v4, vcc
	v_cmp_eq_u32_e32 vcc, 0, v2
	v_or_b32_e32 v5, 0x800000, v54
	v_cndmask_b32_e32 v4, v4, v32, vcc
	v_add_u32_e32 v3, 0xffffff81, v2
	v_cndmask_b32_e32 v54, v5, v54, vcc
	v_add_u32_e32 v2, 20, v4
	v_cndmask_b32_e32 v18, v3, v33, vcc
	v_lshlrev_b64 v[2:3], v2, -1
	v_add_u32_e32 v5, 19, v4
	v_lshrrev_b64 v[8:9], v4, v[54:55]
	v_not_b32_e32 v3, v3
	v_not_b32_e32 v2, v2
	v_lshlrev_b64 v[6:7], v5, 1
	v_lshrrev_b32_e32 v5, 23, v8
	v_and_b32_e32 v3, 0, v3
	v_and_b32_e32 v2, v54, v2
	v_add3_u32 v18, v4, v18, v5
	v_bfe_u32 v4, v8, 20, 1
	v_add_u32_e32 v4, -1, v4
	v_cmp_eq_u64_e32 vcc, v[2:3], v[6:7]
	v_cndmask_b32_e32 v2, 0, v4, vcc
	v_add_u32_e32 v2, v2, v8
	v_and_b32_e32 v2, 0xfffff, v2
	v_add_co_u32_e32 v2, vcc, v2, v8
	v_add_u32_e32 v5, 6, v18
	v_addc_co_u32_e32 v3, vcc, 0, v9, vcc
	v_cmp_ne_u32_e32 vcc, 0, v5
                                        ; implicit-def: $vgpr4
	s_and_saveexec_b64 s[22:23], vcc
	s_xor_b64 s[22:23], exec, s[22:23]
; %bb.716:                              ;   in Loop: Header=BB6_124 Depth=2
	v_add_u32_e32 v4, 7, v18
	v_cmp_lt_u64_e32 vcc, s[50:51], v[2:3]
	v_cndmask_b32_e32 v4, v5, v4, vcc
	v_cndmask_b32_e64 v5, 0, 1, vcc
	v_lshrrev_b64 v[2:3], v5, v[2:3]
; %bb.717:                              ;   in Loop: Header=BB6_124 Depth=2
	s_andn2_saveexec_b64 s[22:23], s[22:23]
; %bb.718:                              ;   in Loop: Header=BB6_124 Depth=2
	v_bfe_u32 v4, v2, 23, 1
; %bb.719:                              ;   in Loop: Header=BB6_124 Depth=2
	s_or_b64 exec, exec, s[22:23]
	v_lshrrev_b64 v[2:3], 20, v[2:3]
	v_cmp_gt_i32_e32 vcc, 16, v4
	v_cndmask_b32_e32 v3, 0, v3, vcc
	v_cndmask_b32_e32 v2, 7, v2, vcc
	v_cmp_eq_u64_e64 s[22:23], 0, v[2:3]
	v_min_i32_e32 v3, 15, v4
	v_lshlrev_b32_e32 v3, 3, v3
	v_cmp_eq_u32_e32 vcc, 0, v4
	v_and_b32_e32 v3, 0xf8, v3
	v_and_or_b32 v2, v2, 7, v3
	s_and_b64 s[22:23], vcc, s[22:23]
	v_cndmask_b32_e64 v2, v2, 0, s[22:23]
	v_or_b32_e32 v53, v2, v0
.LBB6_720:                              ;   in Loop: Header=BB6_124 Depth=2
	s_or_b64 exec, exec, s[62:63]
.LBB6_721:                              ;   in Loop: Header=BB6_124 Depth=2
	s_or_b64 exec, exec, s[60:61]
                                        ; implicit-def: $vgpr3
.LBB6_722:                              ;   in Loop: Header=BB6_124 Depth=2
	s_andn2_saveexec_b64 s[22:23], s[24:25]
; %bb.723:                              ;   in Loop: Header=BB6_124 Depth=2
	v_or_b32_sdwa v0, v3, s76 dst_sel:DWORD dst_unused:UNUSED_PAD src0_sel:BYTE_3 src1_sel:DWORD
	v_cmp_eq_u64_e32 vcc, 0, v[54:55]
	v_cndmask_b32_e32 v53, v0, v53, vcc
; %bb.724:                              ;   in Loop: Header=BB6_124 Depth=2
	s_or_b64 exec, exec, s[22:23]
	v_lshrrev_b32_e32 v18, 24, v25
	v_lshrrev_b32_e32 v2, 24, v21
	v_cmp_lt_u64_e64 s[22:23], s[48:49], v[24:25]
	s_and_b64 vcc, exec, s[58:59]
	s_cbranch_vccz .LBB6_738
; %bb.725:                              ;   in Loop: Header=BB6_124 Depth=2
	v_mov_b32_e32 v3, 0
	v_mov_b32_e32 v0, 0
	s_and_saveexec_b64 s[24:25], s[22:23]
	s_cbranch_execz .LBB6_731
; %bb.726:                              ;   in Loop: Header=BB6_124 Depth=2
	v_cmp_ne_u32_e32 vcc, s75, v18
	v_bfrev_b32_e32 v0, 1
	s_and_saveexec_b64 s[60:61], vcc
	s_cbranch_execz .LBB6_730
; %bb.727:                              ;   in Loop: Header=BB6_124 Depth=2
	v_bfe_u32 v4, v25, 24, 7
	v_cmp_ne_u32_e32 vcc, s76, v4
	v_mov_b32_e32 v0, 0x7f800001
	s_and_saveexec_b64 s[62:63], vcc
	s_cbranch_execz .LBB6_729
; %bb.728:                              ;   in Loop: Header=BB6_124 Depth=2
	v_and_b32_e32 v0, 7, v18
	v_ffbh_u32_e32 v6, v0
	v_min_u32_e32 v8, 32, v6
	v_subrev_u32_e32 v6, 28, v8
	v_lshlrev_b64 v[6:7], v6, v[18:19]
	v_lshrrev_b32_e32 v5, 3, v4
	v_sub_u32_e32 v7, 29, v8
	v_and_b32_e32 v6, 7, v6
	v_cmp_gt_u32_e32 vcc, 8, v4
	v_cndmask_b32_e32 v4, v5, v7, vcc
	v_cndmask_b32_e32 v0, v0, v6, vcc
	v_lshlrev_b32_e32 v5, 24, v18
	v_lshlrev_b32_e32 v0, 20, v0
	v_and_b32_e32 v5, 0x80000000, v5
	v_lshl_add_u32 v4, v4, 23, v26
	v_or3_b32 v0, v5, v4, v0
.LBB6_729:                              ;   in Loop: Header=BB6_124 Depth=2
	s_or_b64 exec, exec, s[62:63]
.LBB6_730:                              ;   in Loop: Header=BB6_124 Depth=2
	s_or_b64 exec, exec, s[60:61]
.LBB6_731:                              ;   in Loop: Header=BB6_124 Depth=2
	s_or_b64 exec, exec, s[24:25]
	v_cmp_lt_u64_e32 vcc, s[48:49], v[20:21]
	s_and_saveexec_b64 s[24:25], vcc
	s_cbranch_execz .LBB6_737
; %bb.732:                              ;   in Loop: Header=BB6_124 Depth=2
	v_cmp_ne_u32_e32 vcc, s75, v2
	v_bfrev_b32_e32 v3, 1
	s_and_saveexec_b64 s[60:61], vcc
	s_cbranch_execz .LBB6_736
; %bb.733:                              ;   in Loop: Header=BB6_124 Depth=2
	v_bfe_u32 v4, v21, 24, 7
	v_cmp_ne_u32_e32 vcc, s76, v4
	v_mov_b32_e32 v3, 0x7f800001
	s_and_saveexec_b64 s[62:63], vcc
	s_cbranch_execz .LBB6_735
; %bb.734:                              ;   in Loop: Header=BB6_124 Depth=2
	v_and_b32_e32 v3, 7, v2
	v_ffbh_u32_e32 v6, v3
	v_min_u32_e32 v8, 32, v6
	v_subrev_u32_e32 v6, 28, v8
	v_lshlrev_b64 v[6:7], v6, v[2:3]
	v_lshrrev_b32_e32 v5, 3, v4
	v_sub_u32_e32 v7, 29, v8
	v_and_b32_e32 v6, 7, v6
	v_cmp_gt_u32_e32 vcc, 8, v4
	v_cndmask_b32_e32 v4, v5, v7, vcc
	v_cndmask_b32_e32 v3, v3, v6, vcc
	v_lshlrev_b32_e32 v5, 24, v2
	v_lshlrev_b32_e32 v3, 20, v3
	v_and_b32_e32 v5, 0x80000000, v5
	v_lshl_add_u32 v4, v4, 23, v26
	v_or3_b32 v3, v5, v4, v3
.LBB6_735:                              ;   in Loop: Header=BB6_124 Depth=2
	s_or_b64 exec, exec, s[62:63]
.LBB6_736:                              ;   in Loop: Header=BB6_124 Depth=2
	s_or_b64 exec, exec, s[60:61]
.LBB6_737:                              ;   in Loop: Header=BB6_124 Depth=2
	s_or_b64 exec, exec, s[24:25]
	v_max_f32_e32 v3, v3, v3
	v_max_f32_e32 v0, v0, v0
	;; [unrolled: 1-line block ×3, first 2 shown]
	s_branch .LBB6_752
.LBB6_738:                              ;   in Loop: Header=BB6_124 Depth=2
                                        ; implicit-def: $vgpr3
	s_cbranch_execz .LBB6_752
; %bb.739:                              ;   in Loop: Header=BB6_124 Depth=2
	v_mov_b32_e32 v3, 0
	v_mov_b32_e32 v0, 0
	s_and_saveexec_b64 s[24:25], s[22:23]
	s_cbranch_execz .LBB6_745
; %bb.740:                              ;   in Loop: Header=BB6_124 Depth=2
	v_cmp_ne_u32_e32 vcc, s75, v18
	v_bfrev_b32_e32 v0, 1
	s_and_saveexec_b64 s[22:23], vcc
	s_cbranch_execz .LBB6_744
; %bb.741:                              ;   in Loop: Header=BB6_124 Depth=2
	v_bfe_u32 v4, v25, 24, 7
	v_cmp_ne_u32_e32 vcc, s76, v4
	v_mov_b32_e32 v0, 0x7f800001
	s_and_saveexec_b64 s[60:61], vcc
	s_cbranch_execz .LBB6_743
; %bb.742:                              ;   in Loop: Header=BB6_124 Depth=2
	v_and_b32_e32 v0, 7, v18
	v_ffbh_u32_e32 v6, v0
	v_min_u32_e32 v8, 32, v6
	v_subrev_u32_e32 v6, 28, v8
	v_lshlrev_b64 v[6:7], v6, v[18:19]
	v_lshrrev_b32_e32 v5, 3, v4
	v_sub_u32_e32 v7, 29, v8
	v_and_b32_e32 v6, 7, v6
	v_cmp_gt_u32_e32 vcc, 8, v4
	v_cndmask_b32_e32 v4, v5, v7, vcc
	v_cndmask_b32_e32 v0, v0, v6, vcc
	v_lshlrev_b32_e32 v5, 24, v18
	v_lshlrev_b32_e32 v0, 20, v0
	v_and_b32_e32 v5, 0x80000000, v5
	v_lshl_add_u32 v4, v4, 23, v26
	v_or3_b32 v0, v5, v4, v0
.LBB6_743:                              ;   in Loop: Header=BB6_124 Depth=2
	s_or_b64 exec, exec, s[60:61]
.LBB6_744:                              ;   in Loop: Header=BB6_124 Depth=2
	s_or_b64 exec, exec, s[22:23]
.LBB6_745:                              ;   in Loop: Header=BB6_124 Depth=2
	s_or_b64 exec, exec, s[24:25]
	v_cmp_lt_u64_e32 vcc, s[48:49], v[20:21]
	s_and_saveexec_b64 s[22:23], vcc
	s_cbranch_execz .LBB6_751
; %bb.746:                              ;   in Loop: Header=BB6_124 Depth=2
	v_cmp_ne_u32_e32 vcc, s75, v2
	v_bfrev_b32_e32 v3, 1
	s_and_saveexec_b64 s[24:25], vcc
	s_cbranch_execz .LBB6_750
; %bb.747:                              ;   in Loop: Header=BB6_124 Depth=2
	v_bfe_u32 v4, v21, 24, 7
	v_cmp_ne_u32_e32 vcc, s76, v4
	v_mov_b32_e32 v3, 0x7f800001
	s_and_saveexec_b64 s[60:61], vcc
	s_cbranch_execz .LBB6_749
; %bb.748:                              ;   in Loop: Header=BB6_124 Depth=2
	v_and_b32_e32 v3, 7, v2
	v_ffbh_u32_e32 v6, v3
	v_min_u32_e32 v8, 32, v6
	v_subrev_u32_e32 v6, 28, v8
	v_lshlrev_b64 v[6:7], v6, v[2:3]
	v_lshrrev_b32_e32 v5, 3, v4
	v_sub_u32_e32 v7, 29, v8
	v_and_b32_e32 v6, 7, v6
	v_cmp_gt_u32_e32 vcc, 8, v4
	v_cndmask_b32_e32 v4, v5, v7, vcc
	v_cndmask_b32_e32 v3, v3, v6, vcc
	v_lshlrev_b32_e32 v2, 24, v2
	v_lshlrev_b32_e32 v3, 20, v3
	v_and_b32_e32 v2, 0x80000000, v2
	v_lshl_add_u32 v4, v4, 23, v26
	v_or3_b32 v3, v2, v4, v3
.LBB6_749:                              ;   in Loop: Header=BB6_124 Depth=2
	s_or_b64 exec, exec, s[60:61]
.LBB6_750:                              ;   in Loop: Header=BB6_124 Depth=2
	s_or_b64 exec, exec, s[24:25]
.LBB6_751:                              ;   in Loop: Header=BB6_124 Depth=2
	s_or_b64 exec, exec, s[22:23]
	v_max_f32_e32 v2, v3, v3
	v_max_f32_e32 v0, v0, v0
	v_min_f32_e32 v3, v0, v2
.LBB6_752:                              ;   in Loop: Header=BB6_124 Depth=2
	v_and_b32_sdwa v0, v3, s75 dst_sel:DWORD dst_unused:UNUSED_PAD src0_sel:BYTE_3 src1_sel:DWORD
	v_and_b32_e32 v4, 0x7f800000, v3
	v_mov_b32_e32 v5, v55
	v_and_b32_e32 v54, 0x7fffff, v3
	v_or_b32_e32 v21, 0x7e, v0
	v_cmp_ne_u64_e32 vcc, s[44:45], v[4:5]
	s_and_saveexec_b64 s[22:23], vcc
	s_xor_b64 s[24:25], exec, s[22:23]
	s_cbranch_execz .LBB6_762
; %bb.753:                              ;   in Loop: Header=BB6_124 Depth=2
	v_and_b32_e32 v4, 0x7fffffff, v3
	v_mov_b32_e32 v5, v55
	v_cmp_gt_u64_e32 vcc, s[46:47], v[4:5]
	s_and_saveexec_b64 s[60:61], vcc
	s_cbranch_execz .LBB6_761
; %bb.754:                              ;   in Loop: Header=BB6_124 Depth=2
	v_cmp_ne_u32_e32 vcc, 0, v3
	v_mov_b32_e32 v21, 0
	s_and_saveexec_b64 s[62:63], vcc
	s_cbranch_execz .LBB6_760
; %bb.755:                              ;   in Loop: Header=BB6_124 Depth=2
	v_bfe_u32 v2, v3, 23, 8
	v_sub_u32_e32 v4, 0x79, v2
	v_cmp_gt_u32_e32 vcc, s78, v2
	v_cndmask_b32_e32 v4, 0, v4, vcc
	v_cmp_eq_u32_e32 vcc, 0, v2
	v_or_b32_e32 v5, 0x800000, v54
	v_cndmask_b32_e32 v4, v4, v32, vcc
	v_add_u32_e32 v3, 0xffffff81, v2
	v_cndmask_b32_e32 v54, v5, v54, vcc
	v_add_u32_e32 v2, 20, v4
	v_cndmask_b32_e32 v18, v3, v33, vcc
	v_lshlrev_b64 v[2:3], v2, -1
	v_add_u32_e32 v5, 19, v4
	v_lshrrev_b64 v[8:9], v4, v[54:55]
	v_not_b32_e32 v3, v3
	v_not_b32_e32 v2, v2
	v_lshlrev_b64 v[6:7], v5, 1
	v_lshrrev_b32_e32 v5, 23, v8
	v_and_b32_e32 v3, 0, v3
	v_and_b32_e32 v2, v54, v2
	v_add3_u32 v18, v4, v18, v5
	v_bfe_u32 v4, v8, 20, 1
	v_add_u32_e32 v4, -1, v4
	v_cmp_eq_u64_e32 vcc, v[2:3], v[6:7]
	v_cndmask_b32_e32 v2, 0, v4, vcc
	v_add_u32_e32 v2, v2, v8
	v_and_b32_e32 v2, 0xfffff, v2
	v_add_co_u32_e32 v2, vcc, v2, v8
	v_add_u32_e32 v5, 6, v18
	v_addc_co_u32_e32 v3, vcc, 0, v9, vcc
	v_cmp_ne_u32_e32 vcc, 0, v5
                                        ; implicit-def: $vgpr4
	s_and_saveexec_b64 s[22:23], vcc
	s_xor_b64 s[22:23], exec, s[22:23]
; %bb.756:                              ;   in Loop: Header=BB6_124 Depth=2
	v_add_u32_e32 v4, 7, v18
	v_cmp_lt_u64_e32 vcc, s[50:51], v[2:3]
	v_cndmask_b32_e32 v4, v5, v4, vcc
	v_cndmask_b32_e64 v5, 0, 1, vcc
	v_lshrrev_b64 v[2:3], v5, v[2:3]
; %bb.757:                              ;   in Loop: Header=BB6_124 Depth=2
	s_andn2_saveexec_b64 s[22:23], s[22:23]
; %bb.758:                              ;   in Loop: Header=BB6_124 Depth=2
	v_bfe_u32 v4, v2, 23, 1
; %bb.759:                              ;   in Loop: Header=BB6_124 Depth=2
	s_or_b64 exec, exec, s[22:23]
	v_lshrrev_b64 v[2:3], 20, v[2:3]
	v_cmp_gt_i32_e32 vcc, 16, v4
	v_cndmask_b32_e32 v3, 0, v3, vcc
	v_cndmask_b32_e32 v2, 7, v2, vcc
	v_cmp_eq_u64_e64 s[22:23], 0, v[2:3]
	v_min_i32_e32 v3, 15, v4
	v_lshlrev_b32_e32 v3, 3, v3
	v_cmp_eq_u32_e32 vcc, 0, v4
	v_and_b32_e32 v3, 0xf8, v3
	v_and_or_b32 v2, v2, 7, v3
	s_and_b64 s[22:23], vcc, s[22:23]
	v_cndmask_b32_e64 v2, v2, 0, s[22:23]
	v_or_b32_e32 v21, v2, v0
.LBB6_760:                              ;   in Loop: Header=BB6_124 Depth=2
	s_or_b64 exec, exec, s[62:63]
.LBB6_761:                              ;   in Loop: Header=BB6_124 Depth=2
	s_or_b64 exec, exec, s[60:61]
                                        ; implicit-def: $vgpr3
.LBB6_762:                              ;   in Loop: Header=BB6_124 Depth=2
	s_andn2_saveexec_b64 s[22:23], s[24:25]
; %bb.763:                              ;   in Loop: Header=BB6_124 Depth=2
	v_or_b32_sdwa v0, v3, s76 dst_sel:DWORD dst_unused:UNUSED_PAD src0_sel:BYTE_3 src1_sel:DWORD
	v_cmp_eq_u64_e32 vcc, 0, v[54:55]
	v_cndmask_b32_e32 v21, v0, v21, vcc
; %bb.764:                              ;   in Loop: Header=BB6_124 Depth=2
	s_or_b64 exec, exec, s[22:23]
	v_cndmask_b32_e64 v0, 0, 1, s[58:59]
	v_cmp_ne_u32_e64 s[22:23], 1, v0
	s_andn2_b64 vcc, exec, s[58:59]
	v_cmp_ne_u16_sdwa s[24:25], v14, v55 src0_sel:BYTE_0 src1_sel:DWORD
	s_cbranch_vccnz .LBB6_778
; %bb.765:                              ;   in Loop: Header=BB6_124 Depth=2
	v_mov_b32_e32 v2, 0
	v_mov_b32_e32 v0, 0
	s_and_saveexec_b64 s[60:61], s[24:25]
	s_cbranch_execz .LBB6_771
; %bb.766:                              ;   in Loop: Header=BB6_124 Depth=2
	v_cmp_ne_u16_sdwa vcc, v14, s75 src0_sel:BYTE_0 src1_sel:DWORD
	v_bfrev_b32_e32 v0, 1
	s_and_saveexec_b64 s[62:63], vcc
	s_cbranch_execz .LBB6_770
; %bb.767:                              ;   in Loop: Header=BB6_124 Depth=2
	v_and_b32_e32 v3, 0x7f, v14
	v_cmp_ne_u32_e32 vcc, s76, v3
	v_mov_b32_e32 v0, 0x7f800001
	s_and_saveexec_b64 s[64:65], vcc
	s_cbranch_execz .LBB6_769
; %bb.768:                              ;   in Loop: Header=BB6_124 Depth=2
	v_and_b32_e32 v0, 7, v14
	v_ffbh_u32_e32 v0, v0
	v_min_u32_e32 v0, 32, v0
	v_subrev_u32_e32 v5, 28, v0
	v_cmp_gt_u32_e32 vcc, 8, v3
	v_lshrrev_b32_e32 v4, 3, v3
	v_sub_u32_e32 v0, 29, v0
	v_cndmask_b32_e32 v3, 0, v5, vcc
	v_cndmask_b32_e32 v0, v4, v0, vcc
	v_lshlrev_b64 v[4:5], v3, v[14:15]
	v_lshlrev_b32_e32 v3, 20, v4
	v_lshlrev_b32_e32 v4, 24, v14
	v_and_b32_e32 v3, 0x700000, v3
	v_and_b32_e32 v4, 0x80000000, v4
	v_lshl_add_u32 v0, v0, 23, v26
	v_or3_b32 v0, v4, v0, v3
.LBB6_769:                              ;   in Loop: Header=BB6_124 Depth=2
	s_or_b64 exec, exec, s[64:65]
.LBB6_770:                              ;   in Loop: Header=BB6_124 Depth=2
	s_or_b64 exec, exec, s[62:63]
.LBB6_771:                              ;   in Loop: Header=BB6_124 Depth=2
	s_or_b64 exec, exec, s[60:61]
	v_cmp_ne_u16_sdwa vcc, v10, v55 src0_sel:BYTE_0 src1_sel:DWORD
	s_and_saveexec_b64 s[60:61], vcc
	s_cbranch_execz .LBB6_777
; %bb.772:                              ;   in Loop: Header=BB6_124 Depth=2
	v_cmp_ne_u16_sdwa vcc, v10, s75 src0_sel:BYTE_0 src1_sel:DWORD
	v_bfrev_b32_e32 v2, 1
	s_and_saveexec_b64 s[62:63], vcc
	s_cbranch_execz .LBB6_776
; %bb.773:                              ;   in Loop: Header=BB6_124 Depth=2
	v_and_b32_e32 v3, 0x7f, v10
	v_cmp_ne_u32_e32 vcc, s76, v3
	v_mov_b32_e32 v2, 0x7f800001
	s_and_saveexec_b64 s[64:65], vcc
	s_cbranch_execz .LBB6_775
; %bb.774:                              ;   in Loop: Header=BB6_124 Depth=2
	v_and_b32_e32 v2, 7, v10
	v_ffbh_u32_e32 v2, v2
	v_min_u32_e32 v2, 32, v2
	v_lshrrev_b32_e32 v4, 3, v3
	v_subrev_u32_e32 v5, 28, v2
	v_sub_u32_e32 v2, 29, v2
	v_cmp_gt_u32_e32 vcc, 8, v3
	v_cndmask_b32_e32 v4, v4, v2, vcc
	v_cndmask_b32_e32 v2, 0, v5, vcc
	v_lshlrev_b64 v[2:3], v2, v[10:11]
	v_lshlrev_b32_e32 v2, 20, v2
	v_lshlrev_b32_e32 v3, 24, v10
	v_and_b32_e32 v2, 0x700000, v2
	v_and_b32_e32 v3, 0x80000000, v3
	v_lshl_add_u32 v4, v4, 23, v26
	v_or3_b32 v2, v3, v4, v2
.LBB6_775:                              ;   in Loop: Header=BB6_124 Depth=2
	s_or_b64 exec, exec, s[64:65]
.LBB6_776:                              ;   in Loop: Header=BB6_124 Depth=2
	s_or_b64 exec, exec, s[62:63]
.LBB6_777:                              ;   in Loop: Header=BB6_124 Depth=2
	s_or_b64 exec, exec, s[60:61]
	v_max_f32_e32 v2, v2, v2
	v_max_f32_e32 v0, v0, v0
	;; [unrolled: 1-line block ×3, first 2 shown]
	s_branch .LBB6_792
.LBB6_778:                              ;   in Loop: Header=BB6_124 Depth=2
                                        ; implicit-def: $vgpr2
	s_cbranch_execz .LBB6_792
; %bb.779:                              ;   in Loop: Header=BB6_124 Depth=2
	v_mov_b32_e32 v2, 0
	v_mov_b32_e32 v0, 0
	s_and_saveexec_b64 s[60:61], s[24:25]
	s_cbranch_execz .LBB6_785
; %bb.780:                              ;   in Loop: Header=BB6_124 Depth=2
	v_cmp_ne_u16_sdwa vcc, v14, s75 src0_sel:BYTE_0 src1_sel:DWORD
	v_bfrev_b32_e32 v0, 1
	s_and_saveexec_b64 s[24:25], vcc
	s_cbranch_execz .LBB6_784
; %bb.781:                              ;   in Loop: Header=BB6_124 Depth=2
	v_and_b32_e32 v3, 0x7f, v14
	v_cmp_ne_u32_e32 vcc, s76, v3
	v_mov_b32_e32 v0, 0x7f800001
	s_and_saveexec_b64 s[62:63], vcc
	s_cbranch_execz .LBB6_783
; %bb.782:                              ;   in Loop: Header=BB6_124 Depth=2
	v_and_b32_e32 v0, 7, v14
	v_ffbh_u32_e32 v0, v0
	v_min_u32_e32 v0, 32, v0
	v_subrev_u32_e32 v5, 28, v0
	v_cmp_gt_u32_e32 vcc, 8, v3
	v_lshrrev_b32_e32 v4, 3, v3
	v_sub_u32_e32 v0, 29, v0
	v_cndmask_b32_e32 v3, 0, v5, vcc
	v_cndmask_b32_e32 v0, v4, v0, vcc
	v_lshlrev_b64 v[4:5], v3, v[14:15]
	v_lshlrev_b32_e32 v3, 20, v4
	v_lshlrev_b32_e32 v4, 24, v14
	v_and_b32_e32 v3, 0x700000, v3
	v_and_b32_e32 v4, 0x80000000, v4
	v_lshl_add_u32 v0, v0, 23, v26
	v_or3_b32 v0, v4, v0, v3
.LBB6_783:                              ;   in Loop: Header=BB6_124 Depth=2
	s_or_b64 exec, exec, s[62:63]
.LBB6_784:                              ;   in Loop: Header=BB6_124 Depth=2
	s_or_b64 exec, exec, s[24:25]
.LBB6_785:                              ;   in Loop: Header=BB6_124 Depth=2
	s_or_b64 exec, exec, s[60:61]
	v_cmp_ne_u16_sdwa vcc, v10, v55 src0_sel:BYTE_0 src1_sel:DWORD
	s_and_saveexec_b64 s[24:25], vcc
	s_cbranch_execz .LBB6_791
; %bb.786:                              ;   in Loop: Header=BB6_124 Depth=2
	v_cmp_ne_u16_sdwa vcc, v10, s75 src0_sel:BYTE_0 src1_sel:DWORD
	v_bfrev_b32_e32 v2, 1
	s_and_saveexec_b64 s[60:61], vcc
	s_cbranch_execz .LBB6_790
; %bb.787:                              ;   in Loop: Header=BB6_124 Depth=2
	v_and_b32_e32 v3, 0x7f, v10
	v_cmp_ne_u32_e32 vcc, s76, v3
	v_mov_b32_e32 v2, 0x7f800001
	s_and_saveexec_b64 s[62:63], vcc
	s_cbranch_execz .LBB6_789
; %bb.788:                              ;   in Loop: Header=BB6_124 Depth=2
	v_and_b32_e32 v2, 7, v10
	v_ffbh_u32_e32 v2, v2
	v_min_u32_e32 v2, 32, v2
	v_lshrrev_b32_e32 v4, 3, v3
	v_subrev_u32_e32 v5, 28, v2
	v_sub_u32_e32 v2, 29, v2
	v_cmp_gt_u32_e32 vcc, 8, v3
	v_cndmask_b32_e32 v4, v4, v2, vcc
	v_cndmask_b32_e32 v2, 0, v5, vcc
	v_lshlrev_b64 v[2:3], v2, v[10:11]
	v_lshlrev_b32_e32 v2, 20, v2
	v_lshlrev_b32_e32 v3, 24, v10
	v_and_b32_e32 v2, 0x700000, v2
	v_and_b32_e32 v3, 0x80000000, v3
	v_lshl_add_u32 v4, v4, 23, v26
	v_or3_b32 v2, v3, v4, v2
.LBB6_789:                              ;   in Loop: Header=BB6_124 Depth=2
	s_or_b64 exec, exec, s[62:63]
.LBB6_790:                              ;   in Loop: Header=BB6_124 Depth=2
	s_or_b64 exec, exec, s[60:61]
.LBB6_791:                              ;   in Loop: Header=BB6_124 Depth=2
	s_or_b64 exec, exec, s[24:25]
	v_max_f32_e32 v2, v2, v2
	v_max_f32_e32 v0, v0, v0
	v_min_f32_e32 v2, v0, v2
.LBB6_792:                              ;   in Loop: Header=BB6_124 Depth=2
	v_and_b32_sdwa v0, v2, s75 dst_sel:DWORD dst_unused:UNUSED_PAD src0_sel:BYTE_3 src1_sel:DWORD
	v_and_b32_e32 v4, 0x7f800000, v2
	v_mov_b32_e32 v5, v55
	v_and_b32_e32 v54, 0x7fffff, v2
	v_or_b32_e32 v24, 0x7e, v0
	v_cmp_ne_u64_e32 vcc, s[44:45], v[4:5]
	s_and_saveexec_b64 s[24:25], vcc
	s_xor_b64 s[60:61], exec, s[24:25]
	s_cbranch_execz .LBB6_802
; %bb.793:                              ;   in Loop: Header=BB6_124 Depth=2
	v_and_b32_e32 v4, 0x7fffffff, v2
	v_mov_b32_e32 v5, v55
	v_cmp_gt_u64_e32 vcc, s[46:47], v[4:5]
	s_and_saveexec_b64 s[62:63], vcc
	s_cbranch_execz .LBB6_801
; %bb.794:                              ;   in Loop: Header=BB6_124 Depth=2
	v_cmp_ne_u32_e32 vcc, 0, v2
	v_mov_b32_e32 v24, 0
	s_and_saveexec_b64 s[64:65], vcc
	s_cbranch_execz .LBB6_800
; %bb.795:                              ;   in Loop: Header=BB6_124 Depth=2
	v_bfe_u32 v2, v2, 23, 8
	v_sub_u32_e32 v4, 0x79, v2
	v_cmp_gt_u32_e32 vcc, s78, v2
	v_cndmask_b32_e32 v4, 0, v4, vcc
	v_cmp_eq_u32_e32 vcc, 0, v2
	v_or_b32_e32 v5, 0x800000, v54
	v_cndmask_b32_e32 v4, v4, v32, vcc
	v_add_u32_e32 v3, 0xffffff81, v2
	v_cndmask_b32_e32 v54, v5, v54, vcc
	v_add_u32_e32 v2, 20, v4
	v_cndmask_b32_e32 v18, v3, v33, vcc
	v_lshlrev_b64 v[2:3], v2, -1
	v_add_u32_e32 v5, 19, v4
	v_lshrrev_b64 v[8:9], v4, v[54:55]
	v_not_b32_e32 v3, v3
	v_not_b32_e32 v2, v2
	v_lshlrev_b64 v[6:7], v5, 1
	v_lshrrev_b32_e32 v5, 23, v8
	v_and_b32_e32 v3, 0, v3
	v_and_b32_e32 v2, v54, v2
	v_add3_u32 v18, v4, v18, v5
	v_bfe_u32 v4, v8, 20, 1
	v_add_u32_e32 v4, -1, v4
	v_cmp_eq_u64_e32 vcc, v[2:3], v[6:7]
	v_cndmask_b32_e32 v2, 0, v4, vcc
	v_add_u32_e32 v2, v2, v8
	v_and_b32_e32 v2, 0xfffff, v2
	v_add_co_u32_e32 v2, vcc, v2, v8
	v_add_u32_e32 v5, 6, v18
	v_addc_co_u32_e32 v3, vcc, 0, v9, vcc
	v_cmp_ne_u32_e32 vcc, 0, v5
                                        ; implicit-def: $vgpr4
	s_and_saveexec_b64 s[24:25], vcc
	s_xor_b64 s[24:25], exec, s[24:25]
; %bb.796:                              ;   in Loop: Header=BB6_124 Depth=2
	v_add_u32_e32 v4, 7, v18
	v_cmp_lt_u64_e32 vcc, s[50:51], v[2:3]
	v_cndmask_b32_e32 v4, v5, v4, vcc
	v_cndmask_b32_e64 v5, 0, 1, vcc
	v_lshrrev_b64 v[2:3], v5, v[2:3]
; %bb.797:                              ;   in Loop: Header=BB6_124 Depth=2
	s_andn2_saveexec_b64 s[24:25], s[24:25]
; %bb.798:                              ;   in Loop: Header=BB6_124 Depth=2
	v_bfe_u32 v4, v2, 23, 1
; %bb.799:                              ;   in Loop: Header=BB6_124 Depth=2
	s_or_b64 exec, exec, s[24:25]
	v_lshrrev_b64 v[2:3], 20, v[2:3]
	v_cmp_gt_i32_e32 vcc, 16, v4
	v_cndmask_b32_e32 v3, 0, v3, vcc
	v_cndmask_b32_e32 v2, 7, v2, vcc
	v_cmp_eq_u64_e64 s[24:25], 0, v[2:3]
	v_min_i32_e32 v3, 15, v4
	v_cmp_eq_u32_e32 vcc, 0, v4
	v_lshlrev_b32_e32 v3, 3, v3
	v_and_or_b32 v2, v2, 7, v3
	s_and_b64 s[24:25], vcc, s[24:25]
	v_cndmask_b32_e64 v2, v2, 0, s[24:25]
	v_or_b32_e32 v24, v2, v0
.LBB6_800:                              ;   in Loop: Header=BB6_124 Depth=2
	s_or_b64 exec, exec, s[64:65]
.LBB6_801:                              ;   in Loop: Header=BB6_124 Depth=2
	s_or_b64 exec, exec, s[62:63]
                                        ; implicit-def: $vgpr2
.LBB6_802:                              ;   in Loop: Header=BB6_124 Depth=2
	s_andn2_saveexec_b64 s[24:25], s[60:61]
; %bb.803:                              ;   in Loop: Header=BB6_124 Depth=2
	v_or_b32_sdwa v0, v2, s76 dst_sel:DWORD dst_unused:UNUSED_PAD src0_sel:BYTE_3 src1_sel:DWORD
	v_cmp_eq_u64_e32 vcc, 0, v[54:55]
	v_cndmask_b32_e32 v24, v0, v24, vcc
; %bb.804:                              ;   in Loop: Header=BB6_124 Depth=2
	s_or_b64 exec, exec, s[24:25]
	v_lshrrev_b16_e32 v18, 8, v14
	v_lshrrev_b16_e32 v2, 8, v10
	s_and_b64 vcc, exec, s[22:23]
	v_cmp_ne_u16_e64 s[24:25], 0, v18
	s_cbranch_vccnz .LBB6_818
; %bb.805:                              ;   in Loop: Header=BB6_124 Depth=2
	v_mov_b32_e32 v3, 0
	v_mov_b32_e32 v0, 0
	s_and_saveexec_b64 s[60:61], s[24:25]
	s_cbranch_execz .LBB6_811
; %bb.806:                              ;   in Loop: Header=BB6_124 Depth=2
	v_cmp_ne_u16_e32 vcc, s75, v18
	v_bfrev_b32_e32 v0, 1
	s_and_saveexec_b64 s[62:63], vcc
	s_cbranch_execz .LBB6_810
; %bb.807:                              ;   in Loop: Header=BB6_124 Depth=2
	v_and_b32_e32 v4, 0x7f, v18
	v_cmp_ne_u32_e32 vcc, s76, v4
	v_mov_b32_e32 v0, 0x7f800001
	s_and_saveexec_b64 s[64:65], vcc
	s_cbranch_execz .LBB6_809
; %bb.808:                              ;   in Loop: Header=BB6_124 Depth=2
	v_and_b32_e32 v0, 7, v18
	v_ffbh_u32_e32 v6, v0
	v_min_u32_e32 v8, 32, v6
	v_subrev_u32_e32 v6, 28, v8
	v_lshlrev_b64 v[6:7], v6, v[18:19]
	v_lshrrev_b32_e32 v5, 3, v4
	v_sub_u32_e32 v7, 29, v8
	v_and_b32_e32 v6, 7, v6
	v_cmp_gt_u32_e32 vcc, 8, v4
	v_cndmask_b32_e32 v4, v5, v7, vcc
	v_cndmask_b32_e32 v0, v0, v6, vcc
	v_lshlrev_b32_e32 v5, 16, v14
	v_lshlrev_b32_e32 v0, 20, v0
	v_and_b32_e32 v5, 0x80000000, v5
	v_lshl_add_u32 v4, v4, 23, v26
	v_or3_b32 v0, v5, v4, v0
.LBB6_809:                              ;   in Loop: Header=BB6_124 Depth=2
	s_or_b64 exec, exec, s[64:65]
.LBB6_810:                              ;   in Loop: Header=BB6_124 Depth=2
	s_or_b64 exec, exec, s[62:63]
.LBB6_811:                              ;   in Loop: Header=BB6_124 Depth=2
	s_or_b64 exec, exec, s[60:61]
	v_cmp_ne_u16_e32 vcc, 0, v2
	s_and_saveexec_b64 s[60:61], vcc
	s_cbranch_execz .LBB6_817
; %bb.812:                              ;   in Loop: Header=BB6_124 Depth=2
	v_cmp_ne_u16_e32 vcc, s75, v2
	v_bfrev_b32_e32 v3, 1
	s_and_saveexec_b64 s[62:63], vcc
	s_cbranch_execz .LBB6_816
; %bb.813:                              ;   in Loop: Header=BB6_124 Depth=2
	v_and_b32_e32 v4, 0x7f, v2
	v_cmp_ne_u32_e32 vcc, s76, v4
	v_mov_b32_e32 v3, 0x7f800001
	s_and_saveexec_b64 s[64:65], vcc
	s_cbranch_execz .LBB6_815
; %bb.814:                              ;   in Loop: Header=BB6_124 Depth=2
	v_and_b32_e32 v3, 7, v2
	v_ffbh_u32_e32 v6, v3
	v_min_u32_e32 v8, 32, v6
	v_subrev_u32_e32 v6, 28, v8
	v_lshlrev_b64 v[6:7], v6, v[2:3]
	v_lshrrev_b32_e32 v5, 3, v4
	v_sub_u32_e32 v7, 29, v8
	v_and_b32_e32 v6, 7, v6
	v_cmp_gt_u32_e32 vcc, 8, v4
	v_cndmask_b32_e32 v4, v5, v7, vcc
	v_cndmask_b32_e32 v3, v3, v6, vcc
	v_lshlrev_b32_e32 v5, 16, v10
	v_lshlrev_b32_e32 v3, 20, v3
	v_and_b32_e32 v5, 0x80000000, v5
	v_lshl_add_u32 v4, v4, 23, v26
	v_or3_b32 v3, v5, v4, v3
.LBB6_815:                              ;   in Loop: Header=BB6_124 Depth=2
	s_or_b64 exec, exec, s[64:65]
.LBB6_816:                              ;   in Loop: Header=BB6_124 Depth=2
	s_or_b64 exec, exec, s[62:63]
.LBB6_817:                              ;   in Loop: Header=BB6_124 Depth=2
	s_or_b64 exec, exec, s[60:61]
	v_max_f32_e32 v3, v3, v3
	v_max_f32_e32 v0, v0, v0
	;; [unrolled: 1-line block ×3, first 2 shown]
	s_branch .LBB6_832
.LBB6_818:                              ;   in Loop: Header=BB6_124 Depth=2
                                        ; implicit-def: $vgpr3
	s_cbranch_execz .LBB6_832
; %bb.819:                              ;   in Loop: Header=BB6_124 Depth=2
	v_mov_b32_e32 v3, 0
	v_mov_b32_e32 v0, 0
	s_and_saveexec_b64 s[60:61], s[24:25]
	s_cbranch_execz .LBB6_825
; %bb.820:                              ;   in Loop: Header=BB6_124 Depth=2
	v_cmp_ne_u16_e32 vcc, s75, v18
	v_bfrev_b32_e32 v0, 1
	s_and_saveexec_b64 s[24:25], vcc
	s_cbranch_execz .LBB6_824
; %bb.821:                              ;   in Loop: Header=BB6_124 Depth=2
	v_and_b32_e32 v4, 0x7f, v18
	v_cmp_ne_u32_e32 vcc, s76, v4
	v_mov_b32_e32 v0, 0x7f800001
	s_and_saveexec_b64 s[62:63], vcc
	s_cbranch_execz .LBB6_823
; %bb.822:                              ;   in Loop: Header=BB6_124 Depth=2
	v_and_b32_e32 v0, 7, v18
	v_ffbh_u32_e32 v6, v0
	v_min_u32_e32 v8, 32, v6
	v_subrev_u32_e32 v6, 28, v8
	v_lshlrev_b64 v[6:7], v6, v[18:19]
	v_lshrrev_b32_e32 v5, 3, v4
	v_sub_u32_e32 v7, 29, v8
	v_and_b32_e32 v6, 7, v6
	v_cmp_gt_u32_e32 vcc, 8, v4
	v_cndmask_b32_e32 v4, v5, v7, vcc
	v_cndmask_b32_e32 v0, v0, v6, vcc
	v_lshlrev_b32_e32 v5, 16, v14
	v_lshlrev_b32_e32 v0, 20, v0
	v_and_b32_e32 v5, 0x80000000, v5
	v_lshl_add_u32 v4, v4, 23, v26
	v_or3_b32 v0, v5, v4, v0
.LBB6_823:                              ;   in Loop: Header=BB6_124 Depth=2
	s_or_b64 exec, exec, s[62:63]
.LBB6_824:                              ;   in Loop: Header=BB6_124 Depth=2
	s_or_b64 exec, exec, s[24:25]
.LBB6_825:                              ;   in Loop: Header=BB6_124 Depth=2
	s_or_b64 exec, exec, s[60:61]
	v_cmp_ne_u16_e32 vcc, 0, v2
	s_and_saveexec_b64 s[24:25], vcc
	s_cbranch_execz .LBB6_831
; %bb.826:                              ;   in Loop: Header=BB6_124 Depth=2
	v_cmp_ne_u16_e32 vcc, s75, v2
	v_bfrev_b32_e32 v3, 1
	s_and_saveexec_b64 s[60:61], vcc
	s_cbranch_execz .LBB6_830
; %bb.827:                              ;   in Loop: Header=BB6_124 Depth=2
	v_and_b32_e32 v4, 0x7f, v2
	v_cmp_ne_u32_e32 vcc, s76, v4
	v_mov_b32_e32 v3, 0x7f800001
	s_and_saveexec_b64 s[62:63], vcc
	s_cbranch_execz .LBB6_829
; %bb.828:                              ;   in Loop: Header=BB6_124 Depth=2
	v_and_b32_e32 v5, 7, v2
	v_ffbh_u32_e32 v3, v5
	v_min_u32_e32 v7, 32, v3
	v_subrev_u32_e32 v3, 28, v7
	v_lshlrev_b64 v[2:3], v3, v[2:3]
	v_lshrrev_b32_e32 v6, 3, v4
	v_sub_u32_e32 v3, 29, v7
	v_and_b32_e32 v2, 7, v2
	v_cmp_gt_u32_e32 vcc, 8, v4
	v_cndmask_b32_e32 v3, v6, v3, vcc
	v_cndmask_b32_e32 v2, v5, v2, vcc
	v_lshlrev_b32_e32 v4, 16, v10
	v_lshlrev_b32_e32 v2, 20, v2
	v_and_b32_e32 v4, 0x80000000, v4
	v_lshl_add_u32 v3, v3, 23, v26
	v_or3_b32 v3, v4, v3, v2
.LBB6_829:                              ;   in Loop: Header=BB6_124 Depth=2
	s_or_b64 exec, exec, s[62:63]
.LBB6_830:                              ;   in Loop: Header=BB6_124 Depth=2
	s_or_b64 exec, exec, s[60:61]
.LBB6_831:                              ;   in Loop: Header=BB6_124 Depth=2
	s_or_b64 exec, exec, s[24:25]
	v_max_f32_e32 v2, v3, v3
	v_max_f32_e32 v0, v0, v0
	v_min_f32_e32 v3, v0, v2
.LBB6_832:                              ;   in Loop: Header=BB6_124 Depth=2
	v_and_b32_sdwa v0, v3, s75 dst_sel:DWORD dst_unused:UNUSED_PAD src0_sel:BYTE_3 src1_sel:DWORD
	v_and_b32_e32 v4, 0x7f800000, v3
	v_mov_b32_e32 v5, v55
	v_and_b32_e32 v54, 0x7fffff, v3
	v_or_b32_e32 v25, 0x7e, v0
	v_cmp_ne_u64_e32 vcc, s[44:45], v[4:5]
	s_and_saveexec_b64 s[24:25], vcc
	s_xor_b64 s[60:61], exec, s[24:25]
	s_cbranch_execz .LBB6_842
; %bb.833:                              ;   in Loop: Header=BB6_124 Depth=2
	v_and_b32_e32 v4, 0x7fffffff, v3
	v_mov_b32_e32 v5, v55
	v_cmp_gt_u64_e32 vcc, s[46:47], v[4:5]
	s_and_saveexec_b64 s[62:63], vcc
	s_cbranch_execz .LBB6_841
; %bb.834:                              ;   in Loop: Header=BB6_124 Depth=2
	v_cmp_ne_u32_e32 vcc, 0, v3
	v_mov_b32_e32 v25, 0
	s_and_saveexec_b64 s[64:65], vcc
	s_cbranch_execz .LBB6_840
; %bb.835:                              ;   in Loop: Header=BB6_124 Depth=2
	v_bfe_u32 v2, v3, 23, 8
	v_sub_u32_e32 v4, 0x79, v2
	v_cmp_gt_u32_e32 vcc, s78, v2
	v_cndmask_b32_e32 v4, 0, v4, vcc
	v_cmp_eq_u32_e32 vcc, 0, v2
	v_or_b32_e32 v5, 0x800000, v54
	v_cndmask_b32_e32 v4, v4, v32, vcc
	v_add_u32_e32 v3, 0xffffff81, v2
	v_cndmask_b32_e32 v54, v5, v54, vcc
	v_add_u32_e32 v2, 20, v4
	v_cndmask_b32_e32 v18, v3, v33, vcc
	v_lshlrev_b64 v[2:3], v2, -1
	v_add_u32_e32 v5, 19, v4
	v_lshrrev_b64 v[8:9], v4, v[54:55]
	v_not_b32_e32 v3, v3
	v_not_b32_e32 v2, v2
	v_lshlrev_b64 v[6:7], v5, 1
	v_lshrrev_b32_e32 v5, 23, v8
	v_and_b32_e32 v3, 0, v3
	v_and_b32_e32 v2, v54, v2
	v_add3_u32 v18, v4, v18, v5
	v_bfe_u32 v4, v8, 20, 1
	v_add_u32_e32 v4, -1, v4
	v_cmp_eq_u64_e32 vcc, v[2:3], v[6:7]
	v_cndmask_b32_e32 v2, 0, v4, vcc
	v_add_u32_e32 v2, v2, v8
	v_and_b32_e32 v2, 0xfffff, v2
	v_add_co_u32_e32 v2, vcc, v2, v8
	v_add_u32_e32 v5, 6, v18
	v_addc_co_u32_e32 v3, vcc, 0, v9, vcc
	v_cmp_ne_u32_e32 vcc, 0, v5
                                        ; implicit-def: $vgpr4
	s_and_saveexec_b64 s[24:25], vcc
	s_xor_b64 s[24:25], exec, s[24:25]
; %bb.836:                              ;   in Loop: Header=BB6_124 Depth=2
	v_add_u32_e32 v4, 7, v18
	v_cmp_lt_u64_e32 vcc, s[50:51], v[2:3]
	v_cndmask_b32_e32 v4, v5, v4, vcc
	v_cndmask_b32_e64 v5, 0, 1, vcc
	v_lshrrev_b64 v[2:3], v5, v[2:3]
; %bb.837:                              ;   in Loop: Header=BB6_124 Depth=2
	s_andn2_saveexec_b64 s[24:25], s[24:25]
; %bb.838:                              ;   in Loop: Header=BB6_124 Depth=2
	v_bfe_u32 v4, v2, 23, 1
; %bb.839:                              ;   in Loop: Header=BB6_124 Depth=2
	s_or_b64 exec, exec, s[24:25]
	v_lshrrev_b64 v[2:3], 20, v[2:3]
	v_cmp_gt_i32_e32 vcc, 16, v4
	v_cndmask_b32_e32 v3, 0, v3, vcc
	v_cndmask_b32_e32 v2, 7, v2, vcc
	v_cmp_eq_u64_e64 s[24:25], 0, v[2:3]
	v_min_i32_e32 v3, 15, v4
	v_cmp_eq_u32_e32 vcc, 0, v4
	v_lshlrev_b32_e32 v3, 3, v3
	v_and_or_b32 v2, v2, 7, v3
	s_and_b64 s[24:25], vcc, s[24:25]
	v_cndmask_b32_e64 v2, v2, 0, s[24:25]
	v_or_b32_e32 v25, v2, v0
.LBB6_840:                              ;   in Loop: Header=BB6_124 Depth=2
	s_or_b64 exec, exec, s[64:65]
.LBB6_841:                              ;   in Loop: Header=BB6_124 Depth=2
	s_or_b64 exec, exec, s[62:63]
                                        ; implicit-def: $vgpr3
.LBB6_842:                              ;   in Loop: Header=BB6_124 Depth=2
	s_andn2_saveexec_b64 s[24:25], s[60:61]
; %bb.843:                              ;   in Loop: Header=BB6_124 Depth=2
	v_or_b32_sdwa v0, v3, s76 dst_sel:DWORD dst_unused:UNUSED_PAD src0_sel:BYTE_3 src1_sel:DWORD
	v_cmp_eq_u64_e32 vcc, 0, v[54:55]
	v_cndmask_b32_e32 v25, v0, v25, vcc
; %bb.844:                              ;   in Loop: Header=BB6_124 Depth=2
	s_or_b64 exec, exec, s[24:25]
	v_lshrrev_b32_e32 v18, 16, v14
	v_lshrrev_b32_e32 v2, 16, v10
	s_and_b64 vcc, exec, s[22:23]
	v_cmp_ne_u16_sdwa s[24:25], v18, v55 src0_sel:BYTE_0 src1_sel:DWORD
	s_cbranch_vccnz .LBB6_858
; %bb.845:                              ;   in Loop: Header=BB6_124 Depth=2
	v_mov_b32_e32 v3, 0
	v_mov_b32_e32 v0, 0
	s_and_saveexec_b64 s[60:61], s[24:25]
	s_cbranch_execz .LBB6_851
; %bb.846:                              ;   in Loop: Header=BB6_124 Depth=2
	v_cmp_ne_u16_sdwa vcc, v18, s75 src0_sel:BYTE_0 src1_sel:DWORD
	v_bfrev_b32_e32 v0, 1
	s_and_saveexec_b64 s[62:63], vcc
	s_cbranch_execz .LBB6_850
; %bb.847:                              ;   in Loop: Header=BB6_124 Depth=2
	v_bfe_u32 v4, v14, 16, 7
	v_cmp_ne_u32_e32 vcc, s76, v4
	v_mov_b32_e32 v0, 0x7f800001
	s_and_saveexec_b64 s[64:65], vcc
	s_cbranch_execz .LBB6_849
; %bb.848:                              ;   in Loop: Header=BB6_124 Depth=2
	v_and_b32_e32 v0, 7, v18
	v_ffbh_u32_e32 v6, v0
	v_min_u32_e32 v8, 32, v6
	v_subrev_u32_e32 v6, 28, v8
	v_lshlrev_b64 v[6:7], v6, v[18:19]
	v_lshrrev_b32_e32 v5, 3, v4
	v_sub_u32_e32 v7, 29, v8
	v_and_b32_e32 v6, 7, v6
	v_cmp_gt_u32_e32 vcc, 8, v4
	v_cndmask_b32_e32 v4, v5, v7, vcc
	v_cndmask_b32_e32 v0, v0, v6, vcc
	v_lshlrev_b32_e32 v5, 24, v18
	v_lshlrev_b32_e32 v0, 20, v0
	v_and_b32_e32 v5, 0x80000000, v5
	v_lshl_add_u32 v4, v4, 23, v26
	v_or3_b32 v0, v5, v4, v0
.LBB6_849:                              ;   in Loop: Header=BB6_124 Depth=2
	s_or_b64 exec, exec, s[64:65]
.LBB6_850:                              ;   in Loop: Header=BB6_124 Depth=2
	s_or_b64 exec, exec, s[62:63]
.LBB6_851:                              ;   in Loop: Header=BB6_124 Depth=2
	s_or_b64 exec, exec, s[60:61]
	v_cmp_ne_u16_sdwa vcc, v2, v55 src0_sel:BYTE_0 src1_sel:DWORD
	s_and_saveexec_b64 s[60:61], vcc
	s_cbranch_execz .LBB6_857
; %bb.852:                              ;   in Loop: Header=BB6_124 Depth=2
	v_cmp_ne_u16_sdwa vcc, v2, s75 src0_sel:BYTE_0 src1_sel:DWORD
	v_bfrev_b32_e32 v3, 1
	s_and_saveexec_b64 s[62:63], vcc
	s_cbranch_execz .LBB6_856
; %bb.853:                              ;   in Loop: Header=BB6_124 Depth=2
	v_bfe_u32 v4, v10, 16, 7
	v_cmp_ne_u32_e32 vcc, s76, v4
	v_mov_b32_e32 v3, 0x7f800001
	s_and_saveexec_b64 s[64:65], vcc
	s_cbranch_execz .LBB6_855
; %bb.854:                              ;   in Loop: Header=BB6_124 Depth=2
	v_and_b32_e32 v3, 7, v2
	v_ffbh_u32_e32 v6, v3
	v_min_u32_e32 v8, 32, v6
	v_subrev_u32_e32 v6, 28, v8
	v_lshlrev_b64 v[6:7], v6, v[2:3]
	v_lshrrev_b32_e32 v5, 3, v4
	v_sub_u32_e32 v7, 29, v8
	v_and_b32_e32 v6, 7, v6
	v_cmp_gt_u32_e32 vcc, 8, v4
	v_cndmask_b32_e32 v4, v5, v7, vcc
	v_cndmask_b32_e32 v3, v3, v6, vcc
	v_lshlrev_b32_e32 v5, 24, v2
	v_lshlrev_b32_e32 v3, 20, v3
	v_and_b32_e32 v5, 0x80000000, v5
	v_lshl_add_u32 v4, v4, 23, v26
	v_or3_b32 v3, v5, v4, v3
.LBB6_855:                              ;   in Loop: Header=BB6_124 Depth=2
	s_or_b64 exec, exec, s[64:65]
.LBB6_856:                              ;   in Loop: Header=BB6_124 Depth=2
	s_or_b64 exec, exec, s[62:63]
.LBB6_857:                              ;   in Loop: Header=BB6_124 Depth=2
	s_or_b64 exec, exec, s[60:61]
	v_max_f32_e32 v3, v3, v3
	v_max_f32_e32 v0, v0, v0
	;; [unrolled: 1-line block ×3, first 2 shown]
	s_branch .LBB6_872
.LBB6_858:                              ;   in Loop: Header=BB6_124 Depth=2
                                        ; implicit-def: $vgpr3
	s_cbranch_execz .LBB6_872
; %bb.859:                              ;   in Loop: Header=BB6_124 Depth=2
	v_mov_b32_e32 v3, 0
	v_mov_b32_e32 v0, 0
	s_and_saveexec_b64 s[60:61], s[24:25]
	s_cbranch_execz .LBB6_865
; %bb.860:                              ;   in Loop: Header=BB6_124 Depth=2
	v_cmp_ne_u16_sdwa vcc, v18, s75 src0_sel:BYTE_0 src1_sel:DWORD
	v_bfrev_b32_e32 v0, 1
	s_and_saveexec_b64 s[24:25], vcc
	s_cbranch_execz .LBB6_864
; %bb.861:                              ;   in Loop: Header=BB6_124 Depth=2
	v_bfe_u32 v4, v14, 16, 7
	v_cmp_ne_u32_e32 vcc, s76, v4
	v_mov_b32_e32 v0, 0x7f800001
	s_and_saveexec_b64 s[62:63], vcc
	s_cbranch_execz .LBB6_863
; %bb.862:                              ;   in Loop: Header=BB6_124 Depth=2
	v_and_b32_e32 v0, 7, v18
	v_ffbh_u32_e32 v6, v0
	v_min_u32_e32 v8, 32, v6
	v_subrev_u32_e32 v6, 28, v8
	v_lshlrev_b64 v[6:7], v6, v[18:19]
	v_lshrrev_b32_e32 v5, 3, v4
	v_sub_u32_e32 v7, 29, v8
	v_and_b32_e32 v6, 7, v6
	v_cmp_gt_u32_e32 vcc, 8, v4
	v_cndmask_b32_e32 v4, v5, v7, vcc
	v_cndmask_b32_e32 v0, v0, v6, vcc
	v_lshlrev_b32_e32 v5, 24, v18
	v_lshlrev_b32_e32 v0, 20, v0
	v_and_b32_e32 v5, 0x80000000, v5
	v_lshl_add_u32 v4, v4, 23, v26
	v_or3_b32 v0, v5, v4, v0
.LBB6_863:                              ;   in Loop: Header=BB6_124 Depth=2
	s_or_b64 exec, exec, s[62:63]
.LBB6_864:                              ;   in Loop: Header=BB6_124 Depth=2
	s_or_b64 exec, exec, s[24:25]
.LBB6_865:                              ;   in Loop: Header=BB6_124 Depth=2
	s_or_b64 exec, exec, s[60:61]
	v_cmp_ne_u16_sdwa vcc, v2, v55 src0_sel:BYTE_0 src1_sel:DWORD
	s_and_saveexec_b64 s[24:25], vcc
	s_cbranch_execz .LBB6_871
; %bb.866:                              ;   in Loop: Header=BB6_124 Depth=2
	v_cmp_ne_u16_sdwa vcc, v2, s75 src0_sel:BYTE_0 src1_sel:DWORD
	v_bfrev_b32_e32 v3, 1
	s_and_saveexec_b64 s[60:61], vcc
	s_cbranch_execz .LBB6_870
; %bb.867:                              ;   in Loop: Header=BB6_124 Depth=2
	v_bfe_u32 v4, v10, 16, 7
	v_cmp_ne_u32_e32 vcc, s76, v4
	v_mov_b32_e32 v3, 0x7f800001
	s_and_saveexec_b64 s[62:63], vcc
	s_cbranch_execz .LBB6_869
; %bb.868:                              ;   in Loop: Header=BB6_124 Depth=2
	v_and_b32_e32 v3, 7, v2
	v_ffbh_u32_e32 v6, v3
	v_min_u32_e32 v8, 32, v6
	v_subrev_u32_e32 v6, 28, v8
	v_lshlrev_b64 v[6:7], v6, v[2:3]
	v_lshrrev_b32_e32 v5, 3, v4
	v_sub_u32_e32 v7, 29, v8
	v_and_b32_e32 v6, 7, v6
	v_cmp_gt_u32_e32 vcc, 8, v4
	v_cndmask_b32_e32 v4, v5, v7, vcc
	v_cndmask_b32_e32 v3, v3, v6, vcc
	v_lshlrev_b32_e32 v2, 24, v2
	v_lshlrev_b32_e32 v3, 20, v3
	v_and_b32_e32 v2, 0x80000000, v2
	v_lshl_add_u32 v4, v4, 23, v26
	v_or3_b32 v3, v2, v4, v3
.LBB6_869:                              ;   in Loop: Header=BB6_124 Depth=2
	s_or_b64 exec, exec, s[62:63]
.LBB6_870:                              ;   in Loop: Header=BB6_124 Depth=2
	s_or_b64 exec, exec, s[60:61]
.LBB6_871:                              ;   in Loop: Header=BB6_124 Depth=2
	s_or_b64 exec, exec, s[24:25]
	v_max_f32_e32 v2, v3, v3
	v_max_f32_e32 v0, v0, v0
	v_min_f32_e32 v3, v0, v2
.LBB6_872:                              ;   in Loop: Header=BB6_124 Depth=2
	v_and_b32_sdwa v0, v3, s75 dst_sel:DWORD dst_unused:UNUSED_PAD src0_sel:BYTE_3 src1_sel:DWORD
	v_and_b32_e32 v4, 0x7f800000, v3
	v_mov_b32_e32 v5, v55
	v_and_b32_e32 v54, 0x7fffff, v3
	v_or_b32_e32 v29, 0x7e, v0
	v_cmp_ne_u64_e32 vcc, s[44:45], v[4:5]
	s_and_saveexec_b64 s[24:25], vcc
	s_xor_b64 s[60:61], exec, s[24:25]
	s_cbranch_execz .LBB6_882
; %bb.873:                              ;   in Loop: Header=BB6_124 Depth=2
	v_and_b32_e32 v4, 0x7fffffff, v3
	v_mov_b32_e32 v5, v55
	v_cmp_gt_u64_e32 vcc, s[46:47], v[4:5]
	s_and_saveexec_b64 s[62:63], vcc
	s_cbranch_execz .LBB6_881
; %bb.874:                              ;   in Loop: Header=BB6_124 Depth=2
	v_cmp_ne_u32_e32 vcc, 0, v3
	v_mov_b32_e32 v29, 0
	s_and_saveexec_b64 s[64:65], vcc
	s_cbranch_execz .LBB6_880
; %bb.875:                              ;   in Loop: Header=BB6_124 Depth=2
	v_bfe_u32 v2, v3, 23, 8
	v_sub_u32_e32 v4, 0x79, v2
	v_cmp_gt_u32_e32 vcc, s78, v2
	v_cndmask_b32_e32 v4, 0, v4, vcc
	v_cmp_eq_u32_e32 vcc, 0, v2
	v_or_b32_e32 v5, 0x800000, v54
	v_cndmask_b32_e32 v4, v4, v32, vcc
	v_add_u32_e32 v3, 0xffffff81, v2
	v_cndmask_b32_e32 v54, v5, v54, vcc
	v_add_u32_e32 v2, 20, v4
	v_cndmask_b32_e32 v18, v3, v33, vcc
	v_lshlrev_b64 v[2:3], v2, -1
	v_add_u32_e32 v5, 19, v4
	v_lshrrev_b64 v[8:9], v4, v[54:55]
	v_not_b32_e32 v3, v3
	v_not_b32_e32 v2, v2
	v_lshlrev_b64 v[6:7], v5, 1
	v_lshrrev_b32_e32 v5, 23, v8
	v_and_b32_e32 v3, 0, v3
	v_and_b32_e32 v2, v54, v2
	v_add3_u32 v18, v4, v18, v5
	v_bfe_u32 v4, v8, 20, 1
	v_add_u32_e32 v4, -1, v4
	v_cmp_eq_u64_e32 vcc, v[2:3], v[6:7]
	v_cndmask_b32_e32 v2, 0, v4, vcc
	v_add_u32_e32 v2, v2, v8
	v_and_b32_e32 v2, 0xfffff, v2
	v_add_co_u32_e32 v2, vcc, v2, v8
	v_add_u32_e32 v5, 6, v18
	v_addc_co_u32_e32 v3, vcc, 0, v9, vcc
	v_cmp_ne_u32_e32 vcc, 0, v5
                                        ; implicit-def: $vgpr4
	s_and_saveexec_b64 s[24:25], vcc
	s_xor_b64 s[24:25], exec, s[24:25]
; %bb.876:                              ;   in Loop: Header=BB6_124 Depth=2
	v_add_u32_e32 v4, 7, v18
	v_cmp_lt_u64_e32 vcc, s[50:51], v[2:3]
	v_cndmask_b32_e32 v4, v5, v4, vcc
	v_cndmask_b32_e64 v5, 0, 1, vcc
	v_lshrrev_b64 v[2:3], v5, v[2:3]
; %bb.877:                              ;   in Loop: Header=BB6_124 Depth=2
	s_andn2_saveexec_b64 s[24:25], s[24:25]
; %bb.878:                              ;   in Loop: Header=BB6_124 Depth=2
	v_bfe_u32 v4, v2, 23, 1
; %bb.879:                              ;   in Loop: Header=BB6_124 Depth=2
	s_or_b64 exec, exec, s[24:25]
	v_lshrrev_b64 v[2:3], 20, v[2:3]
	v_cmp_gt_i32_e32 vcc, 16, v4
	v_cndmask_b32_e32 v3, 0, v3, vcc
	v_cndmask_b32_e32 v2, 7, v2, vcc
	v_cmp_eq_u64_e64 s[24:25], 0, v[2:3]
	v_min_i32_e32 v3, 15, v4
	v_cmp_eq_u32_e32 vcc, 0, v4
	v_lshlrev_b32_e32 v3, 3, v3
	v_and_or_b32 v2, v2, 7, v3
	s_and_b64 s[24:25], vcc, s[24:25]
	v_cndmask_b32_e64 v2, v2, 0, s[24:25]
	v_or_b32_e32 v29, v2, v0
.LBB6_880:                              ;   in Loop: Header=BB6_124 Depth=2
	s_or_b64 exec, exec, s[64:65]
.LBB6_881:                              ;   in Loop: Header=BB6_124 Depth=2
	s_or_b64 exec, exec, s[62:63]
                                        ; implicit-def: $vgpr3
.LBB6_882:                              ;   in Loop: Header=BB6_124 Depth=2
	s_andn2_saveexec_b64 s[24:25], s[60:61]
; %bb.883:                              ;   in Loop: Header=BB6_124 Depth=2
	v_or_b32_sdwa v0, v3, s76 dst_sel:DWORD dst_unused:UNUSED_PAD src0_sel:BYTE_3 src1_sel:DWORD
	v_cmp_eq_u64_e32 vcc, 0, v[54:55]
	v_cndmask_b32_e32 v29, v0, v29, vcc
; %bb.884:                              ;   in Loop: Header=BB6_124 Depth=2
	s_or_b64 exec, exec, s[24:25]
	v_lshrrev_b32_e32 v18, 24, v14
	v_lshrrev_b32_e32 v2, 24, v10
	s_and_b64 vcc, exec, s[22:23]
	v_cmp_lt_u32_e64 s[24:25], s49, v14
	s_cbranch_vccnz .LBB6_898
; %bb.885:                              ;   in Loop: Header=BB6_124 Depth=2
	v_mov_b32_e32 v3, 0
	v_mov_b32_e32 v0, 0
	s_and_saveexec_b64 s[60:61], s[24:25]
	s_cbranch_execz .LBB6_891
; %bb.886:                              ;   in Loop: Header=BB6_124 Depth=2
	v_cmp_ne_u32_e32 vcc, s75, v18
	v_bfrev_b32_e32 v0, 1
	s_and_saveexec_b64 s[62:63], vcc
	s_cbranch_execz .LBB6_890
; %bb.887:                              ;   in Loop: Header=BB6_124 Depth=2
	v_bfe_u32 v4, v14, 24, 7
	v_cmp_ne_u32_e32 vcc, s76, v4
	v_mov_b32_e32 v0, 0x7f800001
	s_and_saveexec_b64 s[64:65], vcc
	s_cbranch_execz .LBB6_889
; %bb.888:                              ;   in Loop: Header=BB6_124 Depth=2
	v_and_b32_e32 v0, 7, v18
	v_ffbh_u32_e32 v6, v0
	v_min_u32_e32 v8, 32, v6
	v_subrev_u32_e32 v6, 28, v8
	v_lshlrev_b64 v[6:7], v6, v[18:19]
	v_lshrrev_b32_e32 v5, 3, v4
	v_sub_u32_e32 v7, 29, v8
	v_and_b32_e32 v6, 7, v6
	v_cmp_gt_u32_e32 vcc, 8, v4
	v_cndmask_b32_e32 v4, v5, v7, vcc
	v_cndmask_b32_e32 v0, v0, v6, vcc
	v_lshlrev_b32_e32 v5, 24, v18
	v_lshlrev_b32_e32 v0, 20, v0
	v_and_b32_e32 v5, 0x80000000, v5
	v_lshl_add_u32 v4, v4, 23, v26
	v_or3_b32 v0, v5, v4, v0
.LBB6_889:                              ;   in Loop: Header=BB6_124 Depth=2
	s_or_b64 exec, exec, s[64:65]
.LBB6_890:                              ;   in Loop: Header=BB6_124 Depth=2
	s_or_b64 exec, exec, s[62:63]
.LBB6_891:                              ;   in Loop: Header=BB6_124 Depth=2
	s_or_b64 exec, exec, s[60:61]
	v_cmp_lt_u32_e32 vcc, s49, v10
	s_and_saveexec_b64 s[60:61], vcc
	s_cbranch_execz .LBB6_897
; %bb.892:                              ;   in Loop: Header=BB6_124 Depth=2
	v_cmp_ne_u32_e32 vcc, s75, v2
	v_bfrev_b32_e32 v3, 1
	s_and_saveexec_b64 s[62:63], vcc
	s_cbranch_execz .LBB6_896
; %bb.893:                              ;   in Loop: Header=BB6_124 Depth=2
	v_bfe_u32 v4, v10, 24, 7
	v_cmp_ne_u32_e32 vcc, s76, v4
	v_mov_b32_e32 v3, 0x7f800001
	s_and_saveexec_b64 s[64:65], vcc
	s_cbranch_execz .LBB6_895
; %bb.894:                              ;   in Loop: Header=BB6_124 Depth=2
	v_and_b32_e32 v3, 7, v2
	v_ffbh_u32_e32 v6, v3
	v_min_u32_e32 v8, 32, v6
	v_subrev_u32_e32 v6, 28, v8
	v_lshlrev_b64 v[6:7], v6, v[2:3]
	v_lshrrev_b32_e32 v5, 3, v4
	v_sub_u32_e32 v7, 29, v8
	v_and_b32_e32 v6, 7, v6
	v_cmp_gt_u32_e32 vcc, 8, v4
	v_cndmask_b32_e32 v4, v5, v7, vcc
	v_cndmask_b32_e32 v3, v3, v6, vcc
	v_lshlrev_b32_e32 v5, 24, v2
	v_lshlrev_b32_e32 v3, 20, v3
	v_and_b32_e32 v5, 0x80000000, v5
	v_lshl_add_u32 v4, v4, 23, v26
	v_or3_b32 v3, v5, v4, v3
.LBB6_895:                              ;   in Loop: Header=BB6_124 Depth=2
	s_or_b64 exec, exec, s[64:65]
.LBB6_896:                              ;   in Loop: Header=BB6_124 Depth=2
	s_or_b64 exec, exec, s[62:63]
.LBB6_897:                              ;   in Loop: Header=BB6_124 Depth=2
	s_or_b64 exec, exec, s[60:61]
	v_max_f32_e32 v3, v3, v3
	v_max_f32_e32 v0, v0, v0
	;; [unrolled: 1-line block ×3, first 2 shown]
	s_branch .LBB6_912
.LBB6_898:                              ;   in Loop: Header=BB6_124 Depth=2
                                        ; implicit-def: $vgpr3
	s_cbranch_execz .LBB6_912
; %bb.899:                              ;   in Loop: Header=BB6_124 Depth=2
	v_mov_b32_e32 v3, 0
	v_mov_b32_e32 v0, 0
	s_and_saveexec_b64 s[60:61], s[24:25]
	s_cbranch_execz .LBB6_905
; %bb.900:                              ;   in Loop: Header=BB6_124 Depth=2
	v_cmp_ne_u32_e32 vcc, s75, v18
	v_bfrev_b32_e32 v0, 1
	s_and_saveexec_b64 s[24:25], vcc
	s_cbranch_execz .LBB6_904
; %bb.901:                              ;   in Loop: Header=BB6_124 Depth=2
	v_bfe_u32 v4, v14, 24, 7
	v_cmp_ne_u32_e32 vcc, s76, v4
	v_mov_b32_e32 v0, 0x7f800001
	s_and_saveexec_b64 s[62:63], vcc
	s_cbranch_execz .LBB6_903
; %bb.902:                              ;   in Loop: Header=BB6_124 Depth=2
	v_and_b32_e32 v0, 7, v18
	v_ffbh_u32_e32 v6, v0
	v_min_u32_e32 v8, 32, v6
	v_subrev_u32_e32 v6, 28, v8
	v_lshlrev_b64 v[6:7], v6, v[18:19]
	v_lshrrev_b32_e32 v5, 3, v4
	v_sub_u32_e32 v7, 29, v8
	v_and_b32_e32 v6, 7, v6
	v_cmp_gt_u32_e32 vcc, 8, v4
	v_cndmask_b32_e32 v4, v5, v7, vcc
	v_cndmask_b32_e32 v0, v0, v6, vcc
	v_lshlrev_b32_e32 v5, 24, v18
	v_lshlrev_b32_e32 v0, 20, v0
	v_and_b32_e32 v5, 0x80000000, v5
	v_lshl_add_u32 v4, v4, 23, v26
	v_or3_b32 v0, v5, v4, v0
.LBB6_903:                              ;   in Loop: Header=BB6_124 Depth=2
	s_or_b64 exec, exec, s[62:63]
.LBB6_904:                              ;   in Loop: Header=BB6_124 Depth=2
	s_or_b64 exec, exec, s[24:25]
.LBB6_905:                              ;   in Loop: Header=BB6_124 Depth=2
	s_or_b64 exec, exec, s[60:61]
	v_cmp_lt_u32_e32 vcc, s49, v10
	s_and_saveexec_b64 s[24:25], vcc
	s_cbranch_execz .LBB6_911
; %bb.906:                              ;   in Loop: Header=BB6_124 Depth=2
	v_cmp_ne_u32_e32 vcc, s75, v2
	v_bfrev_b32_e32 v3, 1
	s_and_saveexec_b64 s[60:61], vcc
	s_cbranch_execz .LBB6_910
; %bb.907:                              ;   in Loop: Header=BB6_124 Depth=2
	v_bfe_u32 v4, v10, 24, 7
	v_cmp_ne_u32_e32 vcc, s76, v4
	v_mov_b32_e32 v3, 0x7f800001
	s_and_saveexec_b64 s[62:63], vcc
	s_cbranch_execz .LBB6_909
; %bb.908:                              ;   in Loop: Header=BB6_124 Depth=2
	v_and_b32_e32 v3, 7, v2
	v_ffbh_u32_e32 v6, v3
	v_min_u32_e32 v8, 32, v6
	v_subrev_u32_e32 v6, 28, v8
	v_lshlrev_b64 v[6:7], v6, v[2:3]
	v_lshrrev_b32_e32 v5, 3, v4
	v_sub_u32_e32 v7, 29, v8
	v_and_b32_e32 v6, 7, v6
	v_cmp_gt_u32_e32 vcc, 8, v4
	v_cndmask_b32_e32 v4, v5, v7, vcc
	v_cndmask_b32_e32 v3, v3, v6, vcc
	v_lshlrev_b32_e32 v2, 24, v2
	v_lshlrev_b32_e32 v3, 20, v3
	v_and_b32_e32 v2, 0x80000000, v2
	v_lshl_add_u32 v4, v4, 23, v26
	v_or3_b32 v3, v2, v4, v3
.LBB6_909:                              ;   in Loop: Header=BB6_124 Depth=2
	s_or_b64 exec, exec, s[62:63]
.LBB6_910:                              ;   in Loop: Header=BB6_124 Depth=2
	s_or_b64 exec, exec, s[60:61]
.LBB6_911:                              ;   in Loop: Header=BB6_124 Depth=2
	s_or_b64 exec, exec, s[24:25]
	v_max_f32_e32 v2, v3, v3
	v_max_f32_e32 v0, v0, v0
	v_min_f32_e32 v3, v0, v2
.LBB6_912:                              ;   in Loop: Header=BB6_124 Depth=2
	v_and_b32_sdwa v0, v3, s75 dst_sel:DWORD dst_unused:UNUSED_PAD src0_sel:BYTE_3 src1_sel:DWORD
	v_and_b32_e32 v4, 0x7f800000, v3
	v_mov_b32_e32 v5, v55
	v_and_b32_e32 v54, 0x7fffff, v3
	v_or_b32_e32 v27, 0x7e, v0
	v_cmp_ne_u64_e32 vcc, s[44:45], v[4:5]
	s_and_saveexec_b64 s[24:25], vcc
	s_xor_b64 s[60:61], exec, s[24:25]
	s_cbranch_execz .LBB6_922
; %bb.913:                              ;   in Loop: Header=BB6_124 Depth=2
	v_and_b32_e32 v4, 0x7fffffff, v3
	v_mov_b32_e32 v5, v55
	v_cmp_gt_u64_e32 vcc, s[46:47], v[4:5]
	s_and_saveexec_b64 s[62:63], vcc
	s_cbranch_execz .LBB6_921
; %bb.914:                              ;   in Loop: Header=BB6_124 Depth=2
	v_cmp_ne_u32_e32 vcc, 0, v3
	v_mov_b32_e32 v27, 0
	s_and_saveexec_b64 s[64:65], vcc
	s_cbranch_execz .LBB6_920
; %bb.915:                              ;   in Loop: Header=BB6_124 Depth=2
	v_bfe_u32 v2, v3, 23, 8
	v_sub_u32_e32 v4, 0x79, v2
	v_cmp_gt_u32_e32 vcc, s78, v2
	v_cndmask_b32_e32 v4, 0, v4, vcc
	v_cmp_eq_u32_e32 vcc, 0, v2
	v_or_b32_e32 v5, 0x800000, v54
	v_cndmask_b32_e32 v4, v4, v32, vcc
	v_add_u32_e32 v3, 0xffffff81, v2
	v_cndmask_b32_e32 v54, v5, v54, vcc
	v_add_u32_e32 v2, 20, v4
	v_cndmask_b32_e32 v18, v3, v33, vcc
	v_lshlrev_b64 v[2:3], v2, -1
	v_add_u32_e32 v5, 19, v4
	v_lshrrev_b64 v[8:9], v4, v[54:55]
	v_not_b32_e32 v3, v3
	v_not_b32_e32 v2, v2
	v_lshlrev_b64 v[6:7], v5, 1
	v_lshrrev_b32_e32 v5, 23, v8
	v_and_b32_e32 v3, 0, v3
	v_and_b32_e32 v2, v54, v2
	v_add3_u32 v18, v4, v18, v5
	v_bfe_u32 v4, v8, 20, 1
	v_add_u32_e32 v4, -1, v4
	v_cmp_eq_u64_e32 vcc, v[2:3], v[6:7]
	v_cndmask_b32_e32 v2, 0, v4, vcc
	v_add_u32_e32 v2, v2, v8
	v_and_b32_e32 v2, 0xfffff, v2
	v_add_co_u32_e32 v2, vcc, v2, v8
	v_add_u32_e32 v5, 6, v18
	v_addc_co_u32_e32 v3, vcc, 0, v9, vcc
	v_cmp_ne_u32_e32 vcc, 0, v5
                                        ; implicit-def: $vgpr4
	s_and_saveexec_b64 s[24:25], vcc
	s_xor_b64 s[24:25], exec, s[24:25]
; %bb.916:                              ;   in Loop: Header=BB6_124 Depth=2
	v_add_u32_e32 v4, 7, v18
	v_cmp_lt_u64_e32 vcc, s[50:51], v[2:3]
	v_cndmask_b32_e32 v4, v5, v4, vcc
	v_cndmask_b32_e64 v5, 0, 1, vcc
	v_lshrrev_b64 v[2:3], v5, v[2:3]
; %bb.917:                              ;   in Loop: Header=BB6_124 Depth=2
	s_andn2_saveexec_b64 s[24:25], s[24:25]
; %bb.918:                              ;   in Loop: Header=BB6_124 Depth=2
	v_bfe_u32 v4, v2, 23, 1
; %bb.919:                              ;   in Loop: Header=BB6_124 Depth=2
	s_or_b64 exec, exec, s[24:25]
	v_lshrrev_b64 v[2:3], 20, v[2:3]
	v_cmp_gt_i32_e32 vcc, 16, v4
	v_cndmask_b32_e32 v3, 0, v3, vcc
	v_cndmask_b32_e32 v2, 7, v2, vcc
	v_cmp_eq_u64_e64 s[24:25], 0, v[2:3]
	v_min_i32_e32 v3, 15, v4
	v_cmp_eq_u32_e32 vcc, 0, v4
	v_lshlrev_b32_e32 v3, 3, v3
	v_and_or_b32 v2, v2, 7, v3
	s_and_b64 s[24:25], vcc, s[24:25]
	v_cndmask_b32_e64 v2, v2, 0, s[24:25]
	v_or_b32_e32 v27, v2, v0
.LBB6_920:                              ;   in Loop: Header=BB6_124 Depth=2
	s_or_b64 exec, exec, s[64:65]
.LBB6_921:                              ;   in Loop: Header=BB6_124 Depth=2
	s_or_b64 exec, exec, s[62:63]
                                        ; implicit-def: $vgpr3
.LBB6_922:                              ;   in Loop: Header=BB6_124 Depth=2
	s_andn2_saveexec_b64 s[24:25], s[60:61]
; %bb.923:                              ;   in Loop: Header=BB6_124 Depth=2
	v_or_b32_sdwa v0, v3, s76 dst_sel:DWORD dst_unused:UNUSED_PAD src0_sel:BYTE_3 src1_sel:DWORD
	v_cmp_eq_u64_e32 vcc, 0, v[54:55]
	v_cndmask_b32_e32 v27, v0, v27, vcc
; %bb.924:                              ;   in Loop: Header=BB6_124 Depth=2
	s_or_b64 exec, exec, s[24:25]
	v_mov_b32_e32 v54, v15
	v_mov_b32_e32 v2, v11
	;; [unrolled: 1-line block ×3, first 2 shown]
	s_and_b64 vcc, exec, s[22:23]
	v_cmp_ne_u16_sdwa s[24:25], v15, v55 src0_sel:BYTE_0 src1_sel:DWORD
	s_cbranch_vccnz .LBB6_938
; %bb.925:                              ;   in Loop: Header=BB6_124 Depth=2
	v_mov_b32_e32 v4, 0
	v_mov_b32_e32 v0, 0
	s_and_saveexec_b64 s[60:61], s[24:25]
	s_cbranch_execz .LBB6_931
; %bb.926:                              ;   in Loop: Header=BB6_124 Depth=2
	v_cmp_ne_u16_sdwa vcc, v15, s75 src0_sel:BYTE_0 src1_sel:DWORD
	v_bfrev_b32_e32 v0, 1
	s_and_saveexec_b64 s[62:63], vcc
	s_cbranch_execz .LBB6_930
; %bb.927:                              ;   in Loop: Header=BB6_124 Depth=2
	v_and_b32_e32 v5, 0x7f, v15
	v_cmp_ne_u32_e32 vcc, s76, v5
	v_mov_b32_e32 v0, 0x7f800001
	s_and_saveexec_b64 s[64:65], vcc
	s_cbranch_execz .LBB6_929
; %bb.928:                              ;   in Loop: Header=BB6_124 Depth=2
	v_and_b32_e32 v0, 7, v15
	v_ffbh_u32_e32 v0, v0
	v_min_u32_e32 v0, 32, v0
	v_subrev_u32_e32 v7, 28, v0
	v_cmp_gt_u32_e32 vcc, 8, v5
	v_lshrrev_b32_e32 v6, 3, v5
	v_sub_u32_e32 v0, 29, v0
	v_cndmask_b32_e32 v5, 0, v7, vcc
	v_cndmask_b32_e32 v0, v6, v0, vcc
	v_lshlrev_b64 v[6:7], v5, v[54:55]
	v_lshlrev_b32_e32 v5, 20, v6
	v_lshlrev_b32_e32 v6, 24, v54
	v_and_b32_e32 v5, 0x700000, v5
	v_and_b32_e32 v6, 0x80000000, v6
	v_lshl_add_u32 v0, v0, 23, v26
	v_or3_b32 v0, v6, v0, v5
.LBB6_929:                              ;   in Loop: Header=BB6_124 Depth=2
	s_or_b64 exec, exec, s[64:65]
.LBB6_930:                              ;   in Loop: Header=BB6_124 Depth=2
	s_or_b64 exec, exec, s[62:63]
.LBB6_931:                              ;   in Loop: Header=BB6_124 Depth=2
	s_or_b64 exec, exec, s[60:61]
	v_cmp_ne_u16_sdwa vcc, v11, v55 src0_sel:BYTE_0 src1_sel:DWORD
	s_and_saveexec_b64 s[60:61], vcc
	s_cbranch_execz .LBB6_937
; %bb.932:                              ;   in Loop: Header=BB6_124 Depth=2
	v_cmp_ne_u16_sdwa vcc, v11, s75 src0_sel:BYTE_0 src1_sel:DWORD
	v_bfrev_b32_e32 v4, 1
	s_and_saveexec_b64 s[62:63], vcc
	s_cbranch_execz .LBB6_936
; %bb.933:                              ;   in Loop: Header=BB6_124 Depth=2
	v_and_b32_e32 v5, 0x7f, v11
	v_cmp_ne_u32_e32 vcc, s76, v5
	v_mov_b32_e32 v4, 0x7f800001
	s_and_saveexec_b64 s[64:65], vcc
	s_cbranch_execz .LBB6_935
; %bb.934:                              ;   in Loop: Header=BB6_124 Depth=2
	v_and_b32_e32 v4, 7, v11
	v_ffbh_u32_e32 v4, v4
	v_min_u32_e32 v4, 32, v4
	v_lshrrev_b32_e32 v6, 3, v5
	v_subrev_u32_e32 v7, 28, v4
	v_sub_u32_e32 v4, 29, v4
	v_cmp_gt_u32_e32 vcc, 8, v5
	v_cndmask_b32_e32 v6, v6, v4, vcc
	v_cndmask_b32_e32 v4, 0, v7, vcc
	v_lshlrev_b64 v[4:5], v4, v[2:3]
	v_lshlrev_b32_e32 v4, 20, v4
	v_lshlrev_b32_e32 v5, 24, v2
	v_and_b32_e32 v4, 0x700000, v4
	v_and_b32_e32 v5, 0x80000000, v5
	v_lshl_add_u32 v6, v6, 23, v26
	v_or3_b32 v4, v5, v6, v4
.LBB6_935:                              ;   in Loop: Header=BB6_124 Depth=2
	s_or_b64 exec, exec, s[64:65]
.LBB6_936:                              ;   in Loop: Header=BB6_124 Depth=2
	s_or_b64 exec, exec, s[62:63]
.LBB6_937:                              ;   in Loop: Header=BB6_124 Depth=2
	s_or_b64 exec, exec, s[60:61]
	v_max_f32_e32 v4, v4, v4
	v_max_f32_e32 v0, v0, v0
	;; [unrolled: 1-line block ×3, first 2 shown]
	s_branch .LBB6_952
.LBB6_938:                              ;   in Loop: Header=BB6_124 Depth=2
                                        ; implicit-def: $vgpr4
	s_cbranch_execz .LBB6_952
; %bb.939:                              ;   in Loop: Header=BB6_124 Depth=2
	v_mov_b32_e32 v4, 0
	v_mov_b32_e32 v0, 0
	s_and_saveexec_b64 s[60:61], s[24:25]
	s_cbranch_execz .LBB6_945
; %bb.940:                              ;   in Loop: Header=BB6_124 Depth=2
	v_cmp_ne_u16_sdwa vcc, v15, s75 src0_sel:BYTE_0 src1_sel:DWORD
	v_bfrev_b32_e32 v0, 1
	s_and_saveexec_b64 s[24:25], vcc
	s_cbranch_execz .LBB6_944
; %bb.941:                              ;   in Loop: Header=BB6_124 Depth=2
	v_and_b32_e32 v5, 0x7f, v15
	v_cmp_ne_u32_e32 vcc, s76, v5
	v_mov_b32_e32 v0, 0x7f800001
	s_and_saveexec_b64 s[62:63], vcc
	s_cbranch_execz .LBB6_943
; %bb.942:                              ;   in Loop: Header=BB6_124 Depth=2
	v_and_b32_e32 v0, 7, v15
	v_ffbh_u32_e32 v0, v0
	v_min_u32_e32 v0, 32, v0
	v_subrev_u32_e32 v7, 28, v0
	v_cmp_gt_u32_e32 vcc, 8, v5
	v_lshrrev_b32_e32 v6, 3, v5
	v_sub_u32_e32 v0, 29, v0
	v_cndmask_b32_e32 v5, 0, v7, vcc
	v_cndmask_b32_e32 v0, v6, v0, vcc
	v_lshlrev_b64 v[6:7], v5, v[54:55]
	v_lshlrev_b32_e32 v5, 20, v6
	v_lshlrev_b32_e32 v6, 24, v54
	v_and_b32_e32 v5, 0x700000, v5
	v_and_b32_e32 v6, 0x80000000, v6
	v_lshl_add_u32 v0, v0, 23, v26
	v_or3_b32 v0, v6, v0, v5
.LBB6_943:                              ;   in Loop: Header=BB6_124 Depth=2
	s_or_b64 exec, exec, s[62:63]
.LBB6_944:                              ;   in Loop: Header=BB6_124 Depth=2
	s_or_b64 exec, exec, s[24:25]
.LBB6_945:                              ;   in Loop: Header=BB6_124 Depth=2
	s_or_b64 exec, exec, s[60:61]
	v_cmp_ne_u16_sdwa vcc, v11, v55 src0_sel:BYTE_0 src1_sel:DWORD
	s_and_saveexec_b64 s[24:25], vcc
	s_cbranch_execz .LBB6_951
; %bb.946:                              ;   in Loop: Header=BB6_124 Depth=2
	v_cmp_ne_u16_sdwa vcc, v11, s75 src0_sel:BYTE_0 src1_sel:DWORD
	v_bfrev_b32_e32 v4, 1
	s_and_saveexec_b64 s[60:61], vcc
	s_cbranch_execz .LBB6_950
; %bb.947:                              ;   in Loop: Header=BB6_124 Depth=2
	v_and_b32_e32 v5, 0x7f, v11
	v_cmp_ne_u32_e32 vcc, s76, v5
	v_mov_b32_e32 v4, 0x7f800001
	s_and_saveexec_b64 s[62:63], vcc
	s_cbranch_execz .LBB6_949
; %bb.948:                              ;   in Loop: Header=BB6_124 Depth=2
	v_and_b32_e32 v4, 7, v11
	v_ffbh_u32_e32 v4, v4
	v_min_u32_e32 v4, 32, v4
	v_lshrrev_b32_e32 v6, 3, v5
	v_subrev_u32_e32 v7, 28, v4
	v_sub_u32_e32 v4, 29, v4
	v_cmp_gt_u32_e32 vcc, 8, v5
	v_cndmask_b32_e32 v6, v6, v4, vcc
	v_cndmask_b32_e32 v4, 0, v7, vcc
	v_lshlrev_b64 v[4:5], v4, v[2:3]
	v_lshlrev_b32_e32 v3, 20, v4
	v_lshlrev_b32_e32 v4, 24, v2
	v_and_b32_e32 v3, 0x700000, v3
	v_and_b32_e32 v4, 0x80000000, v4
	v_lshl_add_u32 v5, v6, 23, v26
	v_or3_b32 v4, v4, v5, v3
.LBB6_949:                              ;   in Loop: Header=BB6_124 Depth=2
	s_or_b64 exec, exec, s[62:63]
.LBB6_950:                              ;   in Loop: Header=BB6_124 Depth=2
	s_or_b64 exec, exec, s[60:61]
.LBB6_951:                              ;   in Loop: Header=BB6_124 Depth=2
	s_or_b64 exec, exec, s[24:25]
	v_max_f32_e32 v3, v4, v4
	v_max_f32_e32 v0, v0, v0
	v_min_f32_e32 v4, v0, v3
.LBB6_952:                              ;   in Loop: Header=BB6_124 Depth=2
	v_and_b32_sdwa v3, v4, s75 dst_sel:DWORD dst_unused:UNUSED_PAD src0_sel:BYTE_3 src1_sel:DWORD
	v_and_b32_e32 v6, 0x7f800000, v4
	v_mov_b32_e32 v7, v55
	v_and_b32_e32 v18, 0x7fffff, v4
	v_mov_b32_e32 v19, v55
	v_or_b32_e32 v0, 0x7e, v3
	v_cmp_ne_u64_e32 vcc, s[44:45], v[6:7]
	s_and_saveexec_b64 s[24:25], vcc
	s_xor_b64 s[60:61], exec, s[24:25]
	s_cbranch_execz .LBB6_962
; %bb.953:                              ;   in Loop: Header=BB6_124 Depth=2
	v_and_b32_e32 v6, 0x7fffffff, v4
	v_mov_b32_e32 v7, v55
	v_cmp_gt_u64_e32 vcc, s[46:47], v[6:7]
	s_and_saveexec_b64 s[62:63], vcc
	s_cbranch_execz .LBB6_961
; %bb.954:                              ;   in Loop: Header=BB6_124 Depth=2
	v_cmp_ne_u32_e32 vcc, 0, v4
	v_mov_b32_e32 v0, 0
	s_and_saveexec_b64 s[64:65], vcc
	s_cbranch_execz .LBB6_960
; %bb.955:                              ;   in Loop: Header=BB6_124 Depth=2
	v_bfe_u32 v0, v4, 23, 8
	v_sub_u32_e32 v5, 0x79, v0
	v_cmp_gt_u32_e32 vcc, s78, v0
	v_cndmask_b32_e32 v5, 0, v5, vcc
	v_cmp_eq_u32_e32 vcc, 0, v0
	v_add_u32_e32 v4, 0xffffff81, v0
	v_cndmask_b32_e32 v20, v5, v32, vcc
	v_cndmask_b32_e32 v0, v4, v33, vcc
	v_add_u32_e32 v4, 20, v20
	v_or_b32_e32 v6, 0x800000, v18
	v_lshlrev_b64 v[4:5], v4, -1
	v_cndmask_b32_e32 v18, v6, v18, vcc
	v_not_b32_e32 v4, v4
	v_and_b32_e32 v6, v18, v4
	v_add_u32_e32 v4, 19, v20
	v_lshrrev_b64 v[18:19], v20, v[18:19]
	v_not_b32_e32 v5, v5
	v_lshlrev_b64 v[8:9], v4, 1
	v_lshrrev_b32_e32 v4, 23, v18
	v_and_b32_e32 v7, 0, v5
	v_add3_u32 v5, v20, v0, v4
	v_bfe_u32 v0, v18, 20, 1
	v_add_u32_e32 v0, -1, v0
	v_cmp_eq_u64_e32 vcc, v[6:7], v[8:9]
	v_cndmask_b32_e32 v0, 0, v0, vcc
	v_add_u32_e32 v0, v0, v18
	v_and_b32_e32 v0, 0xfffff, v0
	v_add_co_u32_e32 v18, vcc, v0, v18
	v_add_u32_e32 v4, 6, v5
	v_addc_co_u32_e32 v19, vcc, 0, v19, vcc
	v_cmp_ne_u32_e32 vcc, 0, v4
                                        ; implicit-def: $vgpr0
	s_and_saveexec_b64 s[24:25], vcc
	s_xor_b64 s[24:25], exec, s[24:25]
; %bb.956:                              ;   in Loop: Header=BB6_124 Depth=2
	v_add_u32_e32 v0, 7, v5
	v_cmp_lt_u64_e32 vcc, s[50:51], v[18:19]
	v_cndmask_b32_e32 v0, v4, v0, vcc
	v_cndmask_b32_e64 v4, 0, 1, vcc
	v_lshrrev_b64 v[18:19], v4, v[18:19]
; %bb.957:                              ;   in Loop: Header=BB6_124 Depth=2
	s_andn2_saveexec_b64 s[24:25], s[24:25]
; %bb.958:                              ;   in Loop: Header=BB6_124 Depth=2
	v_bfe_u32 v0, v18, 23, 1
; %bb.959:                              ;   in Loop: Header=BB6_124 Depth=2
	s_or_b64 exec, exec, s[24:25]
	v_lshrrev_b64 v[4:5], 20, v[18:19]
	v_cmp_gt_i32_e32 vcc, 16, v0
	v_cndmask_b32_e32 v5, 0, v5, vcc
	v_cndmask_b32_e32 v4, 7, v4, vcc
	v_cmp_eq_u32_e32 vcc, 0, v0
	v_min_i32_e32 v0, 15, v0
	v_cmp_eq_u64_e64 s[24:25], 0, v[4:5]
	v_lshlrev_b32_e32 v0, 3, v0
	v_and_or_b32 v0, v4, 7, v0
	s_and_b64 s[24:25], vcc, s[24:25]
	v_cndmask_b32_e64 v0, v0, 0, s[24:25]
	v_or_b32_e32 v0, v0, v3
.LBB6_960:                              ;   in Loop: Header=BB6_124 Depth=2
	s_or_b64 exec, exec, s[64:65]
.LBB6_961:                              ;   in Loop: Header=BB6_124 Depth=2
	s_or_b64 exec, exec, s[62:63]
                                        ; implicit-def: $vgpr4
                                        ; implicit-def: $vgpr18_vgpr19
.LBB6_962:                              ;   in Loop: Header=BB6_124 Depth=2
	s_andn2_saveexec_b64 s[24:25], s[60:61]
; %bb.963:                              ;   in Loop: Header=BB6_124 Depth=2
	v_or_b32_sdwa v3, v4, s76 dst_sel:DWORD dst_unused:UNUSED_PAD src0_sel:BYTE_3 src1_sel:DWORD
	v_cmp_eq_u64_e32 vcc, 0, v[18:19]
	v_cndmask_b32_e32 v0, v3, v0, vcc
; %bb.964:                              ;   in Loop: Header=BB6_124 Depth=2
	s_or_b64 exec, exec, s[24:25]
	v_lshrrev_b16_e32 v20, 8, v54
	v_lshrrev_b16_e32 v18, 8, v2
	s_and_b64 vcc, exec, s[22:23]
	v_cmp_ne_u16_e64 s[24:25], 0, v20
	s_cbranch_vccnz .LBB6_978
; %bb.965:                              ;   in Loop: Header=BB6_124 Depth=2
	v_mov_b32_e32 v4, 0
	v_mov_b32_e32 v3, 0
	s_and_saveexec_b64 s[60:61], s[24:25]
	s_cbranch_execz .LBB6_971
; %bb.966:                              ;   in Loop: Header=BB6_124 Depth=2
	v_cmp_ne_u16_e32 vcc, s75, v20
	v_bfrev_b32_e32 v3, 1
	s_and_saveexec_b64 s[62:63], vcc
	s_cbranch_execz .LBB6_970
; %bb.967:                              ;   in Loop: Header=BB6_124 Depth=2
	v_and_b32_e32 v5, 0x7f, v20
	v_cmp_ne_u32_e32 vcc, s76, v5
	v_mov_b32_e32 v3, 0x7f800001
	s_and_saveexec_b64 s[64:65], vcc
	s_cbranch_execz .LBB6_969
; %bb.968:                              ;   in Loop: Header=BB6_124 Depth=2
	v_and_b32_e32 v3, 7, v20
	v_ffbh_u32_e32 v6, v3
	v_min_u32_e32 v9, 32, v6
	v_subrev_u32_e32 v6, 28, v9
	v_lshlrev_b64 v[6:7], v6, v[20:21]
	v_lshrrev_b32_e32 v8, 3, v5
	v_sub_u32_e32 v7, 29, v9
	v_and_b32_e32 v6, 7, v6
	v_cmp_gt_u32_e32 vcc, 8, v5
	v_cndmask_b32_e32 v5, v8, v7, vcc
	v_cndmask_b32_e32 v3, v3, v6, vcc
	v_lshlrev_b32_e32 v6, 16, v54
	v_lshlrev_b32_e32 v3, 20, v3
	v_and_b32_e32 v6, 0x80000000, v6
	v_lshl_add_u32 v5, v5, 23, v26
	v_or3_b32 v3, v6, v5, v3
.LBB6_969:                              ;   in Loop: Header=BB6_124 Depth=2
	s_or_b64 exec, exec, s[64:65]
.LBB6_970:                              ;   in Loop: Header=BB6_124 Depth=2
	s_or_b64 exec, exec, s[62:63]
.LBB6_971:                              ;   in Loop: Header=BB6_124 Depth=2
	s_or_b64 exec, exec, s[60:61]
	v_cmp_ne_u16_e32 vcc, 0, v18
	s_and_saveexec_b64 s[60:61], vcc
	s_cbranch_execz .LBB6_977
; %bb.972:                              ;   in Loop: Header=BB6_124 Depth=2
	v_cmp_ne_u16_e32 vcc, s75, v18
	v_bfrev_b32_e32 v4, 1
	s_and_saveexec_b64 s[62:63], vcc
	s_cbranch_execz .LBB6_976
; %bb.973:                              ;   in Loop: Header=BB6_124 Depth=2
	v_and_b32_e32 v5, 0x7f, v18
	v_cmp_ne_u32_e32 vcc, s76, v5
	v_mov_b32_e32 v4, 0x7f800001
	s_and_saveexec_b64 s[64:65], vcc
	s_cbranch_execz .LBB6_975
; %bb.974:                              ;   in Loop: Header=BB6_124 Depth=2
	v_and_b32_e32 v4, 7, v18
	v_ffbh_u32_e32 v6, v4
	v_min_u32_e32 v9, 32, v6
	v_subrev_u32_e32 v6, 28, v9
	v_lshlrev_b64 v[6:7], v6, v[18:19]
	v_lshrrev_b32_e32 v8, 3, v5
	v_sub_u32_e32 v7, 29, v9
	v_and_b32_e32 v6, 7, v6
	v_cmp_gt_u32_e32 vcc, 8, v5
	v_cndmask_b32_e32 v5, v8, v7, vcc
	v_cndmask_b32_e32 v4, v4, v6, vcc
	v_lshlrev_b32_e32 v6, 16, v2
	v_lshlrev_b32_e32 v4, 20, v4
	v_and_b32_e32 v6, 0x80000000, v6
	v_lshl_add_u32 v5, v5, 23, v26
	v_or3_b32 v4, v6, v5, v4
.LBB6_975:                              ;   in Loop: Header=BB6_124 Depth=2
	s_or_b64 exec, exec, s[64:65]
.LBB6_976:                              ;   in Loop: Header=BB6_124 Depth=2
	s_or_b64 exec, exec, s[62:63]
.LBB6_977:                              ;   in Loop: Header=BB6_124 Depth=2
	s_or_b64 exec, exec, s[60:61]
	v_max_f32_e32 v4, v4, v4
	v_max_f32_e32 v3, v3, v3
	;; [unrolled: 1-line block ×3, first 2 shown]
	s_branch .LBB6_992
.LBB6_978:                              ;   in Loop: Header=BB6_124 Depth=2
                                        ; implicit-def: $vgpr3
	s_cbranch_execz .LBB6_992
; %bb.979:                              ;   in Loop: Header=BB6_124 Depth=2
	v_mov_b32_e32 v4, 0
	v_mov_b32_e32 v3, 0
	s_and_saveexec_b64 s[60:61], s[24:25]
	s_cbranch_execz .LBB6_985
; %bb.980:                              ;   in Loop: Header=BB6_124 Depth=2
	v_cmp_ne_u16_e32 vcc, s75, v20
	v_bfrev_b32_e32 v3, 1
	s_and_saveexec_b64 s[24:25], vcc
	s_cbranch_execz .LBB6_984
; %bb.981:                              ;   in Loop: Header=BB6_124 Depth=2
	v_and_b32_e32 v5, 0x7f, v20
	v_cmp_ne_u32_e32 vcc, s76, v5
	v_mov_b32_e32 v3, 0x7f800001
	s_and_saveexec_b64 s[62:63], vcc
	s_cbranch_execz .LBB6_983
; %bb.982:                              ;   in Loop: Header=BB6_124 Depth=2
	v_and_b32_e32 v3, 7, v20
	v_ffbh_u32_e32 v6, v3
	v_min_u32_e32 v9, 32, v6
	v_subrev_u32_e32 v6, 28, v9
	v_lshlrev_b64 v[6:7], v6, v[20:21]
	v_lshrrev_b32_e32 v8, 3, v5
	v_sub_u32_e32 v7, 29, v9
	v_and_b32_e32 v6, 7, v6
	v_cmp_gt_u32_e32 vcc, 8, v5
	v_cndmask_b32_e32 v5, v8, v7, vcc
	v_cndmask_b32_e32 v3, v3, v6, vcc
	v_lshlrev_b32_e32 v6, 16, v54
	v_lshlrev_b32_e32 v3, 20, v3
	v_and_b32_e32 v6, 0x80000000, v6
	v_lshl_add_u32 v5, v5, 23, v26
	v_or3_b32 v3, v6, v5, v3
.LBB6_983:                              ;   in Loop: Header=BB6_124 Depth=2
	s_or_b64 exec, exec, s[62:63]
.LBB6_984:                              ;   in Loop: Header=BB6_124 Depth=2
	s_or_b64 exec, exec, s[24:25]
.LBB6_985:                              ;   in Loop: Header=BB6_124 Depth=2
	s_or_b64 exec, exec, s[60:61]
	v_cmp_ne_u16_e32 vcc, 0, v18
	s_and_saveexec_b64 s[24:25], vcc
	s_cbranch_execz .LBB6_991
; %bb.986:                              ;   in Loop: Header=BB6_124 Depth=2
	v_cmp_ne_u16_e32 vcc, s75, v18
	v_bfrev_b32_e32 v4, 1
	s_and_saveexec_b64 s[60:61], vcc
	s_cbranch_execz .LBB6_990
; %bb.987:                              ;   in Loop: Header=BB6_124 Depth=2
	v_and_b32_e32 v5, 0x7f, v18
	v_cmp_ne_u32_e32 vcc, s76, v5
	v_mov_b32_e32 v4, 0x7f800001
	s_and_saveexec_b64 s[62:63], vcc
	s_cbranch_execz .LBB6_989
; %bb.988:                              ;   in Loop: Header=BB6_124 Depth=2
	v_and_b32_e32 v4, 7, v18
	v_ffbh_u32_e32 v6, v4
	v_min_u32_e32 v9, 32, v6
	v_subrev_u32_e32 v6, 28, v9
	v_lshlrev_b64 v[6:7], v6, v[18:19]
	v_lshrrev_b32_e32 v8, 3, v5
	v_sub_u32_e32 v7, 29, v9
	v_and_b32_e32 v6, 7, v6
	v_cmp_gt_u32_e32 vcc, 8, v5
	v_cndmask_b32_e32 v5, v8, v7, vcc
	v_cndmask_b32_e32 v4, v4, v6, vcc
	v_lshlrev_b32_e32 v2, 16, v2
	v_lshlrev_b32_e32 v4, 20, v4
	v_and_b32_e32 v2, 0x80000000, v2
	v_lshl_add_u32 v5, v5, 23, v26
	v_or3_b32 v4, v2, v5, v4
.LBB6_989:                              ;   in Loop: Header=BB6_124 Depth=2
	s_or_b64 exec, exec, s[62:63]
.LBB6_990:                              ;   in Loop: Header=BB6_124 Depth=2
	s_or_b64 exec, exec, s[60:61]
.LBB6_991:                              ;   in Loop: Header=BB6_124 Depth=2
	s_or_b64 exec, exec, s[24:25]
	v_max_f32_e32 v2, v4, v4
	v_max_f32_e32 v3, v3, v3
	v_min_f32_e32 v3, v3, v2
.LBB6_992:                              ;   in Loop: Header=BB6_124 Depth=2
	v_and_b32_sdwa v4, v3, s75 dst_sel:DWORD dst_unused:UNUSED_PAD src0_sel:BYTE_3 src1_sel:DWORD
	v_and_b32_e32 v6, 0x7f800000, v3
	v_mov_b32_e32 v7, v55
	v_and_b32_e32 v54, 0x7fffff, v3
	v_or_b32_e32 v19, 0x7e, v4
	v_cmp_ne_u64_e32 vcc, s[44:45], v[6:7]
	s_and_saveexec_b64 s[24:25], vcc
	s_xor_b64 s[60:61], exec, s[24:25]
	s_cbranch_execz .LBB6_1002
; %bb.993:                              ;   in Loop: Header=BB6_124 Depth=2
	v_and_b32_e32 v6, 0x7fffffff, v3
	v_mov_b32_e32 v7, v55
	v_cmp_gt_u64_e32 vcc, s[46:47], v[6:7]
	s_and_saveexec_b64 s[62:63], vcc
	s_cbranch_execz .LBB6_1001
; %bb.994:                              ;   in Loop: Header=BB6_124 Depth=2
	v_cmp_ne_u32_e32 vcc, 0, v3
	v_mov_b32_e32 v19, 0
	s_and_saveexec_b64 s[64:65], vcc
	s_cbranch_execz .LBB6_1000
; %bb.995:                              ;   in Loop: Header=BB6_124 Depth=2
	v_bfe_u32 v2, v3, 23, 8
	v_sub_u32_e32 v5, 0x79, v2
	v_cmp_gt_u32_e32 vcc, s78, v2
	v_cndmask_b32_e32 v5, 0, v5, vcc
	v_cmp_eq_u32_e32 vcc, 0, v2
	v_or_b32_e32 v6, 0x800000, v54
	v_cndmask_b32_e32 v5, v5, v32, vcc
	v_add_u32_e32 v3, 0xffffff81, v2
	v_cndmask_b32_e32 v54, v6, v54, vcc
	v_add_u32_e32 v2, 20, v5
	v_cndmask_b32_e32 v18, v3, v33, vcc
	v_lshlrev_b64 v[2:3], v2, -1
	v_lshrrev_b64 v[8:9], v5, v[54:55]
	v_not_b32_e32 v3, v3
	v_not_b32_e32 v2, v2
	v_add_u32_e32 v6, 19, v5
	v_lshrrev_b32_e32 v19, 23, v8
	v_and_b32_e32 v3, 0, v3
	v_and_b32_e32 v2, v54, v2
	v_lshlrev_b64 v[6:7], v6, 1
	v_add3_u32 v19, v5, v18, v19
	v_bfe_u32 v5, v8, 20, 1
	v_add_u32_e32 v5, -1, v5
	v_cmp_eq_u64_e32 vcc, v[2:3], v[6:7]
	v_cndmask_b32_e32 v2, 0, v5, vcc
	v_add_u32_e32 v2, v2, v8
	v_and_b32_e32 v2, 0xfffff, v2
	v_add_co_u32_e32 v2, vcc, v2, v8
	v_add_u32_e32 v18, 6, v19
	v_addc_co_u32_e32 v3, vcc, 0, v9, vcc
	v_cmp_ne_u32_e32 vcc, 0, v18
                                        ; implicit-def: $vgpr5
	s_and_saveexec_b64 s[24:25], vcc
	s_xor_b64 s[24:25], exec, s[24:25]
; %bb.996:                              ;   in Loop: Header=BB6_124 Depth=2
	v_cmp_lt_u64_e32 vcc, s[50:51], v[2:3]
	v_add_u32_e32 v5, 7, v19
	v_cndmask_b32_e64 v6, 0, 1, vcc
	v_cndmask_b32_e32 v5, v18, v5, vcc
	v_lshrrev_b64 v[2:3], v6, v[2:3]
; %bb.997:                              ;   in Loop: Header=BB6_124 Depth=2
	s_andn2_saveexec_b64 s[24:25], s[24:25]
; %bb.998:                              ;   in Loop: Header=BB6_124 Depth=2
	v_bfe_u32 v5, v2, 23, 1
; %bb.999:                              ;   in Loop: Header=BB6_124 Depth=2
	s_or_b64 exec, exec, s[24:25]
	v_lshrrev_b64 v[2:3], 20, v[2:3]
	v_cmp_gt_i32_e32 vcc, 16, v5
	v_cndmask_b32_e32 v3, 0, v3, vcc
	v_cndmask_b32_e32 v2, 7, v2, vcc
	v_cmp_eq_u64_e64 s[24:25], 0, v[2:3]
	v_min_i32_e32 v3, 15, v5
	v_cmp_eq_u32_e32 vcc, 0, v5
	v_lshlrev_b32_e32 v3, 3, v3
	v_and_or_b32 v2, v2, 7, v3
	s_and_b64 s[24:25], vcc, s[24:25]
	v_cndmask_b32_e64 v2, v2, 0, s[24:25]
	v_or_b32_e32 v19, v2, v4
.LBB6_1000:                             ;   in Loop: Header=BB6_124 Depth=2
	s_or_b64 exec, exec, s[64:65]
.LBB6_1001:                             ;   in Loop: Header=BB6_124 Depth=2
	s_or_b64 exec, exec, s[62:63]
                                        ; implicit-def: $vgpr3
.LBB6_1002:                             ;   in Loop: Header=BB6_124 Depth=2
	s_andn2_saveexec_b64 s[24:25], s[60:61]
; %bb.1003:                             ;   in Loop: Header=BB6_124 Depth=2
	v_or_b32_sdwa v2, v3, s76 dst_sel:DWORD dst_unused:UNUSED_PAD src0_sel:BYTE_3 src1_sel:DWORD
	v_cmp_eq_u64_e32 vcc, 0, v[54:55]
	v_cndmask_b32_e32 v19, v2, v19, vcc
; %bb.1004:                             ;   in Loop: Header=BB6_124 Depth=2
	s_or_b64 exec, exec, s[24:25]
	v_lshrrev_b32_e32 v18, 16, v15
	v_lshrrev_b32_e32 v2, 16, v11
	s_and_b64 vcc, exec, s[22:23]
	v_cmp_ne_u16_sdwa s[24:25], v18, v55 src0_sel:BYTE_0 src1_sel:DWORD
	s_cbranch_vccnz .LBB6_1018
; %bb.1005:                             ;   in Loop: Header=BB6_124 Depth=2
	v_mov_b32_e32 v4, 0
	v_mov_b32_e32 v3, 0
	s_and_saveexec_b64 s[60:61], s[24:25]
	s_cbranch_execz .LBB6_1011
; %bb.1006:                             ;   in Loop: Header=BB6_124 Depth=2
	v_cmp_ne_u16_sdwa vcc, v18, s75 src0_sel:BYTE_0 src1_sel:DWORD
	v_bfrev_b32_e32 v3, 1
	s_and_saveexec_b64 s[62:63], vcc
	s_cbranch_execz .LBB6_1010
; %bb.1007:                             ;   in Loop: Header=BB6_124 Depth=2
	v_bfe_u32 v5, v15, 16, 7
	v_cmp_ne_u32_e32 vcc, s76, v5
	v_mov_b32_e32 v3, 0x7f800001
	s_and_saveexec_b64 s[64:65], vcc
	s_cbranch_execz .LBB6_1009
; %bb.1008:                             ;   in Loop: Header=BB6_124 Depth=2
	v_and_b32_e32 v3, 7, v18
	v_ffbh_u32_e32 v6, v3
	v_min_u32_e32 v9, 32, v6
	v_subrev_u32_e32 v6, 28, v9
	v_lshlrev_b64 v[6:7], v6, v[18:19]
	v_lshrrev_b32_e32 v8, 3, v5
	v_sub_u32_e32 v7, 29, v9
	v_and_b32_e32 v6, 7, v6
	v_cmp_gt_u32_e32 vcc, 8, v5
	v_cndmask_b32_e32 v5, v8, v7, vcc
	v_cndmask_b32_e32 v3, v3, v6, vcc
	v_lshlrev_b32_e32 v6, 24, v18
	v_lshlrev_b32_e32 v3, 20, v3
	v_and_b32_e32 v6, 0x80000000, v6
	v_lshl_add_u32 v5, v5, 23, v26
	v_or3_b32 v3, v6, v5, v3
.LBB6_1009:                             ;   in Loop: Header=BB6_124 Depth=2
	s_or_b64 exec, exec, s[64:65]
.LBB6_1010:                             ;   in Loop: Header=BB6_124 Depth=2
	s_or_b64 exec, exec, s[62:63]
.LBB6_1011:                             ;   in Loop: Header=BB6_124 Depth=2
	s_or_b64 exec, exec, s[60:61]
	v_cmp_ne_u16_sdwa vcc, v2, v55 src0_sel:BYTE_0 src1_sel:DWORD
	s_and_saveexec_b64 s[60:61], vcc
	s_cbranch_execz .LBB6_1017
; %bb.1012:                             ;   in Loop: Header=BB6_124 Depth=2
	v_cmp_ne_u16_sdwa vcc, v2, s75 src0_sel:BYTE_0 src1_sel:DWORD
	v_bfrev_b32_e32 v4, 1
	s_and_saveexec_b64 s[62:63], vcc
	s_cbranch_execz .LBB6_1016
; %bb.1013:                             ;   in Loop: Header=BB6_124 Depth=2
	v_bfe_u32 v5, v11, 16, 7
	v_cmp_ne_u32_e32 vcc, s76, v5
	v_mov_b32_e32 v4, 0x7f800001
	s_and_saveexec_b64 s[64:65], vcc
	s_cbranch_execz .LBB6_1015
; %bb.1014:                             ;   in Loop: Header=BB6_124 Depth=2
	v_and_b32_e32 v4, 7, v2
	v_ffbh_u32_e32 v6, v4
	v_min_u32_e32 v9, 32, v6
	v_subrev_u32_e32 v6, 28, v9
	v_lshlrev_b64 v[6:7], v6, v[2:3]
	v_lshrrev_b32_e32 v8, 3, v5
	v_sub_u32_e32 v7, 29, v9
	v_and_b32_e32 v6, 7, v6
	v_cmp_gt_u32_e32 vcc, 8, v5
	v_cndmask_b32_e32 v5, v8, v7, vcc
	v_cndmask_b32_e32 v4, v4, v6, vcc
	v_lshlrev_b32_e32 v6, 24, v2
	v_lshlrev_b32_e32 v4, 20, v4
	v_and_b32_e32 v6, 0x80000000, v6
	v_lshl_add_u32 v5, v5, 23, v26
	v_or3_b32 v4, v6, v5, v4
.LBB6_1015:                             ;   in Loop: Header=BB6_124 Depth=2
	s_or_b64 exec, exec, s[64:65]
.LBB6_1016:                             ;   in Loop: Header=BB6_124 Depth=2
	s_or_b64 exec, exec, s[62:63]
.LBB6_1017:                             ;   in Loop: Header=BB6_124 Depth=2
	s_or_b64 exec, exec, s[60:61]
	v_max_f32_e32 v4, v4, v4
	v_max_f32_e32 v3, v3, v3
	;; [unrolled: 1-line block ×3, first 2 shown]
	s_branch .LBB6_1032
.LBB6_1018:                             ;   in Loop: Header=BB6_124 Depth=2
                                        ; implicit-def: $vgpr3
	s_cbranch_execz .LBB6_1032
; %bb.1019:                             ;   in Loop: Header=BB6_124 Depth=2
	v_mov_b32_e32 v4, 0
	v_mov_b32_e32 v3, 0
	s_and_saveexec_b64 s[60:61], s[24:25]
	s_cbranch_execz .LBB6_1025
; %bb.1020:                             ;   in Loop: Header=BB6_124 Depth=2
	v_cmp_ne_u16_sdwa vcc, v18, s75 src0_sel:BYTE_0 src1_sel:DWORD
	v_bfrev_b32_e32 v3, 1
	s_and_saveexec_b64 s[24:25], vcc
	s_cbranch_execz .LBB6_1024
; %bb.1021:                             ;   in Loop: Header=BB6_124 Depth=2
	v_bfe_u32 v5, v15, 16, 7
	v_cmp_ne_u32_e32 vcc, s76, v5
	v_mov_b32_e32 v3, 0x7f800001
	s_and_saveexec_b64 s[62:63], vcc
	s_cbranch_execz .LBB6_1023
; %bb.1022:                             ;   in Loop: Header=BB6_124 Depth=2
	v_and_b32_e32 v3, 7, v18
	v_ffbh_u32_e32 v6, v3
	v_min_u32_e32 v9, 32, v6
	v_subrev_u32_e32 v6, 28, v9
	v_lshlrev_b64 v[6:7], v6, v[18:19]
	v_lshrrev_b32_e32 v8, 3, v5
	v_sub_u32_e32 v7, 29, v9
	v_and_b32_e32 v6, 7, v6
	v_cmp_gt_u32_e32 vcc, 8, v5
	v_cndmask_b32_e32 v5, v8, v7, vcc
	v_cndmask_b32_e32 v3, v3, v6, vcc
	v_lshlrev_b32_e32 v6, 24, v18
	v_lshlrev_b32_e32 v3, 20, v3
	v_and_b32_e32 v6, 0x80000000, v6
	v_lshl_add_u32 v5, v5, 23, v26
	v_or3_b32 v3, v6, v5, v3
.LBB6_1023:                             ;   in Loop: Header=BB6_124 Depth=2
	s_or_b64 exec, exec, s[62:63]
.LBB6_1024:                             ;   in Loop: Header=BB6_124 Depth=2
	s_or_b64 exec, exec, s[24:25]
.LBB6_1025:                             ;   in Loop: Header=BB6_124 Depth=2
	s_or_b64 exec, exec, s[60:61]
	v_cmp_ne_u16_sdwa vcc, v2, v55 src0_sel:BYTE_0 src1_sel:DWORD
	s_and_saveexec_b64 s[24:25], vcc
	s_cbranch_execz .LBB6_1031
; %bb.1026:                             ;   in Loop: Header=BB6_124 Depth=2
	v_cmp_ne_u16_sdwa vcc, v2, s75 src0_sel:BYTE_0 src1_sel:DWORD
	v_bfrev_b32_e32 v4, 1
	s_and_saveexec_b64 s[60:61], vcc
	s_cbranch_execz .LBB6_1030
; %bb.1027:                             ;   in Loop: Header=BB6_124 Depth=2
	v_bfe_u32 v5, v11, 16, 7
	v_cmp_ne_u32_e32 vcc, s76, v5
	v_mov_b32_e32 v4, 0x7f800001
	s_and_saveexec_b64 s[62:63], vcc
	s_cbranch_execz .LBB6_1029
; %bb.1028:                             ;   in Loop: Header=BB6_124 Depth=2
	v_and_b32_e32 v4, 7, v2
	v_ffbh_u32_e32 v6, v4
	v_min_u32_e32 v9, 32, v6
	v_subrev_u32_e32 v6, 28, v9
	v_lshlrev_b64 v[6:7], v6, v[2:3]
	v_lshrrev_b32_e32 v8, 3, v5
	v_sub_u32_e32 v7, 29, v9
	v_and_b32_e32 v6, 7, v6
	v_cmp_gt_u32_e32 vcc, 8, v5
	v_cndmask_b32_e32 v5, v8, v7, vcc
	v_cndmask_b32_e32 v4, v4, v6, vcc
	v_lshlrev_b32_e32 v2, 24, v2
	v_lshlrev_b32_e32 v4, 20, v4
	v_and_b32_e32 v2, 0x80000000, v2
	v_lshl_add_u32 v5, v5, 23, v26
	v_or3_b32 v4, v2, v5, v4
.LBB6_1029:                             ;   in Loop: Header=BB6_124 Depth=2
	s_or_b64 exec, exec, s[62:63]
.LBB6_1030:                             ;   in Loop: Header=BB6_124 Depth=2
	s_or_b64 exec, exec, s[60:61]
.LBB6_1031:                             ;   in Loop: Header=BB6_124 Depth=2
	s_or_b64 exec, exec, s[24:25]
	v_max_f32_e32 v2, v4, v4
	v_max_f32_e32 v3, v3, v3
	v_min_f32_e32 v3, v3, v2
.LBB6_1032:                             ;   in Loop: Header=BB6_124 Depth=2
	v_and_b32_sdwa v4, v3, s75 dst_sel:DWORD dst_unused:UNUSED_PAD src0_sel:BYTE_3 src1_sel:DWORD
	v_and_b32_e32 v6, 0x7f800000, v3
	v_mov_b32_e32 v7, v55
	v_and_b32_e32 v54, 0x7fffff, v3
	v_or_b32_e32 v20, 0x7e, v4
	v_cmp_ne_u64_e32 vcc, s[44:45], v[6:7]
	s_and_saveexec_b64 s[24:25], vcc
	s_xor_b64 s[60:61], exec, s[24:25]
	s_cbranch_execz .LBB6_1042
; %bb.1033:                             ;   in Loop: Header=BB6_124 Depth=2
	v_and_b32_e32 v6, 0x7fffffff, v3
	v_mov_b32_e32 v7, v55
	v_cmp_gt_u64_e32 vcc, s[46:47], v[6:7]
	s_and_saveexec_b64 s[62:63], vcc
	s_cbranch_execz .LBB6_1041
; %bb.1034:                             ;   in Loop: Header=BB6_124 Depth=2
	v_cmp_ne_u32_e32 vcc, 0, v3
	v_mov_b32_e32 v20, 0
	s_and_saveexec_b64 s[64:65], vcc
	s_cbranch_execz .LBB6_1040
; %bb.1035:                             ;   in Loop: Header=BB6_124 Depth=2
	v_bfe_u32 v2, v3, 23, 8
	v_sub_u32_e32 v5, 0x79, v2
	v_cmp_gt_u32_e32 vcc, s78, v2
	v_cndmask_b32_e32 v5, 0, v5, vcc
	v_cmp_eq_u32_e32 vcc, 0, v2
	v_or_b32_e32 v6, 0x800000, v54
	v_cndmask_b32_e32 v5, v5, v32, vcc
	v_add_u32_e32 v3, 0xffffff81, v2
	v_cndmask_b32_e32 v54, v6, v54, vcc
	v_add_u32_e32 v2, 20, v5
	v_cndmask_b32_e32 v18, v3, v33, vcc
	v_lshlrev_b64 v[2:3], v2, -1
	v_lshrrev_b64 v[8:9], v5, v[54:55]
	v_not_b32_e32 v3, v3
	v_not_b32_e32 v2, v2
	v_add_u32_e32 v6, 19, v5
	v_lshrrev_b32_e32 v20, 23, v8
	v_and_b32_e32 v3, 0, v3
	v_and_b32_e32 v2, v54, v2
	v_lshlrev_b64 v[6:7], v6, 1
	v_add3_u32 v20, v5, v18, v20
	v_bfe_u32 v5, v8, 20, 1
	v_add_u32_e32 v5, -1, v5
	v_cmp_eq_u64_e32 vcc, v[2:3], v[6:7]
	v_cndmask_b32_e32 v2, 0, v5, vcc
	v_add_u32_e32 v2, v2, v8
	v_and_b32_e32 v2, 0xfffff, v2
	v_add_co_u32_e32 v2, vcc, v2, v8
	v_add_u32_e32 v18, 6, v20
	v_addc_co_u32_e32 v3, vcc, 0, v9, vcc
	v_cmp_ne_u32_e32 vcc, 0, v18
                                        ; implicit-def: $vgpr5
	s_and_saveexec_b64 s[24:25], vcc
	s_xor_b64 s[24:25], exec, s[24:25]
; %bb.1036:                             ;   in Loop: Header=BB6_124 Depth=2
	v_cmp_lt_u64_e32 vcc, s[50:51], v[2:3]
	v_add_u32_e32 v5, 7, v20
	v_cndmask_b32_e64 v6, 0, 1, vcc
	v_cndmask_b32_e32 v5, v18, v5, vcc
	v_lshrrev_b64 v[2:3], v6, v[2:3]
; %bb.1037:                             ;   in Loop: Header=BB6_124 Depth=2
	s_andn2_saveexec_b64 s[24:25], s[24:25]
; %bb.1038:                             ;   in Loop: Header=BB6_124 Depth=2
	v_bfe_u32 v5, v2, 23, 1
; %bb.1039:                             ;   in Loop: Header=BB6_124 Depth=2
	s_or_b64 exec, exec, s[24:25]
	v_lshrrev_b64 v[2:3], 20, v[2:3]
	v_cmp_gt_i32_e32 vcc, 16, v5
	v_cndmask_b32_e32 v3, 0, v3, vcc
	v_cndmask_b32_e32 v2, 7, v2, vcc
	v_cmp_eq_u64_e64 s[24:25], 0, v[2:3]
	v_min_i32_e32 v3, 15, v5
	v_lshlrev_b32_e32 v3, 3, v3
	v_cmp_eq_u32_e32 vcc, 0, v5
	v_and_b32_e32 v3, 0xf8, v3
	v_and_or_b32 v2, v2, 7, v3
	s_and_b64 s[24:25], vcc, s[24:25]
	v_cndmask_b32_e64 v2, v2, 0, s[24:25]
	v_or_b32_e32 v20, v2, v4
.LBB6_1040:                             ;   in Loop: Header=BB6_124 Depth=2
	s_or_b64 exec, exec, s[64:65]
.LBB6_1041:                             ;   in Loop: Header=BB6_124 Depth=2
	s_or_b64 exec, exec, s[62:63]
                                        ; implicit-def: $vgpr3
.LBB6_1042:                             ;   in Loop: Header=BB6_124 Depth=2
	s_andn2_saveexec_b64 s[24:25], s[60:61]
; %bb.1043:                             ;   in Loop: Header=BB6_124 Depth=2
	v_or_b32_sdwa v2, v3, s76 dst_sel:DWORD dst_unused:UNUSED_PAD src0_sel:BYTE_3 src1_sel:DWORD
	v_cmp_eq_u64_e32 vcc, 0, v[54:55]
	v_cndmask_b32_e32 v20, v2, v20, vcc
; %bb.1044:                             ;   in Loop: Header=BB6_124 Depth=2
	s_or_b64 exec, exec, s[24:25]
	v_lshrrev_b32_e32 v18, 24, v15
	v_lshrrev_b32_e32 v2, 24, v11
	s_and_b64 vcc, exec, s[22:23]
	v_cmp_lt_u64_e64 s[24:25], s[48:49], v[14:15]
	s_cbranch_vccnz .LBB6_1058
; %bb.1045:                             ;   in Loop: Header=BB6_124 Depth=2
	v_mov_b32_e32 v4, 0
	v_mov_b32_e32 v3, 0
	s_and_saveexec_b64 s[60:61], s[24:25]
	s_cbranch_execz .LBB6_1051
; %bb.1046:                             ;   in Loop: Header=BB6_124 Depth=2
	v_cmp_ne_u32_e32 vcc, s75, v18
	v_bfrev_b32_e32 v3, 1
	s_and_saveexec_b64 s[62:63], vcc
	s_cbranch_execz .LBB6_1050
; %bb.1047:                             ;   in Loop: Header=BB6_124 Depth=2
	v_bfe_u32 v5, v15, 24, 7
	v_cmp_ne_u32_e32 vcc, s76, v5
	v_mov_b32_e32 v3, 0x7f800001
	s_and_saveexec_b64 s[64:65], vcc
	s_cbranch_execz .LBB6_1049
; %bb.1048:                             ;   in Loop: Header=BB6_124 Depth=2
	v_and_b32_e32 v3, 7, v18
	v_ffbh_u32_e32 v6, v3
	v_min_u32_e32 v9, 32, v6
	v_subrev_u32_e32 v6, 28, v9
	v_lshlrev_b64 v[6:7], v6, v[18:19]
	v_lshrrev_b32_e32 v8, 3, v5
	v_sub_u32_e32 v7, 29, v9
	v_and_b32_e32 v6, 7, v6
	v_cmp_gt_u32_e32 vcc, 8, v5
	v_cndmask_b32_e32 v5, v8, v7, vcc
	v_cndmask_b32_e32 v3, v3, v6, vcc
	v_lshlrev_b32_e32 v6, 24, v18
	v_lshlrev_b32_e32 v3, 20, v3
	v_and_b32_e32 v6, 0x80000000, v6
	v_lshl_add_u32 v5, v5, 23, v26
	v_or3_b32 v3, v6, v5, v3
.LBB6_1049:                             ;   in Loop: Header=BB6_124 Depth=2
	s_or_b64 exec, exec, s[64:65]
.LBB6_1050:                             ;   in Loop: Header=BB6_124 Depth=2
	s_or_b64 exec, exec, s[62:63]
.LBB6_1051:                             ;   in Loop: Header=BB6_124 Depth=2
	s_or_b64 exec, exec, s[60:61]
	v_cmp_lt_u64_e32 vcc, s[48:49], v[10:11]
	s_and_saveexec_b64 s[60:61], vcc
	s_cbranch_execz .LBB6_1057
; %bb.1052:                             ;   in Loop: Header=BB6_124 Depth=2
	v_cmp_ne_u32_e32 vcc, s75, v2
	v_bfrev_b32_e32 v4, 1
	s_and_saveexec_b64 s[62:63], vcc
	s_cbranch_execz .LBB6_1056
; %bb.1053:                             ;   in Loop: Header=BB6_124 Depth=2
	v_bfe_u32 v5, v11, 24, 7
	v_cmp_ne_u32_e32 vcc, s76, v5
	v_mov_b32_e32 v4, 0x7f800001
	s_and_saveexec_b64 s[64:65], vcc
	s_cbranch_execz .LBB6_1055
; %bb.1054:                             ;   in Loop: Header=BB6_124 Depth=2
	v_and_b32_e32 v4, 7, v2
	v_ffbh_u32_e32 v6, v4
	v_min_u32_e32 v9, 32, v6
	v_subrev_u32_e32 v6, 28, v9
	v_lshlrev_b64 v[6:7], v6, v[2:3]
	v_lshrrev_b32_e32 v8, 3, v5
	v_sub_u32_e32 v7, 29, v9
	v_and_b32_e32 v6, 7, v6
	v_cmp_gt_u32_e32 vcc, 8, v5
	v_cndmask_b32_e32 v5, v8, v7, vcc
	v_cndmask_b32_e32 v4, v4, v6, vcc
	v_lshlrev_b32_e32 v6, 24, v2
	v_lshlrev_b32_e32 v4, 20, v4
	v_and_b32_e32 v6, 0x80000000, v6
	v_lshl_add_u32 v5, v5, 23, v26
	v_or3_b32 v4, v6, v5, v4
.LBB6_1055:                             ;   in Loop: Header=BB6_124 Depth=2
	s_or_b64 exec, exec, s[64:65]
.LBB6_1056:                             ;   in Loop: Header=BB6_124 Depth=2
	s_or_b64 exec, exec, s[62:63]
.LBB6_1057:                             ;   in Loop: Header=BB6_124 Depth=2
	s_or_b64 exec, exec, s[60:61]
	v_max_f32_e32 v4, v4, v4
	v_max_f32_e32 v3, v3, v3
	;; [unrolled: 1-line block ×3, first 2 shown]
	s_branch .LBB6_1072
.LBB6_1058:                             ;   in Loop: Header=BB6_124 Depth=2
                                        ; implicit-def: $vgpr3
	s_cbranch_execz .LBB6_1072
; %bb.1059:                             ;   in Loop: Header=BB6_124 Depth=2
	v_mov_b32_e32 v4, 0
	v_mov_b32_e32 v3, 0
	s_and_saveexec_b64 s[60:61], s[24:25]
	s_cbranch_execz .LBB6_1065
; %bb.1060:                             ;   in Loop: Header=BB6_124 Depth=2
	v_cmp_ne_u32_e32 vcc, s75, v18
	v_bfrev_b32_e32 v3, 1
	s_and_saveexec_b64 s[24:25], vcc
	s_cbranch_execz .LBB6_1064
; %bb.1061:                             ;   in Loop: Header=BB6_124 Depth=2
	v_bfe_u32 v5, v15, 24, 7
	v_cmp_ne_u32_e32 vcc, s76, v5
	v_mov_b32_e32 v3, 0x7f800001
	s_and_saveexec_b64 s[62:63], vcc
	s_cbranch_execz .LBB6_1063
; %bb.1062:                             ;   in Loop: Header=BB6_124 Depth=2
	v_and_b32_e32 v3, 7, v18
	v_ffbh_u32_e32 v6, v3
	v_min_u32_e32 v9, 32, v6
	v_subrev_u32_e32 v6, 28, v9
	v_lshlrev_b64 v[6:7], v6, v[18:19]
	v_lshrrev_b32_e32 v8, 3, v5
	v_sub_u32_e32 v7, 29, v9
	v_and_b32_e32 v6, 7, v6
	v_cmp_gt_u32_e32 vcc, 8, v5
	v_cndmask_b32_e32 v5, v8, v7, vcc
	v_cndmask_b32_e32 v3, v3, v6, vcc
	v_lshlrev_b32_e32 v6, 24, v18
	v_lshlrev_b32_e32 v3, 20, v3
	v_and_b32_e32 v6, 0x80000000, v6
	v_lshl_add_u32 v5, v5, 23, v26
	v_or3_b32 v3, v6, v5, v3
.LBB6_1063:                             ;   in Loop: Header=BB6_124 Depth=2
	s_or_b64 exec, exec, s[62:63]
.LBB6_1064:                             ;   in Loop: Header=BB6_124 Depth=2
	s_or_b64 exec, exec, s[24:25]
.LBB6_1065:                             ;   in Loop: Header=BB6_124 Depth=2
	s_or_b64 exec, exec, s[60:61]
	v_cmp_lt_u64_e32 vcc, s[48:49], v[10:11]
	s_and_saveexec_b64 s[24:25], vcc
	s_cbranch_execz .LBB6_1071
; %bb.1066:                             ;   in Loop: Header=BB6_124 Depth=2
	v_cmp_ne_u32_e32 vcc, s75, v2
	v_bfrev_b32_e32 v4, 1
	s_and_saveexec_b64 s[60:61], vcc
	s_cbranch_execz .LBB6_1070
; %bb.1067:                             ;   in Loop: Header=BB6_124 Depth=2
	v_bfe_u32 v5, v11, 24, 7
	v_cmp_ne_u32_e32 vcc, s76, v5
	v_mov_b32_e32 v4, 0x7f800001
	s_and_saveexec_b64 s[62:63], vcc
	s_cbranch_execz .LBB6_1069
; %bb.1068:                             ;   in Loop: Header=BB6_124 Depth=2
	v_and_b32_e32 v4, 7, v2
	v_ffbh_u32_e32 v6, v4
	v_min_u32_e32 v9, 32, v6
	v_subrev_u32_e32 v6, 28, v9
	v_lshlrev_b64 v[6:7], v6, v[2:3]
	v_lshrrev_b32_e32 v8, 3, v5
	v_sub_u32_e32 v7, 29, v9
	v_and_b32_e32 v6, 7, v6
	v_cmp_gt_u32_e32 vcc, 8, v5
	v_cndmask_b32_e32 v5, v8, v7, vcc
	v_cndmask_b32_e32 v4, v4, v6, vcc
	v_lshlrev_b32_e32 v2, 24, v2
	v_lshlrev_b32_e32 v4, 20, v4
	v_and_b32_e32 v2, 0x80000000, v2
	v_lshl_add_u32 v5, v5, 23, v26
	v_or3_b32 v4, v2, v5, v4
.LBB6_1069:                             ;   in Loop: Header=BB6_124 Depth=2
	s_or_b64 exec, exec, s[62:63]
.LBB6_1070:                             ;   in Loop: Header=BB6_124 Depth=2
	s_or_b64 exec, exec, s[60:61]
.LBB6_1071:                             ;   in Loop: Header=BB6_124 Depth=2
	s_or_b64 exec, exec, s[24:25]
	v_max_f32_e32 v2, v4, v4
	v_max_f32_e32 v3, v3, v3
	v_min_f32_e32 v3, v3, v2
.LBB6_1072:                             ;   in Loop: Header=BB6_124 Depth=2
	v_and_b32_sdwa v4, v3, s75 dst_sel:DWORD dst_unused:UNUSED_PAD src0_sel:BYTE_3 src1_sel:DWORD
	v_and_b32_e32 v6, 0x7f800000, v3
	v_mov_b32_e32 v7, v55
	v_and_b32_e32 v54, 0x7fffff, v3
	v_or_b32_e32 v15, 0x7e, v4
	v_cmp_ne_u64_e32 vcc, s[44:45], v[6:7]
	s_and_saveexec_b64 s[24:25], vcc
	s_xor_b64 s[60:61], exec, s[24:25]
	s_cbranch_execnz .LBB6_1088
; %bb.1073:                             ;   in Loop: Header=BB6_124 Depth=2
	s_andn2_saveexec_b64 s[24:25], s[60:61]
	s_cbranch_execnz .LBB6_1097
.LBB6_1074:                             ;   in Loop: Header=BB6_124 Depth=2
	s_or_b64 exec, exec, s[24:25]
	s_and_b64 vcc, exec, s[22:23]
	v_cmp_ne_u16_sdwa s[24:25], v16, v55 src0_sel:BYTE_0 src1_sel:DWORD
	s_cbranch_vccnz .LBB6_1098
.LBB6_1075:                             ;   in Loop: Header=BB6_124 Depth=2
	v_mov_b32_e32 v3, 0
	v_mov_b32_e32 v2, 0
	s_and_saveexec_b64 s[60:61], s[24:25]
	s_cbranch_execz .LBB6_1081
; %bb.1076:                             ;   in Loop: Header=BB6_124 Depth=2
	v_cmp_ne_u16_sdwa vcc, v16, s75 src0_sel:BYTE_0 src1_sel:DWORD
	v_bfrev_b32_e32 v2, 1
	s_and_saveexec_b64 s[62:63], vcc
	s_cbranch_execz .LBB6_1080
; %bb.1077:                             ;   in Loop: Header=BB6_124 Depth=2
	v_and_b32_e32 v4, 0x7f, v16
	v_cmp_ne_u32_e32 vcc, s76, v4
	v_mov_b32_e32 v2, 0x7f800001
	s_and_saveexec_b64 s[64:65], vcc
	s_cbranch_execz .LBB6_1079
; %bb.1078:                             ;   in Loop: Header=BB6_124 Depth=2
	v_and_b32_e32 v2, 7, v16
	v_ffbh_u32_e32 v2, v2
	v_min_u32_e32 v2, 32, v2
	v_subrev_u32_e32 v6, 28, v2
	v_cmp_gt_u32_e32 vcc, 8, v4
	v_lshrrev_b32_e32 v5, 3, v4
	v_sub_u32_e32 v2, 29, v2
	v_cndmask_b32_e32 v4, 0, v6, vcc
	v_cndmask_b32_e32 v2, v5, v2, vcc
	v_lshlrev_b64 v[4:5], v4, v[16:17]
	v_lshlrev_b32_e32 v4, 20, v4
	v_lshlrev_b32_e32 v5, 24, v16
	v_and_b32_e32 v4, 0x700000, v4
	v_and_b32_e32 v5, 0x80000000, v5
	v_lshl_add_u32 v2, v2, 23, v26
	v_or3_b32 v2, v5, v2, v4
.LBB6_1079:                             ;   in Loop: Header=BB6_124 Depth=2
	s_or_b64 exec, exec, s[64:65]
.LBB6_1080:                             ;   in Loop: Header=BB6_124 Depth=2
	s_or_b64 exec, exec, s[62:63]
.LBB6_1081:                             ;   in Loop: Header=BB6_124 Depth=2
	s_or_b64 exec, exec, s[60:61]
	v_cmp_ne_u16_sdwa vcc, v12, v55 src0_sel:BYTE_0 src1_sel:DWORD
	s_and_saveexec_b64 s[60:61], vcc
	s_cbranch_execz .LBB6_1087
; %bb.1082:                             ;   in Loop: Header=BB6_124 Depth=2
	v_cmp_ne_u16_sdwa vcc, v12, s75 src0_sel:BYTE_0 src1_sel:DWORD
	v_bfrev_b32_e32 v3, 1
	s_and_saveexec_b64 s[62:63], vcc
	s_cbranch_execz .LBB6_1086
; %bb.1083:                             ;   in Loop: Header=BB6_124 Depth=2
	v_and_b32_e32 v4, 0x7f, v12
	v_cmp_ne_u32_e32 vcc, s76, v4
	v_mov_b32_e32 v3, 0x7f800001
	s_and_saveexec_b64 s[64:65], vcc
	s_cbranch_execz .LBB6_1085
; %bb.1084:                             ;   in Loop: Header=BB6_124 Depth=2
	v_and_b32_e32 v3, 7, v12
	v_ffbh_u32_e32 v3, v3
	v_min_u32_e32 v3, 32, v3
	v_subrev_u32_e32 v6, 28, v3
	v_cmp_gt_u32_e32 vcc, 8, v4
	v_lshrrev_b32_e32 v5, 3, v4
	v_sub_u32_e32 v3, 29, v3
	v_cndmask_b32_e32 v4, 0, v6, vcc
	v_cndmask_b32_e32 v3, v5, v3, vcc
	v_lshlrev_b64 v[4:5], v4, v[12:13]
	v_lshlrev_b32_e32 v4, 20, v4
	v_lshlrev_b32_e32 v5, 24, v12
	v_and_b32_e32 v4, 0x700000, v4
	v_and_b32_e32 v5, 0x80000000, v5
	v_lshl_add_u32 v3, v3, 23, v26
	v_or3_b32 v3, v5, v3, v4
.LBB6_1085:                             ;   in Loop: Header=BB6_124 Depth=2
	s_or_b64 exec, exec, s[64:65]
.LBB6_1086:                             ;   in Loop: Header=BB6_124 Depth=2
	s_or_b64 exec, exec, s[62:63]
.LBB6_1087:                             ;   in Loop: Header=BB6_124 Depth=2
	s_or_b64 exec, exec, s[60:61]
	v_max_f32_e32 v3, v3, v3
	v_max_f32_e32 v2, v2, v2
	v_max_f32_e32 v2, v2, v3
	s_branch .LBB6_1112
.LBB6_1088:                             ;   in Loop: Header=BB6_124 Depth=2
	v_and_b32_e32 v6, 0x7fffffff, v3
	v_mov_b32_e32 v7, v55
	v_cmp_gt_u64_e32 vcc, s[46:47], v[6:7]
	s_and_saveexec_b64 s[62:63], vcc
	s_cbranch_execz .LBB6_1096
; %bb.1089:                             ;   in Loop: Header=BB6_124 Depth=2
	v_cmp_ne_u32_e32 vcc, 0, v3
	v_mov_b32_e32 v15, 0
	s_and_saveexec_b64 s[64:65], vcc
	s_cbranch_execz .LBB6_1095
; %bb.1090:                             ;   in Loop: Header=BB6_124 Depth=2
	v_bfe_u32 v2, v3, 23, 8
	v_sub_u32_e32 v5, 0x79, v2
	v_cmp_gt_u32_e32 vcc, s78, v2
	v_cndmask_b32_e32 v5, 0, v5, vcc
	v_cmp_eq_u32_e32 vcc, 0, v2
	v_or_b32_e32 v6, 0x800000, v54
	v_cndmask_b32_e32 v5, v5, v32, vcc
	v_add_u32_e32 v3, 0xffffff81, v2
	v_cndmask_b32_e32 v54, v6, v54, vcc
	v_add_u32_e32 v2, 20, v5
	v_cndmask_b32_e32 v10, v3, v33, vcc
	v_lshlrev_b64 v[2:3], v2, -1
	v_lshrrev_b64 v[8:9], v5, v[54:55]
	v_not_b32_e32 v3, v3
	v_not_b32_e32 v2, v2
	v_add_u32_e32 v6, 19, v5
	v_lshrrev_b32_e32 v11, 23, v8
	v_and_b32_e32 v3, 0, v3
	v_and_b32_e32 v2, v54, v2
	v_lshlrev_b64 v[6:7], v6, 1
	v_add3_u32 v11, v5, v10, v11
	v_bfe_u32 v5, v8, 20, 1
	v_add_u32_e32 v5, -1, v5
	v_cmp_eq_u64_e32 vcc, v[2:3], v[6:7]
	v_cndmask_b32_e32 v2, 0, v5, vcc
	v_add_u32_e32 v2, v2, v8
	v_and_b32_e32 v2, 0xfffff, v2
	v_add_co_u32_e32 v2, vcc, v2, v8
	v_add_u32_e32 v10, 6, v11
	v_addc_co_u32_e32 v3, vcc, 0, v9, vcc
	v_cmp_ne_u32_e32 vcc, 0, v10
                                        ; implicit-def: $vgpr5
	s_and_saveexec_b64 s[24:25], vcc
	s_xor_b64 s[24:25], exec, s[24:25]
; %bb.1091:                             ;   in Loop: Header=BB6_124 Depth=2
	v_cmp_lt_u64_e32 vcc, s[50:51], v[2:3]
	v_add_u32_e32 v5, 7, v11
	v_cndmask_b32_e64 v6, 0, 1, vcc
	v_cndmask_b32_e32 v5, v10, v5, vcc
	v_lshrrev_b64 v[2:3], v6, v[2:3]
; %bb.1092:                             ;   in Loop: Header=BB6_124 Depth=2
	s_andn2_saveexec_b64 s[24:25], s[24:25]
; %bb.1093:                             ;   in Loop: Header=BB6_124 Depth=2
	v_bfe_u32 v5, v2, 23, 1
; %bb.1094:                             ;   in Loop: Header=BB6_124 Depth=2
	s_or_b64 exec, exec, s[24:25]
	v_lshrrev_b64 v[2:3], 20, v[2:3]
	v_cmp_gt_i32_e32 vcc, 16, v5
	v_cndmask_b32_e32 v3, 0, v3, vcc
	v_cndmask_b32_e32 v2, 7, v2, vcc
	v_cmp_eq_u64_e64 s[24:25], 0, v[2:3]
	v_min_i32_e32 v3, 15, v5
	v_lshlrev_b32_e32 v3, 3, v3
	v_cmp_eq_u32_e32 vcc, 0, v5
	v_and_b32_e32 v3, 0xf8, v3
	v_and_or_b32 v2, v2, 7, v3
	s_and_b64 s[24:25], vcc, s[24:25]
	v_cndmask_b32_e64 v2, v2, 0, s[24:25]
	v_or_b32_e32 v15, v2, v4
.LBB6_1095:                             ;   in Loop: Header=BB6_124 Depth=2
	s_or_b64 exec, exec, s[64:65]
.LBB6_1096:                             ;   in Loop: Header=BB6_124 Depth=2
	s_or_b64 exec, exec, s[62:63]
                                        ; implicit-def: $vgpr3
	s_andn2_saveexec_b64 s[24:25], s[60:61]
	s_cbranch_execz .LBB6_1074
.LBB6_1097:                             ;   in Loop: Header=BB6_124 Depth=2
	v_or_b32_sdwa v2, v3, s76 dst_sel:DWORD dst_unused:UNUSED_PAD src0_sel:BYTE_3 src1_sel:DWORD
	v_cmp_eq_u64_e32 vcc, 0, v[54:55]
	v_cndmask_b32_e32 v15, v2, v15, vcc
	s_or_b64 exec, exec, s[24:25]
	s_and_b64 vcc, exec, s[22:23]
	v_cmp_ne_u16_sdwa s[24:25], v16, v55 src0_sel:BYTE_0 src1_sel:DWORD
	s_cbranch_vccz .LBB6_1075
.LBB6_1098:                             ;   in Loop: Header=BB6_124 Depth=2
                                        ; implicit-def: $vgpr2
	s_cbranch_execz .LBB6_1112
; %bb.1099:                             ;   in Loop: Header=BB6_124 Depth=2
	v_mov_b32_e32 v3, 0
	v_mov_b32_e32 v2, 0
	s_and_saveexec_b64 s[60:61], s[24:25]
	s_cbranch_execz .LBB6_1105
; %bb.1100:                             ;   in Loop: Header=BB6_124 Depth=2
	v_cmp_ne_u16_sdwa vcc, v16, s75 src0_sel:BYTE_0 src1_sel:DWORD
	v_bfrev_b32_e32 v2, 1
	s_and_saveexec_b64 s[24:25], vcc
	s_cbranch_execz .LBB6_1104
; %bb.1101:                             ;   in Loop: Header=BB6_124 Depth=2
	v_and_b32_e32 v4, 0x7f, v16
	v_cmp_ne_u32_e32 vcc, s76, v4
	v_mov_b32_e32 v2, 0x7f800001
	s_and_saveexec_b64 s[62:63], vcc
	s_cbranch_execz .LBB6_1103
; %bb.1102:                             ;   in Loop: Header=BB6_124 Depth=2
	v_and_b32_e32 v2, 7, v16
	v_ffbh_u32_e32 v2, v2
	v_min_u32_e32 v2, 32, v2
	v_subrev_u32_e32 v6, 28, v2
	v_cmp_gt_u32_e32 vcc, 8, v4
	v_lshrrev_b32_e32 v5, 3, v4
	v_sub_u32_e32 v2, 29, v2
	v_cndmask_b32_e32 v4, 0, v6, vcc
	v_cndmask_b32_e32 v2, v5, v2, vcc
	v_lshlrev_b64 v[4:5], v4, v[16:17]
	v_lshlrev_b32_e32 v4, 20, v4
	v_lshlrev_b32_e32 v5, 24, v16
	v_and_b32_e32 v4, 0x700000, v4
	v_and_b32_e32 v5, 0x80000000, v5
	v_lshl_add_u32 v2, v2, 23, v26
	v_or3_b32 v2, v5, v2, v4
.LBB6_1103:                             ;   in Loop: Header=BB6_124 Depth=2
	s_or_b64 exec, exec, s[62:63]
.LBB6_1104:                             ;   in Loop: Header=BB6_124 Depth=2
	s_or_b64 exec, exec, s[24:25]
.LBB6_1105:                             ;   in Loop: Header=BB6_124 Depth=2
	s_or_b64 exec, exec, s[60:61]
	v_cmp_ne_u16_sdwa vcc, v12, v55 src0_sel:BYTE_0 src1_sel:DWORD
	s_and_saveexec_b64 s[24:25], vcc
	s_cbranch_execz .LBB6_1111
; %bb.1106:                             ;   in Loop: Header=BB6_124 Depth=2
	v_cmp_ne_u16_sdwa vcc, v12, s75 src0_sel:BYTE_0 src1_sel:DWORD
	v_bfrev_b32_e32 v3, 1
	s_and_saveexec_b64 s[60:61], vcc
	s_cbranch_execz .LBB6_1110
; %bb.1107:                             ;   in Loop: Header=BB6_124 Depth=2
	v_and_b32_e32 v4, 0x7f, v12
	v_cmp_ne_u32_e32 vcc, s76, v4
	v_mov_b32_e32 v3, 0x7f800001
	s_and_saveexec_b64 s[62:63], vcc
	s_cbranch_execz .LBB6_1109
; %bb.1108:                             ;   in Loop: Header=BB6_124 Depth=2
	v_and_b32_e32 v3, 7, v12
	v_ffbh_u32_e32 v3, v3
	v_min_u32_e32 v3, 32, v3
	v_subrev_u32_e32 v6, 28, v3
	v_cmp_gt_u32_e32 vcc, 8, v4
	v_lshrrev_b32_e32 v5, 3, v4
	v_sub_u32_e32 v3, 29, v3
	v_cndmask_b32_e32 v4, 0, v6, vcc
	v_cndmask_b32_e32 v3, v5, v3, vcc
	v_lshlrev_b64 v[4:5], v4, v[12:13]
	v_lshlrev_b32_e32 v4, 20, v4
	v_lshlrev_b32_e32 v5, 24, v12
	v_and_b32_e32 v4, 0x700000, v4
	v_and_b32_e32 v5, 0x80000000, v5
	v_lshl_add_u32 v3, v3, 23, v26
	v_or3_b32 v3, v5, v3, v4
.LBB6_1109:                             ;   in Loop: Header=BB6_124 Depth=2
	s_or_b64 exec, exec, s[62:63]
.LBB6_1110:                             ;   in Loop: Header=BB6_124 Depth=2
	s_or_b64 exec, exec, s[60:61]
.LBB6_1111:                             ;   in Loop: Header=BB6_124 Depth=2
	s_or_b64 exec, exec, s[24:25]
	v_max_f32_e32 v3, v3, v3
	v_max_f32_e32 v2, v2, v2
	v_min_f32_e32 v2, v2, v3
.LBB6_1112:                             ;   in Loop: Header=BB6_124 Depth=2
	v_and_b32_sdwa v4, v2, s75 dst_sel:DWORD dst_unused:UNUSED_PAD src0_sel:BYTE_3 src1_sel:DWORD
	v_and_b32_e32 v6, 0x7f800000, v2
	v_mov_b32_e32 v7, v55
	v_and_b32_e32 v54, 0x7fffff, v2
	v_or_b32_e32 v18, 0x7e, v4
	v_cmp_ne_u64_e32 vcc, s[44:45], v[6:7]
	s_and_saveexec_b64 s[24:25], vcc
	s_xor_b64 s[60:61], exec, s[24:25]
	s_cbranch_execz .LBB6_1122
; %bb.1113:                             ;   in Loop: Header=BB6_124 Depth=2
	v_and_b32_e32 v6, 0x7fffffff, v2
	v_mov_b32_e32 v7, v55
	v_cmp_gt_u64_e32 vcc, s[46:47], v[6:7]
	s_and_saveexec_b64 s[62:63], vcc
	s_cbranch_execz .LBB6_1121
; %bb.1114:                             ;   in Loop: Header=BB6_124 Depth=2
	v_cmp_ne_u32_e32 vcc, 0, v2
	v_mov_b32_e32 v18, 0
	s_and_saveexec_b64 s[64:65], vcc
	s_cbranch_execz .LBB6_1120
; %bb.1115:                             ;   in Loop: Header=BB6_124 Depth=2
	v_bfe_u32 v2, v2, 23, 8
	v_sub_u32_e32 v5, 0x79, v2
	v_cmp_gt_u32_e32 vcc, s78, v2
	v_cndmask_b32_e32 v5, 0, v5, vcc
	v_cmp_eq_u32_e32 vcc, 0, v2
	v_or_b32_e32 v6, 0x800000, v54
	v_cndmask_b32_e32 v5, v5, v32, vcc
	v_add_u32_e32 v3, 0xffffff81, v2
	v_cndmask_b32_e32 v54, v6, v54, vcc
	v_add_u32_e32 v2, 20, v5
	v_cndmask_b32_e32 v10, v3, v33, vcc
	v_lshlrev_b64 v[2:3], v2, -1
	v_lshrrev_b64 v[8:9], v5, v[54:55]
	v_not_b32_e32 v3, v3
	v_not_b32_e32 v2, v2
	v_add_u32_e32 v6, 19, v5
	v_lshrrev_b32_e32 v11, 23, v8
	v_and_b32_e32 v3, 0, v3
	v_and_b32_e32 v2, v54, v2
	v_lshlrev_b64 v[6:7], v6, 1
	v_add3_u32 v11, v5, v10, v11
	v_bfe_u32 v5, v8, 20, 1
	v_add_u32_e32 v5, -1, v5
	v_cmp_eq_u64_e32 vcc, v[2:3], v[6:7]
	v_cndmask_b32_e32 v2, 0, v5, vcc
	v_add_u32_e32 v2, v2, v8
	v_and_b32_e32 v2, 0xfffff, v2
	v_add_co_u32_e32 v2, vcc, v2, v8
	v_add_u32_e32 v10, 6, v11
	v_addc_co_u32_e32 v3, vcc, 0, v9, vcc
	v_cmp_ne_u32_e32 vcc, 0, v10
                                        ; implicit-def: $vgpr5
	s_and_saveexec_b64 s[24:25], vcc
	s_xor_b64 s[24:25], exec, s[24:25]
; %bb.1116:                             ;   in Loop: Header=BB6_124 Depth=2
	v_cmp_lt_u64_e32 vcc, s[50:51], v[2:3]
	v_add_u32_e32 v5, 7, v11
	v_cndmask_b32_e64 v6, 0, 1, vcc
	v_cndmask_b32_e32 v5, v10, v5, vcc
	v_lshrrev_b64 v[2:3], v6, v[2:3]
; %bb.1117:                             ;   in Loop: Header=BB6_124 Depth=2
	s_andn2_saveexec_b64 s[24:25], s[24:25]
; %bb.1118:                             ;   in Loop: Header=BB6_124 Depth=2
	v_bfe_u32 v5, v2, 23, 1
; %bb.1119:                             ;   in Loop: Header=BB6_124 Depth=2
	s_or_b64 exec, exec, s[24:25]
	v_lshrrev_b64 v[2:3], 20, v[2:3]
	v_cmp_gt_i32_e32 vcc, 16, v5
	v_cndmask_b32_e32 v3, 0, v3, vcc
	v_cndmask_b32_e32 v2, 7, v2, vcc
	v_cmp_eq_u64_e64 s[24:25], 0, v[2:3]
	v_min_i32_e32 v3, 15, v5
	v_cmp_eq_u32_e32 vcc, 0, v5
	v_lshlrev_b32_e32 v3, 3, v3
	v_and_or_b32 v2, v2, 7, v3
	s_and_b64 s[24:25], vcc, s[24:25]
	v_cndmask_b32_e64 v2, v2, 0, s[24:25]
	v_or_b32_e32 v18, v2, v4
.LBB6_1120:                             ;   in Loop: Header=BB6_124 Depth=2
	s_or_b64 exec, exec, s[64:65]
.LBB6_1121:                             ;   in Loop: Header=BB6_124 Depth=2
	s_or_b64 exec, exec, s[62:63]
                                        ; implicit-def: $vgpr2
.LBB6_1122:                             ;   in Loop: Header=BB6_124 Depth=2
	s_andn2_saveexec_b64 s[24:25], s[60:61]
; %bb.1123:                             ;   in Loop: Header=BB6_124 Depth=2
	v_or_b32_sdwa v2, v2, s76 dst_sel:DWORD dst_unused:UNUSED_PAD src0_sel:BYTE_3 src1_sel:DWORD
	v_cmp_eq_u64_e32 vcc, 0, v[54:55]
	v_cndmask_b32_e32 v18, v2, v18, vcc
; %bb.1124:                             ;   in Loop: Header=BB6_124 Depth=2
	s_or_b64 exec, exec, s[24:25]
	v_lshrrev_b16_e32 v10, 8, v16
	v_lshrrev_b16_e32 v2, 8, v12
	s_and_b64 vcc, exec, s[22:23]
	v_cmp_ne_u16_e64 s[24:25], 0, v10
	s_cbranch_vccnz .LBB6_1138
; %bb.1125:                             ;   in Loop: Header=BB6_124 Depth=2
	v_mov_b32_e32 v4, 0
	v_mov_b32_e32 v3, 0
	s_and_saveexec_b64 s[60:61], s[24:25]
	s_cbranch_execz .LBB6_1131
; %bb.1126:                             ;   in Loop: Header=BB6_124 Depth=2
	v_cmp_ne_u16_e32 vcc, s75, v10
	v_bfrev_b32_e32 v3, 1
	s_and_saveexec_b64 s[62:63], vcc
	s_cbranch_execz .LBB6_1130
; %bb.1127:                             ;   in Loop: Header=BB6_124 Depth=2
	v_and_b32_e32 v5, 0x7f, v10
	v_cmp_ne_u32_e32 vcc, s76, v5
	v_mov_b32_e32 v3, 0x7f800001
	s_and_saveexec_b64 s[64:65], vcc
	s_cbranch_execz .LBB6_1129
; %bb.1128:                             ;   in Loop: Header=BB6_124 Depth=2
	v_and_b32_e32 v3, 7, v10
	v_ffbh_u32_e32 v6, v3
	v_min_u32_e32 v9, 32, v6
	v_subrev_u32_e32 v6, 28, v9
	v_lshlrev_b64 v[6:7], v6, v[10:11]
	v_lshrrev_b32_e32 v8, 3, v5
	v_sub_u32_e32 v7, 29, v9
	v_and_b32_e32 v6, 7, v6
	v_cmp_gt_u32_e32 vcc, 8, v5
	v_cndmask_b32_e32 v5, v8, v7, vcc
	v_cndmask_b32_e32 v3, v3, v6, vcc
	v_lshlrev_b32_e32 v6, 16, v16
	v_lshlrev_b32_e32 v3, 20, v3
	v_and_b32_e32 v6, 0x80000000, v6
	v_lshl_add_u32 v5, v5, 23, v26
	v_or3_b32 v3, v6, v5, v3
.LBB6_1129:                             ;   in Loop: Header=BB6_124 Depth=2
	s_or_b64 exec, exec, s[64:65]
.LBB6_1130:                             ;   in Loop: Header=BB6_124 Depth=2
	s_or_b64 exec, exec, s[62:63]
.LBB6_1131:                             ;   in Loop: Header=BB6_124 Depth=2
	s_or_b64 exec, exec, s[60:61]
	v_cmp_ne_u16_e32 vcc, 0, v2
	s_and_saveexec_b64 s[60:61], vcc
	s_cbranch_execz .LBB6_1137
; %bb.1132:                             ;   in Loop: Header=BB6_124 Depth=2
	v_cmp_ne_u16_e32 vcc, s75, v2
	v_bfrev_b32_e32 v4, 1
	s_and_saveexec_b64 s[62:63], vcc
	s_cbranch_execz .LBB6_1136
; %bb.1133:                             ;   in Loop: Header=BB6_124 Depth=2
	v_and_b32_e32 v5, 0x7f, v2
	v_cmp_ne_u32_e32 vcc, s76, v5
	v_mov_b32_e32 v4, 0x7f800001
	s_and_saveexec_b64 s[64:65], vcc
	s_cbranch_execz .LBB6_1135
; %bb.1134:                             ;   in Loop: Header=BB6_124 Depth=2
	v_and_b32_e32 v4, 7, v2
	v_ffbh_u32_e32 v6, v4
	v_min_u32_e32 v9, 32, v6
	v_subrev_u32_e32 v6, 28, v9
	v_lshlrev_b64 v[6:7], v6, v[2:3]
	v_lshrrev_b32_e32 v8, 3, v5
	v_sub_u32_e32 v7, 29, v9
	v_and_b32_e32 v6, 7, v6
	v_cmp_gt_u32_e32 vcc, 8, v5
	v_cndmask_b32_e32 v5, v8, v7, vcc
	v_cndmask_b32_e32 v4, v4, v6, vcc
	v_lshlrev_b32_e32 v6, 16, v12
	v_lshlrev_b32_e32 v4, 20, v4
	v_and_b32_e32 v6, 0x80000000, v6
	v_lshl_add_u32 v5, v5, 23, v26
	v_or3_b32 v4, v6, v5, v4
.LBB6_1135:                             ;   in Loop: Header=BB6_124 Depth=2
	s_or_b64 exec, exec, s[64:65]
.LBB6_1136:                             ;   in Loop: Header=BB6_124 Depth=2
	s_or_b64 exec, exec, s[62:63]
.LBB6_1137:                             ;   in Loop: Header=BB6_124 Depth=2
	s_or_b64 exec, exec, s[60:61]
	v_max_f32_e32 v4, v4, v4
	v_max_f32_e32 v3, v3, v3
	;; [unrolled: 1-line block ×3, first 2 shown]
	s_branch .LBB6_1152
.LBB6_1138:                             ;   in Loop: Header=BB6_124 Depth=2
                                        ; implicit-def: $vgpr3
	s_cbranch_execz .LBB6_1152
; %bb.1139:                             ;   in Loop: Header=BB6_124 Depth=2
	v_mov_b32_e32 v4, 0
	v_mov_b32_e32 v3, 0
	s_and_saveexec_b64 s[60:61], s[24:25]
	s_cbranch_execz .LBB6_1145
; %bb.1140:                             ;   in Loop: Header=BB6_124 Depth=2
	v_cmp_ne_u16_e32 vcc, s75, v10
	v_bfrev_b32_e32 v3, 1
	s_and_saveexec_b64 s[24:25], vcc
	s_cbranch_execz .LBB6_1144
; %bb.1141:                             ;   in Loop: Header=BB6_124 Depth=2
	v_and_b32_e32 v5, 0x7f, v10
	v_cmp_ne_u32_e32 vcc, s76, v5
	v_mov_b32_e32 v3, 0x7f800001
	s_and_saveexec_b64 s[62:63], vcc
	s_cbranch_execz .LBB6_1143
; %bb.1142:                             ;   in Loop: Header=BB6_124 Depth=2
	v_and_b32_e32 v3, 7, v10
	v_ffbh_u32_e32 v6, v3
	v_min_u32_e32 v9, 32, v6
	v_subrev_u32_e32 v6, 28, v9
	v_lshlrev_b64 v[6:7], v6, v[10:11]
	v_lshrrev_b32_e32 v8, 3, v5
	v_sub_u32_e32 v7, 29, v9
	v_and_b32_e32 v6, 7, v6
	v_cmp_gt_u32_e32 vcc, 8, v5
	v_cndmask_b32_e32 v5, v8, v7, vcc
	v_cndmask_b32_e32 v3, v3, v6, vcc
	v_lshlrev_b32_e32 v6, 16, v16
	v_lshlrev_b32_e32 v3, 20, v3
	v_and_b32_e32 v6, 0x80000000, v6
	v_lshl_add_u32 v5, v5, 23, v26
	v_or3_b32 v3, v6, v5, v3
.LBB6_1143:                             ;   in Loop: Header=BB6_124 Depth=2
	s_or_b64 exec, exec, s[62:63]
.LBB6_1144:                             ;   in Loop: Header=BB6_124 Depth=2
	s_or_b64 exec, exec, s[24:25]
.LBB6_1145:                             ;   in Loop: Header=BB6_124 Depth=2
	s_or_b64 exec, exec, s[60:61]
	v_cmp_ne_u16_e32 vcc, 0, v2
	s_and_saveexec_b64 s[24:25], vcc
	s_cbranch_execz .LBB6_1151
; %bb.1146:                             ;   in Loop: Header=BB6_124 Depth=2
	v_cmp_ne_u16_e32 vcc, s75, v2
	v_bfrev_b32_e32 v4, 1
	s_and_saveexec_b64 s[60:61], vcc
	s_cbranch_execz .LBB6_1150
; %bb.1147:                             ;   in Loop: Header=BB6_124 Depth=2
	v_and_b32_e32 v5, 0x7f, v2
	v_cmp_ne_u32_e32 vcc, s76, v5
	v_mov_b32_e32 v4, 0x7f800001
	s_and_saveexec_b64 s[62:63], vcc
	s_cbranch_execz .LBB6_1149
; %bb.1148:                             ;   in Loop: Header=BB6_124 Depth=2
	v_and_b32_e32 v4, 7, v2
	v_ffbh_u32_e32 v6, v4
	v_min_u32_e32 v9, 32, v6
	v_subrev_u32_e32 v6, 28, v9
	v_lshlrev_b64 v[6:7], v6, v[2:3]
	v_lshrrev_b32_e32 v8, 3, v5
	v_sub_u32_e32 v2, 29, v9
	v_and_b32_e32 v6, 7, v6
	v_cmp_gt_u32_e32 vcc, 8, v5
	v_cndmask_b32_e32 v2, v8, v2, vcc
	v_cndmask_b32_e32 v4, v4, v6, vcc
	v_lshlrev_b32_e32 v5, 16, v12
	v_lshlrev_b32_e32 v4, 20, v4
	v_and_b32_e32 v5, 0x80000000, v5
	v_lshl_add_u32 v2, v2, 23, v26
	v_or3_b32 v4, v5, v2, v4
.LBB6_1149:                             ;   in Loop: Header=BB6_124 Depth=2
	s_or_b64 exec, exec, s[62:63]
.LBB6_1150:                             ;   in Loop: Header=BB6_124 Depth=2
	s_or_b64 exec, exec, s[60:61]
.LBB6_1151:                             ;   in Loop: Header=BB6_124 Depth=2
	s_or_b64 exec, exec, s[24:25]
	v_max_f32_e32 v2, v4, v4
	v_max_f32_e32 v3, v3, v3
	v_min_f32_e32 v3, v3, v2
.LBB6_1152:                             ;   in Loop: Header=BB6_124 Depth=2
	v_and_b32_sdwa v4, v3, s75 dst_sel:DWORD dst_unused:UNUSED_PAD src0_sel:BYTE_3 src1_sel:DWORD
	v_and_b32_e32 v6, 0x7f800000, v3
	v_mov_b32_e32 v7, v55
	v_and_b32_e32 v54, 0x7fffff, v3
	v_or_b32_e32 v48, 0x7e, v4
	v_cmp_ne_u64_e32 vcc, s[44:45], v[6:7]
	s_and_saveexec_b64 s[24:25], vcc
	s_xor_b64 s[60:61], exec, s[24:25]
	s_cbranch_execz .LBB6_1162
; %bb.1153:                             ;   in Loop: Header=BB6_124 Depth=2
	v_and_b32_e32 v6, 0x7fffffff, v3
	v_mov_b32_e32 v7, v55
	v_cmp_gt_u64_e32 vcc, s[46:47], v[6:7]
	s_and_saveexec_b64 s[62:63], vcc
	s_cbranch_execz .LBB6_1161
; %bb.1154:                             ;   in Loop: Header=BB6_124 Depth=2
	v_cmp_ne_u32_e32 vcc, 0, v3
	v_mov_b32_e32 v48, 0
	s_and_saveexec_b64 s[64:65], vcc
	s_cbranch_execz .LBB6_1160
; %bb.1155:                             ;   in Loop: Header=BB6_124 Depth=2
	v_bfe_u32 v2, v3, 23, 8
	v_sub_u32_e32 v5, 0x79, v2
	v_cmp_gt_u32_e32 vcc, s78, v2
	v_cndmask_b32_e32 v5, 0, v5, vcc
	v_cmp_eq_u32_e32 vcc, 0, v2
	v_or_b32_e32 v6, 0x800000, v54
	v_cndmask_b32_e32 v5, v5, v32, vcc
	v_add_u32_e32 v3, 0xffffff81, v2
	v_cndmask_b32_e32 v54, v6, v54, vcc
	v_add_u32_e32 v2, 20, v5
	v_cndmask_b32_e32 v10, v3, v33, vcc
	v_lshlrev_b64 v[2:3], v2, -1
	v_lshrrev_b64 v[8:9], v5, v[54:55]
	v_not_b32_e32 v3, v3
	v_not_b32_e32 v2, v2
	v_add_u32_e32 v6, 19, v5
	v_lshrrev_b32_e32 v11, 23, v8
	v_and_b32_e32 v3, 0, v3
	v_and_b32_e32 v2, v54, v2
	v_lshlrev_b64 v[6:7], v6, 1
	v_add3_u32 v11, v5, v10, v11
	v_bfe_u32 v5, v8, 20, 1
	v_add_u32_e32 v5, -1, v5
	v_cmp_eq_u64_e32 vcc, v[2:3], v[6:7]
	v_cndmask_b32_e32 v2, 0, v5, vcc
	v_add_u32_e32 v2, v2, v8
	v_and_b32_e32 v2, 0xfffff, v2
	v_add_co_u32_e32 v2, vcc, v2, v8
	v_add_u32_e32 v10, 6, v11
	v_addc_co_u32_e32 v3, vcc, 0, v9, vcc
	v_cmp_ne_u32_e32 vcc, 0, v10
                                        ; implicit-def: $vgpr5
	s_and_saveexec_b64 s[24:25], vcc
	s_xor_b64 s[24:25], exec, s[24:25]
; %bb.1156:                             ;   in Loop: Header=BB6_124 Depth=2
	v_cmp_lt_u64_e32 vcc, s[50:51], v[2:3]
	v_add_u32_e32 v5, 7, v11
	v_cndmask_b32_e64 v6, 0, 1, vcc
	v_cndmask_b32_e32 v5, v10, v5, vcc
	v_lshrrev_b64 v[2:3], v6, v[2:3]
; %bb.1157:                             ;   in Loop: Header=BB6_124 Depth=2
	s_andn2_saveexec_b64 s[24:25], s[24:25]
; %bb.1158:                             ;   in Loop: Header=BB6_124 Depth=2
	v_bfe_u32 v5, v2, 23, 1
; %bb.1159:                             ;   in Loop: Header=BB6_124 Depth=2
	s_or_b64 exec, exec, s[24:25]
	v_lshrrev_b64 v[2:3], 20, v[2:3]
	v_cmp_gt_i32_e32 vcc, 16, v5
	v_cndmask_b32_e32 v3, 0, v3, vcc
	v_cndmask_b32_e32 v2, 7, v2, vcc
	v_cmp_eq_u64_e64 s[24:25], 0, v[2:3]
	v_min_i32_e32 v3, 15, v5
	v_cmp_eq_u32_e32 vcc, 0, v5
	v_lshlrev_b32_e32 v3, 3, v3
	v_and_or_b32 v2, v2, 7, v3
	s_and_b64 s[24:25], vcc, s[24:25]
	v_cndmask_b32_e64 v2, v2, 0, s[24:25]
	v_or_b32_e32 v48, v2, v4
.LBB6_1160:                             ;   in Loop: Header=BB6_124 Depth=2
	s_or_b64 exec, exec, s[64:65]
.LBB6_1161:                             ;   in Loop: Header=BB6_124 Depth=2
	s_or_b64 exec, exec, s[62:63]
                                        ; implicit-def: $vgpr3
.LBB6_1162:                             ;   in Loop: Header=BB6_124 Depth=2
	s_andn2_saveexec_b64 s[24:25], s[60:61]
; %bb.1163:                             ;   in Loop: Header=BB6_124 Depth=2
	v_or_b32_sdwa v2, v3, s76 dst_sel:DWORD dst_unused:UNUSED_PAD src0_sel:BYTE_3 src1_sel:DWORD
	v_cmp_eq_u64_e32 vcc, 0, v[54:55]
	v_cndmask_b32_e32 v48, v2, v48, vcc
; %bb.1164:                             ;   in Loop: Header=BB6_124 Depth=2
	s_or_b64 exec, exec, s[24:25]
	v_lshrrev_b32_e32 v10, 16, v16
	v_lshrrev_b32_e32 v2, 16, v12
	s_and_b64 vcc, exec, s[22:23]
	v_cmp_ne_u16_sdwa s[24:25], v10, v55 src0_sel:BYTE_0 src1_sel:DWORD
	s_cbranch_vccnz .LBB6_1178
; %bb.1165:                             ;   in Loop: Header=BB6_124 Depth=2
	v_mov_b32_e32 v4, 0
	v_mov_b32_e32 v3, 0
	s_and_saveexec_b64 s[60:61], s[24:25]
	s_cbranch_execz .LBB6_1171
; %bb.1166:                             ;   in Loop: Header=BB6_124 Depth=2
	v_cmp_ne_u16_sdwa vcc, v10, s75 src0_sel:BYTE_0 src1_sel:DWORD
	v_bfrev_b32_e32 v3, 1
	s_and_saveexec_b64 s[62:63], vcc
	s_cbranch_execz .LBB6_1170
; %bb.1167:                             ;   in Loop: Header=BB6_124 Depth=2
	v_bfe_u32 v5, v16, 16, 7
	v_cmp_ne_u32_e32 vcc, s76, v5
	v_mov_b32_e32 v3, 0x7f800001
	s_and_saveexec_b64 s[64:65], vcc
	s_cbranch_execz .LBB6_1169
; %bb.1168:                             ;   in Loop: Header=BB6_124 Depth=2
	v_and_b32_e32 v3, 7, v10
	v_ffbh_u32_e32 v6, v3
	v_min_u32_e32 v9, 32, v6
	v_subrev_u32_e32 v6, 28, v9
	v_lshlrev_b64 v[6:7], v6, v[10:11]
	v_lshrrev_b32_e32 v8, 3, v5
	v_sub_u32_e32 v7, 29, v9
	v_and_b32_e32 v6, 7, v6
	v_cmp_gt_u32_e32 vcc, 8, v5
	v_cndmask_b32_e32 v5, v8, v7, vcc
	v_cndmask_b32_e32 v3, v3, v6, vcc
	v_lshlrev_b32_e32 v6, 24, v10
	v_lshlrev_b32_e32 v3, 20, v3
	v_and_b32_e32 v6, 0x80000000, v6
	v_lshl_add_u32 v5, v5, 23, v26
	v_or3_b32 v3, v6, v5, v3
.LBB6_1169:                             ;   in Loop: Header=BB6_124 Depth=2
	s_or_b64 exec, exec, s[64:65]
.LBB6_1170:                             ;   in Loop: Header=BB6_124 Depth=2
	s_or_b64 exec, exec, s[62:63]
.LBB6_1171:                             ;   in Loop: Header=BB6_124 Depth=2
	s_or_b64 exec, exec, s[60:61]
	v_cmp_ne_u16_sdwa vcc, v2, v55 src0_sel:BYTE_0 src1_sel:DWORD
	s_and_saveexec_b64 s[60:61], vcc
	s_cbranch_execz .LBB6_1177
; %bb.1172:                             ;   in Loop: Header=BB6_124 Depth=2
	v_cmp_ne_u16_sdwa vcc, v2, s75 src0_sel:BYTE_0 src1_sel:DWORD
	v_bfrev_b32_e32 v4, 1
	s_and_saveexec_b64 s[62:63], vcc
	s_cbranch_execz .LBB6_1176
; %bb.1173:                             ;   in Loop: Header=BB6_124 Depth=2
	v_bfe_u32 v5, v12, 16, 7
	v_cmp_ne_u32_e32 vcc, s76, v5
	v_mov_b32_e32 v4, 0x7f800001
	s_and_saveexec_b64 s[64:65], vcc
	s_cbranch_execz .LBB6_1175
; %bb.1174:                             ;   in Loop: Header=BB6_124 Depth=2
	v_and_b32_e32 v4, 7, v2
	v_ffbh_u32_e32 v6, v4
	v_min_u32_e32 v9, 32, v6
	v_subrev_u32_e32 v6, 28, v9
	v_lshlrev_b64 v[6:7], v6, v[2:3]
	v_lshrrev_b32_e32 v8, 3, v5
	v_sub_u32_e32 v7, 29, v9
	v_and_b32_e32 v6, 7, v6
	v_cmp_gt_u32_e32 vcc, 8, v5
	v_cndmask_b32_e32 v5, v8, v7, vcc
	v_cndmask_b32_e32 v4, v4, v6, vcc
	v_lshlrev_b32_e32 v6, 24, v2
	v_lshlrev_b32_e32 v4, 20, v4
	v_and_b32_e32 v6, 0x80000000, v6
	v_lshl_add_u32 v5, v5, 23, v26
	v_or3_b32 v4, v6, v5, v4
.LBB6_1175:                             ;   in Loop: Header=BB6_124 Depth=2
	s_or_b64 exec, exec, s[64:65]
.LBB6_1176:                             ;   in Loop: Header=BB6_124 Depth=2
	s_or_b64 exec, exec, s[62:63]
.LBB6_1177:                             ;   in Loop: Header=BB6_124 Depth=2
	s_or_b64 exec, exec, s[60:61]
	v_max_f32_e32 v4, v4, v4
	v_max_f32_e32 v3, v3, v3
	;; [unrolled: 1-line block ×3, first 2 shown]
	s_branch .LBB6_1192
.LBB6_1178:                             ;   in Loop: Header=BB6_124 Depth=2
                                        ; implicit-def: $vgpr3
	s_cbranch_execz .LBB6_1192
; %bb.1179:                             ;   in Loop: Header=BB6_124 Depth=2
	v_mov_b32_e32 v4, 0
	v_mov_b32_e32 v3, 0
	s_and_saveexec_b64 s[60:61], s[24:25]
	s_cbranch_execz .LBB6_1185
; %bb.1180:                             ;   in Loop: Header=BB6_124 Depth=2
	v_cmp_ne_u16_sdwa vcc, v10, s75 src0_sel:BYTE_0 src1_sel:DWORD
	v_bfrev_b32_e32 v3, 1
	s_and_saveexec_b64 s[24:25], vcc
	s_cbranch_execz .LBB6_1184
; %bb.1181:                             ;   in Loop: Header=BB6_124 Depth=2
	v_bfe_u32 v5, v16, 16, 7
	v_cmp_ne_u32_e32 vcc, s76, v5
	v_mov_b32_e32 v3, 0x7f800001
	s_and_saveexec_b64 s[62:63], vcc
	s_cbranch_execz .LBB6_1183
; %bb.1182:                             ;   in Loop: Header=BB6_124 Depth=2
	v_and_b32_e32 v3, 7, v10
	v_ffbh_u32_e32 v6, v3
	v_min_u32_e32 v9, 32, v6
	v_subrev_u32_e32 v6, 28, v9
	v_lshlrev_b64 v[6:7], v6, v[10:11]
	v_lshrrev_b32_e32 v8, 3, v5
	v_sub_u32_e32 v7, 29, v9
	v_and_b32_e32 v6, 7, v6
	v_cmp_gt_u32_e32 vcc, 8, v5
	v_cndmask_b32_e32 v5, v8, v7, vcc
	v_cndmask_b32_e32 v3, v3, v6, vcc
	v_lshlrev_b32_e32 v6, 24, v10
	v_lshlrev_b32_e32 v3, 20, v3
	v_and_b32_e32 v6, 0x80000000, v6
	v_lshl_add_u32 v5, v5, 23, v26
	v_or3_b32 v3, v6, v5, v3
.LBB6_1183:                             ;   in Loop: Header=BB6_124 Depth=2
	s_or_b64 exec, exec, s[62:63]
.LBB6_1184:                             ;   in Loop: Header=BB6_124 Depth=2
	s_or_b64 exec, exec, s[24:25]
.LBB6_1185:                             ;   in Loop: Header=BB6_124 Depth=2
	s_or_b64 exec, exec, s[60:61]
	v_cmp_ne_u16_sdwa vcc, v2, v55 src0_sel:BYTE_0 src1_sel:DWORD
	s_and_saveexec_b64 s[24:25], vcc
	s_cbranch_execz .LBB6_1191
; %bb.1186:                             ;   in Loop: Header=BB6_124 Depth=2
	v_cmp_ne_u16_sdwa vcc, v2, s75 src0_sel:BYTE_0 src1_sel:DWORD
	v_bfrev_b32_e32 v4, 1
	s_and_saveexec_b64 s[60:61], vcc
	s_cbranch_execz .LBB6_1190
; %bb.1187:                             ;   in Loop: Header=BB6_124 Depth=2
	v_bfe_u32 v5, v12, 16, 7
	v_cmp_ne_u32_e32 vcc, s76, v5
	v_mov_b32_e32 v4, 0x7f800001
	s_and_saveexec_b64 s[62:63], vcc
	s_cbranch_execz .LBB6_1189
; %bb.1188:                             ;   in Loop: Header=BB6_124 Depth=2
	v_and_b32_e32 v4, 7, v2
	v_ffbh_u32_e32 v6, v4
	v_min_u32_e32 v9, 32, v6
	v_subrev_u32_e32 v6, 28, v9
	v_lshlrev_b64 v[6:7], v6, v[2:3]
	v_lshrrev_b32_e32 v8, 3, v5
	v_sub_u32_e32 v7, 29, v9
	v_and_b32_e32 v6, 7, v6
	v_cmp_gt_u32_e32 vcc, 8, v5
	v_cndmask_b32_e32 v5, v8, v7, vcc
	v_cndmask_b32_e32 v4, v4, v6, vcc
	v_lshlrev_b32_e32 v2, 24, v2
	v_lshlrev_b32_e32 v4, 20, v4
	v_and_b32_e32 v2, 0x80000000, v2
	v_lshl_add_u32 v5, v5, 23, v26
	v_or3_b32 v4, v2, v5, v4
.LBB6_1189:                             ;   in Loop: Header=BB6_124 Depth=2
	s_or_b64 exec, exec, s[62:63]
.LBB6_1190:                             ;   in Loop: Header=BB6_124 Depth=2
	s_or_b64 exec, exec, s[60:61]
.LBB6_1191:                             ;   in Loop: Header=BB6_124 Depth=2
	s_or_b64 exec, exec, s[24:25]
	v_max_f32_e32 v2, v4, v4
	v_max_f32_e32 v3, v3, v3
	v_min_f32_e32 v3, v3, v2
.LBB6_1192:                             ;   in Loop: Header=BB6_124 Depth=2
	v_and_b32_sdwa v4, v3, s75 dst_sel:DWORD dst_unused:UNUSED_PAD src0_sel:BYTE_3 src1_sel:DWORD
	v_and_b32_e32 v6, 0x7f800000, v3
	v_mov_b32_e32 v7, v55
	v_and_b32_e32 v54, 0x7fffff, v3
	v_or_b32_e32 v49, 0x7e, v4
	v_cmp_ne_u64_e32 vcc, s[44:45], v[6:7]
	s_and_saveexec_b64 s[24:25], vcc
	s_xor_b64 s[60:61], exec, s[24:25]
	s_cbranch_execz .LBB6_1202
; %bb.1193:                             ;   in Loop: Header=BB6_124 Depth=2
	v_and_b32_e32 v6, 0x7fffffff, v3
	v_mov_b32_e32 v7, v55
	v_cmp_gt_u64_e32 vcc, s[46:47], v[6:7]
	s_and_saveexec_b64 s[62:63], vcc
	s_cbranch_execz .LBB6_1201
; %bb.1194:                             ;   in Loop: Header=BB6_124 Depth=2
	v_cmp_ne_u32_e32 vcc, 0, v3
	v_mov_b32_e32 v49, 0
	s_and_saveexec_b64 s[64:65], vcc
	s_cbranch_execz .LBB6_1200
; %bb.1195:                             ;   in Loop: Header=BB6_124 Depth=2
	v_bfe_u32 v2, v3, 23, 8
	v_sub_u32_e32 v5, 0x79, v2
	v_cmp_gt_u32_e32 vcc, s78, v2
	v_cndmask_b32_e32 v5, 0, v5, vcc
	v_cmp_eq_u32_e32 vcc, 0, v2
	v_or_b32_e32 v6, 0x800000, v54
	v_cndmask_b32_e32 v5, v5, v32, vcc
	v_add_u32_e32 v3, 0xffffff81, v2
	v_cndmask_b32_e32 v54, v6, v54, vcc
	v_add_u32_e32 v2, 20, v5
	v_cndmask_b32_e32 v10, v3, v33, vcc
	v_lshlrev_b64 v[2:3], v2, -1
	v_lshrrev_b64 v[8:9], v5, v[54:55]
	v_not_b32_e32 v3, v3
	v_not_b32_e32 v2, v2
	v_add_u32_e32 v6, 19, v5
	v_lshrrev_b32_e32 v11, 23, v8
	v_and_b32_e32 v3, 0, v3
	v_and_b32_e32 v2, v54, v2
	v_lshlrev_b64 v[6:7], v6, 1
	v_add3_u32 v11, v5, v10, v11
	v_bfe_u32 v5, v8, 20, 1
	v_add_u32_e32 v5, -1, v5
	v_cmp_eq_u64_e32 vcc, v[2:3], v[6:7]
	v_cndmask_b32_e32 v2, 0, v5, vcc
	v_add_u32_e32 v2, v2, v8
	v_and_b32_e32 v2, 0xfffff, v2
	v_add_co_u32_e32 v2, vcc, v2, v8
	v_add_u32_e32 v10, 6, v11
	v_addc_co_u32_e32 v3, vcc, 0, v9, vcc
	v_cmp_ne_u32_e32 vcc, 0, v10
                                        ; implicit-def: $vgpr5
	s_and_saveexec_b64 s[24:25], vcc
	s_xor_b64 s[24:25], exec, s[24:25]
; %bb.1196:                             ;   in Loop: Header=BB6_124 Depth=2
	v_cmp_lt_u64_e32 vcc, s[50:51], v[2:3]
	v_add_u32_e32 v5, 7, v11
	v_cndmask_b32_e64 v6, 0, 1, vcc
	v_cndmask_b32_e32 v5, v10, v5, vcc
	v_lshrrev_b64 v[2:3], v6, v[2:3]
; %bb.1197:                             ;   in Loop: Header=BB6_124 Depth=2
	s_andn2_saveexec_b64 s[24:25], s[24:25]
; %bb.1198:                             ;   in Loop: Header=BB6_124 Depth=2
	v_bfe_u32 v5, v2, 23, 1
; %bb.1199:                             ;   in Loop: Header=BB6_124 Depth=2
	s_or_b64 exec, exec, s[24:25]
	v_lshrrev_b64 v[2:3], 20, v[2:3]
	v_cmp_gt_i32_e32 vcc, 16, v5
	v_cndmask_b32_e32 v3, 0, v3, vcc
	v_cndmask_b32_e32 v2, 7, v2, vcc
	v_cmp_eq_u64_e64 s[24:25], 0, v[2:3]
	v_min_i32_e32 v3, 15, v5
	v_cmp_eq_u32_e32 vcc, 0, v5
	v_lshlrev_b32_e32 v3, 3, v3
	v_and_or_b32 v2, v2, 7, v3
	s_and_b64 s[24:25], vcc, s[24:25]
	v_cndmask_b32_e64 v2, v2, 0, s[24:25]
	v_or_b32_e32 v49, v2, v4
.LBB6_1200:                             ;   in Loop: Header=BB6_124 Depth=2
	s_or_b64 exec, exec, s[64:65]
.LBB6_1201:                             ;   in Loop: Header=BB6_124 Depth=2
	s_or_b64 exec, exec, s[62:63]
                                        ; implicit-def: $vgpr3
.LBB6_1202:                             ;   in Loop: Header=BB6_124 Depth=2
	s_andn2_saveexec_b64 s[24:25], s[60:61]
; %bb.1203:                             ;   in Loop: Header=BB6_124 Depth=2
	v_or_b32_sdwa v2, v3, s76 dst_sel:DWORD dst_unused:UNUSED_PAD src0_sel:BYTE_3 src1_sel:DWORD
	v_cmp_eq_u64_e32 vcc, 0, v[54:55]
	v_cndmask_b32_e32 v49, v2, v49, vcc
; %bb.1204:                             ;   in Loop: Header=BB6_124 Depth=2
	s_or_b64 exec, exec, s[24:25]
	v_lshrrev_b32_e32 v10, 24, v16
	v_lshrrev_b32_e32 v2, 24, v12
	s_and_b64 vcc, exec, s[22:23]
	v_cmp_lt_u32_e64 s[24:25], s49, v16
	s_cbranch_vccnz .LBB6_1218
; %bb.1205:                             ;   in Loop: Header=BB6_124 Depth=2
	v_mov_b32_e32 v4, 0
	v_mov_b32_e32 v3, 0
	s_and_saveexec_b64 s[60:61], s[24:25]
	s_cbranch_execz .LBB6_1211
; %bb.1206:                             ;   in Loop: Header=BB6_124 Depth=2
	v_cmp_ne_u32_e32 vcc, s75, v10
	v_bfrev_b32_e32 v3, 1
	s_and_saveexec_b64 s[62:63], vcc
	s_cbranch_execz .LBB6_1210
; %bb.1207:                             ;   in Loop: Header=BB6_124 Depth=2
	v_bfe_u32 v5, v16, 24, 7
	v_cmp_ne_u32_e32 vcc, s76, v5
	v_mov_b32_e32 v3, 0x7f800001
	s_and_saveexec_b64 s[64:65], vcc
	s_cbranch_execz .LBB6_1209
; %bb.1208:                             ;   in Loop: Header=BB6_124 Depth=2
	v_and_b32_e32 v3, 7, v10
	v_ffbh_u32_e32 v6, v3
	v_min_u32_e32 v9, 32, v6
	v_subrev_u32_e32 v6, 28, v9
	v_lshlrev_b64 v[6:7], v6, v[10:11]
	v_lshrrev_b32_e32 v8, 3, v5
	v_sub_u32_e32 v7, 29, v9
	v_and_b32_e32 v6, 7, v6
	v_cmp_gt_u32_e32 vcc, 8, v5
	v_cndmask_b32_e32 v5, v8, v7, vcc
	v_cndmask_b32_e32 v3, v3, v6, vcc
	v_lshlrev_b32_e32 v6, 24, v10
	v_lshlrev_b32_e32 v3, 20, v3
	v_and_b32_e32 v6, 0x80000000, v6
	v_lshl_add_u32 v5, v5, 23, v26
	v_or3_b32 v3, v6, v5, v3
.LBB6_1209:                             ;   in Loop: Header=BB6_124 Depth=2
	s_or_b64 exec, exec, s[64:65]
.LBB6_1210:                             ;   in Loop: Header=BB6_124 Depth=2
	s_or_b64 exec, exec, s[62:63]
.LBB6_1211:                             ;   in Loop: Header=BB6_124 Depth=2
	s_or_b64 exec, exec, s[60:61]
	v_cmp_lt_u32_e32 vcc, s49, v12
	s_and_saveexec_b64 s[60:61], vcc
	s_cbranch_execz .LBB6_1217
; %bb.1212:                             ;   in Loop: Header=BB6_124 Depth=2
	v_cmp_ne_u32_e32 vcc, s75, v2
	v_bfrev_b32_e32 v4, 1
	s_and_saveexec_b64 s[62:63], vcc
	s_cbranch_execz .LBB6_1216
; %bb.1213:                             ;   in Loop: Header=BB6_124 Depth=2
	v_bfe_u32 v5, v12, 24, 7
	v_cmp_ne_u32_e32 vcc, s76, v5
	v_mov_b32_e32 v4, 0x7f800001
	s_and_saveexec_b64 s[64:65], vcc
	s_cbranch_execz .LBB6_1215
; %bb.1214:                             ;   in Loop: Header=BB6_124 Depth=2
	v_and_b32_e32 v4, 7, v2
	v_ffbh_u32_e32 v6, v4
	v_min_u32_e32 v9, 32, v6
	v_subrev_u32_e32 v6, 28, v9
	v_lshlrev_b64 v[6:7], v6, v[2:3]
	v_lshrrev_b32_e32 v8, 3, v5
	v_sub_u32_e32 v7, 29, v9
	v_and_b32_e32 v6, 7, v6
	v_cmp_gt_u32_e32 vcc, 8, v5
	v_cndmask_b32_e32 v5, v8, v7, vcc
	v_cndmask_b32_e32 v4, v4, v6, vcc
	v_lshlrev_b32_e32 v6, 24, v2
	v_lshlrev_b32_e32 v4, 20, v4
	v_and_b32_e32 v6, 0x80000000, v6
	v_lshl_add_u32 v5, v5, 23, v26
	v_or3_b32 v4, v6, v5, v4
.LBB6_1215:                             ;   in Loop: Header=BB6_124 Depth=2
	s_or_b64 exec, exec, s[64:65]
.LBB6_1216:                             ;   in Loop: Header=BB6_124 Depth=2
	s_or_b64 exec, exec, s[62:63]
.LBB6_1217:                             ;   in Loop: Header=BB6_124 Depth=2
	s_or_b64 exec, exec, s[60:61]
	v_max_f32_e32 v4, v4, v4
	v_max_f32_e32 v3, v3, v3
	;; [unrolled: 1-line block ×3, first 2 shown]
	s_branch .LBB6_1232
.LBB6_1218:                             ;   in Loop: Header=BB6_124 Depth=2
                                        ; implicit-def: $vgpr3
	s_cbranch_execz .LBB6_1232
; %bb.1219:                             ;   in Loop: Header=BB6_124 Depth=2
	v_mov_b32_e32 v4, 0
	v_mov_b32_e32 v3, 0
	s_and_saveexec_b64 s[60:61], s[24:25]
	s_cbranch_execz .LBB6_1225
; %bb.1220:                             ;   in Loop: Header=BB6_124 Depth=2
	v_cmp_ne_u32_e32 vcc, s75, v10
	v_bfrev_b32_e32 v3, 1
	s_and_saveexec_b64 s[24:25], vcc
	s_cbranch_execz .LBB6_1224
; %bb.1221:                             ;   in Loop: Header=BB6_124 Depth=2
	v_bfe_u32 v5, v16, 24, 7
	v_cmp_ne_u32_e32 vcc, s76, v5
	v_mov_b32_e32 v3, 0x7f800001
	s_and_saveexec_b64 s[62:63], vcc
	s_cbranch_execz .LBB6_1223
; %bb.1222:                             ;   in Loop: Header=BB6_124 Depth=2
	v_and_b32_e32 v3, 7, v10
	v_ffbh_u32_e32 v6, v3
	v_min_u32_e32 v9, 32, v6
	v_subrev_u32_e32 v6, 28, v9
	v_lshlrev_b64 v[6:7], v6, v[10:11]
	v_lshrrev_b32_e32 v8, 3, v5
	v_sub_u32_e32 v7, 29, v9
	v_and_b32_e32 v6, 7, v6
	v_cmp_gt_u32_e32 vcc, 8, v5
	v_cndmask_b32_e32 v5, v8, v7, vcc
	v_cndmask_b32_e32 v3, v3, v6, vcc
	v_lshlrev_b32_e32 v6, 24, v10
	v_lshlrev_b32_e32 v3, 20, v3
	v_and_b32_e32 v6, 0x80000000, v6
	v_lshl_add_u32 v5, v5, 23, v26
	v_or3_b32 v3, v6, v5, v3
.LBB6_1223:                             ;   in Loop: Header=BB6_124 Depth=2
	s_or_b64 exec, exec, s[62:63]
.LBB6_1224:                             ;   in Loop: Header=BB6_124 Depth=2
	s_or_b64 exec, exec, s[24:25]
.LBB6_1225:                             ;   in Loop: Header=BB6_124 Depth=2
	s_or_b64 exec, exec, s[60:61]
	v_cmp_lt_u32_e32 vcc, s49, v12
	s_and_saveexec_b64 s[24:25], vcc
	s_cbranch_execz .LBB6_1231
; %bb.1226:                             ;   in Loop: Header=BB6_124 Depth=2
	v_cmp_ne_u32_e32 vcc, s75, v2
	v_bfrev_b32_e32 v4, 1
	s_and_saveexec_b64 s[60:61], vcc
	s_cbranch_execz .LBB6_1230
; %bb.1227:                             ;   in Loop: Header=BB6_124 Depth=2
	v_bfe_u32 v5, v12, 24, 7
	v_cmp_ne_u32_e32 vcc, s76, v5
	v_mov_b32_e32 v4, 0x7f800001
	s_and_saveexec_b64 s[62:63], vcc
	s_cbranch_execz .LBB6_1229
; %bb.1228:                             ;   in Loop: Header=BB6_124 Depth=2
	v_and_b32_e32 v4, 7, v2
	v_ffbh_u32_e32 v6, v4
	v_min_u32_e32 v9, 32, v6
	v_subrev_u32_e32 v6, 28, v9
	v_lshlrev_b64 v[6:7], v6, v[2:3]
	v_lshrrev_b32_e32 v8, 3, v5
	v_sub_u32_e32 v7, 29, v9
	v_and_b32_e32 v6, 7, v6
	v_cmp_gt_u32_e32 vcc, 8, v5
	v_cndmask_b32_e32 v5, v8, v7, vcc
	v_cndmask_b32_e32 v4, v4, v6, vcc
	v_lshlrev_b32_e32 v2, 24, v2
	v_lshlrev_b32_e32 v4, 20, v4
	v_and_b32_e32 v2, 0x80000000, v2
	v_lshl_add_u32 v5, v5, 23, v26
	v_or3_b32 v4, v2, v5, v4
.LBB6_1229:                             ;   in Loop: Header=BB6_124 Depth=2
	s_or_b64 exec, exec, s[62:63]
.LBB6_1230:                             ;   in Loop: Header=BB6_124 Depth=2
	s_or_b64 exec, exec, s[60:61]
.LBB6_1231:                             ;   in Loop: Header=BB6_124 Depth=2
	s_or_b64 exec, exec, s[24:25]
	v_max_f32_e32 v2, v4, v4
	v_max_f32_e32 v3, v3, v3
	v_min_f32_e32 v3, v3, v2
.LBB6_1232:                             ;   in Loop: Header=BB6_124 Depth=2
	v_and_b32_sdwa v5, v3, s75 dst_sel:DWORD dst_unused:UNUSED_PAD src0_sel:BYTE_3 src1_sel:DWORD
	v_and_b32_e32 v6, 0x7f800000, v3
	v_mov_b32_e32 v7, v55
	v_and_b32_e32 v54, 0x7fffff, v3
	v_or_b32_e32 v4, 0x7e, v5
	v_cmp_ne_u64_e32 vcc, s[44:45], v[6:7]
	s_and_saveexec_b64 s[24:25], vcc
	s_xor_b64 s[60:61], exec, s[24:25]
	s_cbranch_execz .LBB6_1242
; %bb.1233:                             ;   in Loop: Header=BB6_124 Depth=2
	v_and_b32_e32 v6, 0x7fffffff, v3
	v_mov_b32_e32 v7, v55
	v_cmp_gt_u64_e32 vcc, s[46:47], v[6:7]
	s_and_saveexec_b64 s[62:63], vcc
	s_cbranch_execz .LBB6_1241
; %bb.1234:                             ;   in Loop: Header=BB6_124 Depth=2
	v_cmp_ne_u32_e32 vcc, 0, v3
	v_mov_b32_e32 v4, 0
	s_and_saveexec_b64 s[64:65], vcc
	s_cbranch_execz .LBB6_1240
; %bb.1235:                             ;   in Loop: Header=BB6_124 Depth=2
	v_bfe_u32 v2, v3, 23, 8
	v_sub_u32_e32 v4, 0x79, v2
	v_cmp_gt_u32_e32 vcc, s78, v2
	v_cndmask_b32_e32 v4, 0, v4, vcc
	v_cmp_eq_u32_e32 vcc, 0, v2
	v_or_b32_e32 v6, 0x800000, v54
	v_cndmask_b32_e32 v4, v4, v32, vcc
	v_add_u32_e32 v3, 0xffffff81, v2
	v_cndmask_b32_e32 v54, v6, v54, vcc
	v_add_u32_e32 v2, 20, v4
	v_cndmask_b32_e32 v10, v3, v33, vcc
	v_lshlrev_b64 v[2:3], v2, -1
	v_lshrrev_b64 v[8:9], v4, v[54:55]
	v_not_b32_e32 v3, v3
	v_not_b32_e32 v2, v2
	v_add_u32_e32 v6, 19, v4
	v_lshrrev_b32_e32 v11, 23, v8
	v_and_b32_e32 v3, 0, v3
	v_and_b32_e32 v2, v54, v2
	v_lshlrev_b64 v[6:7], v6, 1
	v_add3_u32 v11, v4, v10, v11
	v_bfe_u32 v4, v8, 20, 1
	v_add_u32_e32 v4, -1, v4
	v_cmp_eq_u64_e32 vcc, v[2:3], v[6:7]
	v_cndmask_b32_e32 v2, 0, v4, vcc
	v_add_u32_e32 v2, v2, v8
	v_and_b32_e32 v2, 0xfffff, v2
	v_add_co_u32_e32 v2, vcc, v2, v8
	v_add_u32_e32 v10, 6, v11
	v_addc_co_u32_e32 v3, vcc, 0, v9, vcc
	v_cmp_ne_u32_e32 vcc, 0, v10
                                        ; implicit-def: $vgpr4
	s_and_saveexec_b64 s[24:25], vcc
	s_xor_b64 s[24:25], exec, s[24:25]
; %bb.1236:                             ;   in Loop: Header=BB6_124 Depth=2
	v_cmp_lt_u64_e32 vcc, s[50:51], v[2:3]
	v_add_u32_e32 v4, 7, v11
	v_cndmask_b32_e64 v6, 0, 1, vcc
	v_cndmask_b32_e32 v4, v10, v4, vcc
	v_lshrrev_b64 v[2:3], v6, v[2:3]
; %bb.1237:                             ;   in Loop: Header=BB6_124 Depth=2
	s_andn2_saveexec_b64 s[24:25], s[24:25]
; %bb.1238:                             ;   in Loop: Header=BB6_124 Depth=2
	v_bfe_u32 v4, v2, 23, 1
; %bb.1239:                             ;   in Loop: Header=BB6_124 Depth=2
	s_or_b64 exec, exec, s[24:25]
	v_lshrrev_b64 v[2:3], 20, v[2:3]
	v_cmp_gt_i32_e32 vcc, 16, v4
	v_cndmask_b32_e32 v3, 0, v3, vcc
	v_cndmask_b32_e32 v2, 7, v2, vcc
	v_cmp_eq_u64_e64 s[24:25], 0, v[2:3]
	v_min_i32_e32 v3, 15, v4
	v_cmp_eq_u32_e32 vcc, 0, v4
	v_lshlrev_b32_e32 v3, 3, v3
	v_and_or_b32 v2, v2, 7, v3
	s_and_b64 s[24:25], vcc, s[24:25]
	v_cndmask_b32_e64 v2, v2, 0, s[24:25]
	v_or_b32_e32 v4, v2, v5
.LBB6_1240:                             ;   in Loop: Header=BB6_124 Depth=2
	s_or_b64 exec, exec, s[64:65]
.LBB6_1241:                             ;   in Loop: Header=BB6_124 Depth=2
	s_or_b64 exec, exec, s[62:63]
                                        ; implicit-def: $vgpr3
.LBB6_1242:                             ;   in Loop: Header=BB6_124 Depth=2
	s_andn2_saveexec_b64 s[24:25], s[60:61]
; %bb.1243:                             ;   in Loop: Header=BB6_124 Depth=2
	v_or_b32_sdwa v2, v3, s76 dst_sel:DWORD dst_unused:UNUSED_PAD src0_sel:BYTE_3 src1_sel:DWORD
	v_cmp_eq_u64_e32 vcc, 0, v[54:55]
	v_cndmask_b32_e32 v4, v2, v4, vcc
; %bb.1244:                             ;   in Loop: Header=BB6_124 Depth=2
	s_or_b64 exec, exec, s[24:25]
	v_mov_b32_e32 v54, v17
	v_mov_b32_e32 v2, v13
	;; [unrolled: 1-line block ×3, first 2 shown]
	s_and_b64 vcc, exec, s[22:23]
	v_cmp_ne_u16_sdwa s[24:25], v17, v55 src0_sel:BYTE_0 src1_sel:DWORD
	s_cbranch_vccnz .LBB6_1258
; %bb.1245:                             ;   in Loop: Header=BB6_124 Depth=2
	v_mov_b32_e32 v10, 0
	v_mov_b32_e32 v5, 0
	s_and_saveexec_b64 s[60:61], s[24:25]
	s_cbranch_execz .LBB6_1251
; %bb.1246:                             ;   in Loop: Header=BB6_124 Depth=2
	v_cmp_ne_u16_sdwa vcc, v17, s75 src0_sel:BYTE_0 src1_sel:DWORD
	v_bfrev_b32_e32 v5, 1
	s_and_saveexec_b64 s[62:63], vcc
	s_cbranch_execz .LBB6_1250
; %bb.1247:                             ;   in Loop: Header=BB6_124 Depth=2
	v_and_b32_e32 v11, 0x7f, v17
	v_cmp_ne_u32_e32 vcc, s76, v11
	v_mov_b32_e32 v5, 0x7f800001
	s_and_saveexec_b64 s[64:65], vcc
	s_cbranch_execz .LBB6_1249
; %bb.1248:                             ;   in Loop: Header=BB6_124 Depth=2
	v_and_b32_e32 v5, 7, v17
	v_ffbh_u32_e32 v5, v5
	v_min_u32_e32 v5, 32, v5
	v_lshrrev_b32_e32 v6, 3, v11
	v_subrev_u32_e32 v7, 28, v5
	v_sub_u32_e32 v5, 29, v5
	v_cmp_gt_u32_e32 vcc, 8, v11
	v_cndmask_b32_e32 v5, v6, v5, vcc
	v_cndmask_b32_e32 v6, 0, v7, vcc
	v_lshlrev_b64 v[6:7], v6, v[54:55]
	v_lshlrev_b32_e32 v6, 20, v6
	v_lshlrev_b32_e32 v7, 24, v54
	v_and_b32_e32 v6, 0x700000, v6
	v_and_b32_e32 v7, 0x80000000, v7
	v_lshl_add_u32 v5, v5, 23, v26
	v_or3_b32 v5, v7, v5, v6
.LBB6_1249:                             ;   in Loop: Header=BB6_124 Depth=2
	s_or_b64 exec, exec, s[64:65]
.LBB6_1250:                             ;   in Loop: Header=BB6_124 Depth=2
	s_or_b64 exec, exec, s[62:63]
.LBB6_1251:                             ;   in Loop: Header=BB6_124 Depth=2
	s_or_b64 exec, exec, s[60:61]
	v_cmp_ne_u16_sdwa vcc, v13, v55 src0_sel:BYTE_0 src1_sel:DWORD
	s_and_saveexec_b64 s[60:61], vcc
	s_cbranch_execz .LBB6_1257
; %bb.1252:                             ;   in Loop: Header=BB6_124 Depth=2
	v_cmp_ne_u16_sdwa vcc, v13, s75 src0_sel:BYTE_0 src1_sel:DWORD
	v_bfrev_b32_e32 v10, 1
	s_and_saveexec_b64 s[62:63], vcc
	s_cbranch_execz .LBB6_1256
; %bb.1253:                             ;   in Loop: Header=BB6_124 Depth=2
	v_and_b32_e32 v11, 0x7f, v13
	v_cmp_ne_u32_e32 vcc, s76, v11
	v_mov_b32_e32 v10, 0x7f800001
	s_and_saveexec_b64 s[64:65], vcc
	s_cbranch_execz .LBB6_1255
; %bb.1254:                             ;   in Loop: Header=BB6_124 Depth=2
	v_and_b32_e32 v6, 7, v13
	v_ffbh_u32_e32 v6, v6
	v_min_u32_e32 v6, 32, v6
	v_lshrrev_b32_e32 v7, 3, v11
	v_subrev_u32_e32 v8, 28, v6
	v_sub_u32_e32 v6, 29, v6
	v_cmp_gt_u32_e32 vcc, 8, v11
	v_cndmask_b32_e32 v9, v7, v6, vcc
	v_cndmask_b32_e32 v6, 0, v8, vcc
	v_lshlrev_b64 v[6:7], v6, v[2:3]
	v_lshlrev_b32_e32 v6, 20, v6
	v_lshlrev_b32_e32 v7, 24, v2
	v_and_b32_e32 v6, 0x700000, v6
	v_and_b32_e32 v7, 0x80000000, v7
	v_lshl_add_u32 v8, v9, 23, v26
	v_or3_b32 v10, v7, v8, v6
.LBB6_1255:                             ;   in Loop: Header=BB6_124 Depth=2
	s_or_b64 exec, exec, s[64:65]
.LBB6_1256:                             ;   in Loop: Header=BB6_124 Depth=2
	s_or_b64 exec, exec, s[62:63]
.LBB6_1257:                             ;   in Loop: Header=BB6_124 Depth=2
	s_or_b64 exec, exec, s[60:61]
	v_max_f32_e32 v6, v10, v10
	v_max_f32_e32 v5, v5, v5
	;; [unrolled: 1-line block ×3, first 2 shown]
	s_branch .LBB6_1272
.LBB6_1258:                             ;   in Loop: Header=BB6_124 Depth=2
                                        ; implicit-def: $vgpr14
	s_cbranch_execz .LBB6_1272
; %bb.1259:                             ;   in Loop: Header=BB6_124 Depth=2
	v_mov_b32_e32 v10, 0
	v_mov_b32_e32 v5, 0
	s_and_saveexec_b64 s[60:61], s[24:25]
	s_cbranch_execz .LBB6_1265
; %bb.1260:                             ;   in Loop: Header=BB6_124 Depth=2
	v_cmp_ne_u16_sdwa vcc, v17, s75 src0_sel:BYTE_0 src1_sel:DWORD
	v_bfrev_b32_e32 v5, 1
	s_and_saveexec_b64 s[24:25], vcc
	s_cbranch_execz .LBB6_1264
; %bb.1261:                             ;   in Loop: Header=BB6_124 Depth=2
	v_and_b32_e32 v11, 0x7f, v17
	v_cmp_ne_u32_e32 vcc, s76, v11
	v_mov_b32_e32 v5, 0x7f800001
	s_and_saveexec_b64 s[62:63], vcc
	s_cbranch_execz .LBB6_1263
; %bb.1262:                             ;   in Loop: Header=BB6_124 Depth=2
	v_and_b32_e32 v5, 7, v17
	v_ffbh_u32_e32 v5, v5
	v_min_u32_e32 v5, 32, v5
	v_lshrrev_b32_e32 v6, 3, v11
	v_subrev_u32_e32 v7, 28, v5
	v_sub_u32_e32 v5, 29, v5
	v_cmp_gt_u32_e32 vcc, 8, v11
	v_cndmask_b32_e32 v5, v6, v5, vcc
	v_cndmask_b32_e32 v6, 0, v7, vcc
	v_lshlrev_b64 v[6:7], v6, v[54:55]
	v_lshlrev_b32_e32 v6, 20, v6
	v_lshlrev_b32_e32 v7, 24, v54
	v_and_b32_e32 v6, 0x700000, v6
	v_and_b32_e32 v7, 0x80000000, v7
	v_lshl_add_u32 v5, v5, 23, v26
	v_or3_b32 v5, v7, v5, v6
.LBB6_1263:                             ;   in Loop: Header=BB6_124 Depth=2
	s_or_b64 exec, exec, s[62:63]
.LBB6_1264:                             ;   in Loop: Header=BB6_124 Depth=2
	s_or_b64 exec, exec, s[24:25]
.LBB6_1265:                             ;   in Loop: Header=BB6_124 Depth=2
	s_or_b64 exec, exec, s[60:61]
	v_cmp_ne_u16_sdwa vcc, v13, v55 src0_sel:BYTE_0 src1_sel:DWORD
	s_and_saveexec_b64 s[24:25], vcc
	s_cbranch_execz .LBB6_1271
; %bb.1266:                             ;   in Loop: Header=BB6_124 Depth=2
	v_cmp_ne_u16_sdwa vcc, v13, s75 src0_sel:BYTE_0 src1_sel:DWORD
	v_bfrev_b32_e32 v10, 1
	s_and_saveexec_b64 s[60:61], vcc
	s_cbranch_execz .LBB6_1270
; %bb.1267:                             ;   in Loop: Header=BB6_124 Depth=2
	v_and_b32_e32 v11, 0x7f, v13
	v_cmp_ne_u32_e32 vcc, s76, v11
	v_mov_b32_e32 v10, 0x7f800001
	s_and_saveexec_b64 s[62:63], vcc
	s_cbranch_execz .LBB6_1269
; %bb.1268:                             ;   in Loop: Header=BB6_124 Depth=2
	v_and_b32_e32 v6, 7, v13
	v_ffbh_u32_e32 v6, v6
	v_min_u32_e32 v6, 32, v6
	v_lshrrev_b32_e32 v7, 3, v11
	v_subrev_u32_e32 v8, 28, v6
	v_sub_u32_e32 v6, 29, v6
	v_cmp_gt_u32_e32 vcc, 8, v11
	v_cndmask_b32_e32 v9, v7, v6, vcc
	v_cndmask_b32_e32 v6, 0, v8, vcc
	v_lshlrev_b64 v[6:7], v6, v[2:3]
	v_lshlrev_b32_e32 v3, 20, v6
	v_lshlrev_b32_e32 v6, 24, v2
	v_and_b32_e32 v3, 0x700000, v3
	v_and_b32_e32 v6, 0x80000000, v6
	v_lshl_add_u32 v7, v9, 23, v26
	v_or3_b32 v10, v6, v7, v3
.LBB6_1269:                             ;   in Loop: Header=BB6_124 Depth=2
	s_or_b64 exec, exec, s[62:63]
.LBB6_1270:                             ;   in Loop: Header=BB6_124 Depth=2
	s_or_b64 exec, exec, s[60:61]
.LBB6_1271:                             ;   in Loop: Header=BB6_124 Depth=2
	s_or_b64 exec, exec, s[24:25]
	v_max_f32_e32 v3, v10, v10
	v_max_f32_e32 v5, v5, v5
	v_min_f32_e32 v14, v5, v3
.LBB6_1272:                             ;   in Loop: Header=BB6_124 Depth=2
	v_and_b32_sdwa v3, v14, s75 dst_sel:DWORD dst_unused:UNUSED_PAD src0_sel:BYTE_3 src1_sel:DWORD
	v_and_b32_e32 v6, 0x7f800000, v14
	v_mov_b32_e32 v7, v55
	v_and_b32_e32 v10, 0x7fffff, v14
	v_mov_b32_e32 v11, v55
	v_or_b32_e32 v5, 0x7e, v3
	v_cmp_ne_u64_e32 vcc, s[44:45], v[6:7]
	s_and_saveexec_b64 s[24:25], vcc
	s_xor_b64 s[60:61], exec, s[24:25]
	s_cbranch_execz .LBB6_1282
; %bb.1273:                             ;   in Loop: Header=BB6_124 Depth=2
	v_and_b32_e32 v6, 0x7fffffff, v14
	v_mov_b32_e32 v7, v55
	v_cmp_gt_u64_e32 vcc, s[46:47], v[6:7]
	s_and_saveexec_b64 s[62:63], vcc
	s_cbranch_execz .LBB6_1281
; %bb.1274:                             ;   in Loop: Header=BB6_124 Depth=2
	v_cmp_ne_u32_e32 vcc, 0, v14
	v_mov_b32_e32 v5, 0
	s_and_saveexec_b64 s[64:65], vcc
	s_cbranch_execz .LBB6_1280
; %bb.1275:                             ;   in Loop: Header=BB6_124 Depth=2
	v_bfe_u32 v5, v14, 23, 8
	v_sub_u32_e32 v7, 0x79, v5
	v_cmp_gt_u32_e32 vcc, s78, v5
	v_cndmask_b32_e32 v7, 0, v7, vcc
	v_cmp_eq_u32_e32 vcc, 0, v5
	v_add_u32_e32 v6, 0xffffff81, v5
	v_cndmask_b32_e32 v14, v7, v32, vcc
	v_cndmask_b32_e32 v5, v6, v33, vcc
	v_add_u32_e32 v6, 20, v14
	v_or_b32_e32 v8, 0x800000, v10
	v_lshlrev_b64 v[6:7], v6, -1
	v_cndmask_b32_e32 v10, v8, v10, vcc
	v_not_b32_e32 v6, v6
	v_and_b32_e32 v6, v10, v6
	v_lshrrev_b64 v[10:11], v14, v[10:11]
	v_not_b32_e32 v7, v7
	v_add_u32_e32 v8, 19, v14
	v_lshrrev_b32_e32 v32, 23, v10
	v_and_b32_e32 v7, 0, v7
	v_lshlrev_b64 v[8:9], v8, 1
	v_add3_u32 v38, v14, v5, v32
	v_bfe_u32 v5, v10, 20, 1
	v_add_u32_e32 v5, -1, v5
	v_cmp_eq_u64_e32 vcc, v[6:7], v[8:9]
	v_cndmask_b32_e32 v5, 0, v5, vcc
	v_add_u32_e32 v5, v5, v10
	v_and_b32_e32 v5, 0xfffff, v5
	v_add_co_u32_e32 v10, vcc, v5, v10
	v_add_u32_e32 v14, 6, v38
	v_addc_co_u32_e32 v11, vcc, 0, v11, vcc
	v_cmp_ne_u32_e32 vcc, 0, v14
                                        ; implicit-def: $vgpr5
	s_and_saveexec_b64 s[24:25], vcc
	s_xor_b64 s[24:25], exec, s[24:25]
; %bb.1276:                             ;   in Loop: Header=BB6_124 Depth=2
	v_cmp_lt_u64_e32 vcc, s[50:51], v[10:11]
	v_add_u32_e32 v5, 7, v38
	v_cndmask_b32_e64 v6, 0, 1, vcc
	v_cndmask_b32_e32 v5, v14, v5, vcc
	v_lshrrev_b64 v[10:11], v6, v[10:11]
; %bb.1277:                             ;   in Loop: Header=BB6_124 Depth=2
	s_andn2_saveexec_b64 s[24:25], s[24:25]
; %bb.1278:                             ;   in Loop: Header=BB6_124 Depth=2
	v_bfe_u32 v5, v10, 23, 1
; %bb.1279:                             ;   in Loop: Header=BB6_124 Depth=2
	s_or_b64 exec, exec, s[24:25]
	v_lshrrev_b64 v[6:7], 20, v[10:11]
	v_cmp_gt_i32_e32 vcc, 16, v5
	v_cndmask_b32_e32 v7, 0, v7, vcc
	v_cndmask_b32_e32 v6, 7, v6, vcc
	v_cmp_eq_u32_e32 vcc, 0, v5
	v_min_i32_e32 v5, 15, v5
	v_cmp_eq_u64_e64 s[24:25], 0, v[6:7]
	v_lshlrev_b32_e32 v5, 3, v5
	v_and_or_b32 v5, v6, 7, v5
	s_and_b64 s[24:25], vcc, s[24:25]
	v_cndmask_b32_e64 v5, v5, 0, s[24:25]
	v_or_b32_e32 v5, v5, v3
	v_mov_b32_e32 v32, 0x78
.LBB6_1280:                             ;   in Loop: Header=BB6_124 Depth=2
	s_or_b64 exec, exec, s[64:65]
.LBB6_1281:                             ;   in Loop: Header=BB6_124 Depth=2
	s_or_b64 exec, exec, s[62:63]
                                        ; implicit-def: $vgpr14
                                        ; implicit-def: $vgpr10_vgpr11
.LBB6_1282:                             ;   in Loop: Header=BB6_124 Depth=2
	s_andn2_saveexec_b64 s[24:25], s[60:61]
; %bb.1283:                             ;   in Loop: Header=BB6_124 Depth=2
	v_or_b32_sdwa v3, v14, s76 dst_sel:DWORD dst_unused:UNUSED_PAD src0_sel:BYTE_3 src1_sel:DWORD
	v_cmp_eq_u64_e32 vcc, 0, v[10:11]
	v_cndmask_b32_e32 v5, v3, v5, vcc
; %bb.1284:                             ;   in Loop: Header=BB6_124 Depth=2
	s_or_b64 exec, exec, s[24:25]
	v_lshrrev_b16_e32 v14, 8, v54
	v_lshrrev_b16_e32 v10, 8, v2
	s_and_b64 vcc, exec, s[22:23]
	v_cmp_ne_u16_e64 s[24:25], 0, v14
	s_cbranch_vccnz .LBB6_1298
; %bb.1285:                             ;   in Loop: Header=BB6_124 Depth=2
	v_mov_b32_e32 v11, 0
	v_mov_b32_e32 v3, 0
	s_and_saveexec_b64 s[60:61], s[24:25]
	s_cbranch_execz .LBB6_1291
; %bb.1286:                             ;   in Loop: Header=BB6_124 Depth=2
	v_cmp_ne_u16_e32 vcc, s75, v14
	v_bfrev_b32_e32 v3, 1
	s_and_saveexec_b64 s[62:63], vcc
	s_cbranch_execz .LBB6_1290
; %bb.1287:                             ;   in Loop: Header=BB6_124 Depth=2
	v_and_b32_e32 v38, 0x7f, v14
	v_cmp_ne_u32_e32 vcc, s76, v38
	v_mov_b32_e32 v3, 0x7f800001
	s_and_saveexec_b64 s[64:65], vcc
	s_cbranch_execz .LBB6_1289
; %bb.1288:                             ;   in Loop: Header=BB6_124 Depth=2
	v_and_b32_e32 v3, 7, v14
	v_ffbh_u32_e32 v6, v3
	v_min_u32_e32 v9, 32, v6
	v_subrev_u32_e32 v6, 28, v9
	v_lshlrev_b64 v[6:7], v6, v[14:15]
	v_lshrrev_b32_e32 v8, 3, v38
	v_sub_u32_e32 v7, 29, v9
	v_and_b32_e32 v6, 7, v6
	v_cmp_gt_u32_e32 vcc, 8, v38
	v_cndmask_b32_e32 v7, v8, v7, vcc
	v_cndmask_b32_e32 v3, v3, v6, vcc
	v_lshlrev_b32_e32 v6, 16, v54
	v_lshlrev_b32_e32 v3, 20, v3
	v_and_b32_e32 v6, 0x80000000, v6
	v_lshl_add_u32 v7, v7, 23, v26
	v_or3_b32 v3, v6, v7, v3
.LBB6_1289:                             ;   in Loop: Header=BB6_124 Depth=2
	s_or_b64 exec, exec, s[64:65]
.LBB6_1290:                             ;   in Loop: Header=BB6_124 Depth=2
	s_or_b64 exec, exec, s[62:63]
.LBB6_1291:                             ;   in Loop: Header=BB6_124 Depth=2
	s_or_b64 exec, exec, s[60:61]
	v_cmp_ne_u16_e32 vcc, 0, v10
	s_and_saveexec_b64 s[60:61], vcc
	s_cbranch_execz .LBB6_1297
; %bb.1292:                             ;   in Loop: Header=BB6_124 Depth=2
	v_cmp_ne_u16_e32 vcc, s75, v10
	v_bfrev_b32_e32 v11, 1
	s_and_saveexec_b64 s[62:63], vcc
	s_cbranch_execz .LBB6_1296
; %bb.1293:                             ;   in Loop: Header=BB6_124 Depth=2
	v_and_b32_e32 v38, 0x7f, v10
	v_cmp_ne_u32_e32 vcc, s76, v38
	v_mov_b32_e32 v11, 0x7f800001
	s_and_saveexec_b64 s[64:65], vcc
	s_cbranch_execz .LBB6_1295
; %bb.1294:                             ;   in Loop: Header=BB6_124 Depth=2
	v_and_b32_e32 v8, 7, v10
	v_ffbh_u32_e32 v6, v8
	v_min_u32_e32 v11, 32, v6
	v_subrev_u32_e32 v6, 28, v11
	v_lshlrev_b64 v[6:7], v6, v[10:11]
	v_lshrrev_b32_e32 v9, 3, v38
	v_sub_u32_e32 v7, 29, v11
	v_and_b32_e32 v6, 7, v6
	v_cmp_gt_u32_e32 vcc, 8, v38
	v_cndmask_b32_e32 v7, v9, v7, vcc
	v_cndmask_b32_e32 v6, v8, v6, vcc
	v_lshlrev_b32_e32 v8, 16, v2
	v_lshlrev_b32_e32 v6, 20, v6
	v_and_b32_e32 v8, 0x80000000, v8
	v_lshl_add_u32 v7, v7, 23, v26
	v_or3_b32 v11, v8, v7, v6
.LBB6_1295:                             ;   in Loop: Header=BB6_124 Depth=2
	s_or_b64 exec, exec, s[64:65]
.LBB6_1296:                             ;   in Loop: Header=BB6_124 Depth=2
	s_or_b64 exec, exec, s[62:63]
.LBB6_1297:                             ;   in Loop: Header=BB6_124 Depth=2
	s_or_b64 exec, exec, s[60:61]
	v_max_f32_e32 v6, v11, v11
	v_max_f32_e32 v3, v3, v3
	;; [unrolled: 1-line block ×3, first 2 shown]
	s_branch .LBB6_1312
.LBB6_1298:                             ;   in Loop: Header=BB6_124 Depth=2
                                        ; implicit-def: $vgpr3
	s_cbranch_execz .LBB6_1312
; %bb.1299:                             ;   in Loop: Header=BB6_124 Depth=2
	v_mov_b32_e32 v11, 0
	v_mov_b32_e32 v3, 0
	s_and_saveexec_b64 s[60:61], s[24:25]
	s_cbranch_execz .LBB6_1305
; %bb.1300:                             ;   in Loop: Header=BB6_124 Depth=2
	v_cmp_ne_u16_e32 vcc, s75, v14
	v_bfrev_b32_e32 v3, 1
	s_and_saveexec_b64 s[24:25], vcc
	s_cbranch_execz .LBB6_1304
; %bb.1301:                             ;   in Loop: Header=BB6_124 Depth=2
	v_and_b32_e32 v38, 0x7f, v14
	v_cmp_ne_u32_e32 vcc, s76, v38
	v_mov_b32_e32 v3, 0x7f800001
	s_and_saveexec_b64 s[62:63], vcc
	s_cbranch_execz .LBB6_1303
; %bb.1302:                             ;   in Loop: Header=BB6_124 Depth=2
	v_and_b32_e32 v3, 7, v14
	v_ffbh_u32_e32 v6, v3
	v_min_u32_e32 v9, 32, v6
	v_subrev_u32_e32 v6, 28, v9
	v_lshlrev_b64 v[6:7], v6, v[14:15]
	v_lshrrev_b32_e32 v8, 3, v38
	v_sub_u32_e32 v7, 29, v9
	v_and_b32_e32 v6, 7, v6
	v_cmp_gt_u32_e32 vcc, 8, v38
	v_cndmask_b32_e32 v7, v8, v7, vcc
	v_cndmask_b32_e32 v3, v3, v6, vcc
	v_lshlrev_b32_e32 v6, 16, v54
	v_lshlrev_b32_e32 v3, 20, v3
	v_and_b32_e32 v6, 0x80000000, v6
	v_lshl_add_u32 v7, v7, 23, v26
	v_or3_b32 v3, v6, v7, v3
.LBB6_1303:                             ;   in Loop: Header=BB6_124 Depth=2
	s_or_b64 exec, exec, s[62:63]
.LBB6_1304:                             ;   in Loop: Header=BB6_124 Depth=2
	s_or_b64 exec, exec, s[24:25]
.LBB6_1305:                             ;   in Loop: Header=BB6_124 Depth=2
	s_or_b64 exec, exec, s[60:61]
	v_cmp_ne_u16_e32 vcc, 0, v10
	s_and_saveexec_b64 s[24:25], vcc
	s_cbranch_execz .LBB6_1311
; %bb.1306:                             ;   in Loop: Header=BB6_124 Depth=2
	v_cmp_ne_u16_e32 vcc, s75, v10
	v_bfrev_b32_e32 v11, 1
	s_and_saveexec_b64 s[60:61], vcc
	s_cbranch_execz .LBB6_1310
; %bb.1307:                             ;   in Loop: Header=BB6_124 Depth=2
	v_and_b32_e32 v14, 0x7f, v10
	v_cmp_ne_u32_e32 vcc, s76, v14
	v_mov_b32_e32 v11, 0x7f800001
	s_and_saveexec_b64 s[62:63], vcc
	s_cbranch_execz .LBB6_1309
; %bb.1308:                             ;   in Loop: Header=BB6_124 Depth=2
	v_and_b32_e32 v8, 7, v10
	v_ffbh_u32_e32 v6, v8
	v_min_u32_e32 v11, 32, v6
	v_subrev_u32_e32 v6, 28, v11
	v_lshlrev_b64 v[6:7], v6, v[10:11]
	v_lshrrev_b32_e32 v9, 3, v14
	v_sub_u32_e32 v7, 29, v11
	v_and_b32_e32 v6, 7, v6
	v_cmp_gt_u32_e32 vcc, 8, v14
	v_cndmask_b32_e32 v7, v9, v7, vcc
	v_cndmask_b32_e32 v6, v8, v6, vcc
	v_lshlrev_b32_e32 v2, 16, v2
	v_lshlrev_b32_e32 v6, 20, v6
	v_and_b32_e32 v2, 0x80000000, v2
	v_lshl_add_u32 v7, v7, 23, v26
	v_or3_b32 v11, v2, v7, v6
.LBB6_1309:                             ;   in Loop: Header=BB6_124 Depth=2
	s_or_b64 exec, exec, s[62:63]
.LBB6_1310:                             ;   in Loop: Header=BB6_124 Depth=2
	s_or_b64 exec, exec, s[60:61]
.LBB6_1311:                             ;   in Loop: Header=BB6_124 Depth=2
	s_or_b64 exec, exec, s[24:25]
	v_max_f32_e32 v2, v11, v11
	v_max_f32_e32 v3, v3, v3
	v_min_f32_e32 v3, v3, v2
.LBB6_1312:                             ;   in Loop: Header=BB6_124 Depth=2
	v_and_b32_sdwa v10, v3, s75 dst_sel:DWORD dst_unused:UNUSED_PAD src0_sel:BYTE_3 src1_sel:DWORD
	v_and_b32_e32 v6, 0x7f800000, v3
	v_mov_b32_e32 v7, v55
	v_and_b32_e32 v54, 0x7fffff, v3
	v_or_b32_e32 v11, 0x7e, v10
	v_cmp_ne_u64_e32 vcc, s[44:45], v[6:7]
	s_and_saveexec_b64 s[24:25], vcc
	s_xor_b64 s[60:61], exec, s[24:25]
	s_cbranch_execz .LBB6_1322
; %bb.1313:                             ;   in Loop: Header=BB6_124 Depth=2
	v_and_b32_e32 v6, 0x7fffffff, v3
	v_mov_b32_e32 v7, v55
	v_cmp_gt_u64_e32 vcc, s[46:47], v[6:7]
	s_and_saveexec_b64 s[62:63], vcc
	s_cbranch_execz .LBB6_1321
; %bb.1314:                             ;   in Loop: Header=BB6_124 Depth=2
	v_cmp_ne_u32_e32 vcc, 0, v3
	v_mov_b32_e32 v11, 0
	s_and_saveexec_b64 s[64:65], vcc
	s_cbranch_execz .LBB6_1320
; %bb.1315:                             ;   in Loop: Header=BB6_124 Depth=2
	v_bfe_u32 v2, v3, 23, 8
	v_sub_u32_e32 v6, 0x79, v2
	v_cmp_gt_u32_e32 vcc, s78, v2
	v_cndmask_b32_e32 v6, 0, v6, vcc
	v_cmp_eq_u32_e32 vcc, 0, v2
	v_or_b32_e32 v7, 0x800000, v54
	v_cndmask_b32_e32 v14, v6, v32, vcc
	v_add_u32_e32 v3, 0xffffff81, v2
	v_cndmask_b32_e32 v54, v7, v54, vcc
	v_add_u32_e32 v2, 20, v14
	v_cndmask_b32_e32 v11, v3, v33, vcc
	v_lshlrev_b64 v[2:3], v2, -1
	v_lshrrev_b64 v[8:9], v14, v[54:55]
	v_not_b32_e32 v3, v3
	v_not_b32_e32 v2, v2
	v_add_u32_e32 v6, 19, v14
	v_lshrrev_b32_e32 v32, 23, v8
	v_and_b32_e32 v3, 0, v3
	v_and_b32_e32 v2, v54, v2
	v_lshlrev_b64 v[6:7], v6, 1
	v_add3_u32 v38, v14, v11, v32
	v_bfe_u32 v11, v8, 20, 1
	v_add_u32_e32 v11, -1, v11
	v_cmp_eq_u64_e32 vcc, v[2:3], v[6:7]
	v_cndmask_b32_e32 v2, 0, v11, vcc
	v_add_u32_e32 v2, v2, v8
	v_and_b32_e32 v2, 0xfffff, v2
	v_add_co_u32_e32 v2, vcc, v2, v8
	v_add_u32_e32 v14, 6, v38
	v_addc_co_u32_e32 v3, vcc, 0, v9, vcc
	v_cmp_ne_u32_e32 vcc, 0, v14
                                        ; implicit-def: $vgpr11
	s_and_saveexec_b64 s[24:25], vcc
	s_xor_b64 s[24:25], exec, s[24:25]
; %bb.1316:                             ;   in Loop: Header=BB6_124 Depth=2
	v_add_u32_e32 v6, 7, v38
	v_cmp_lt_u64_e32 vcc, s[50:51], v[2:3]
	v_cndmask_b32_e32 v11, v14, v6, vcc
	v_cndmask_b32_e64 v6, 0, 1, vcc
	v_lshrrev_b64 v[2:3], v6, v[2:3]
; %bb.1317:                             ;   in Loop: Header=BB6_124 Depth=2
	s_andn2_saveexec_b64 s[24:25], s[24:25]
; %bb.1318:                             ;   in Loop: Header=BB6_124 Depth=2
	v_bfe_u32 v11, v2, 23, 1
; %bb.1319:                             ;   in Loop: Header=BB6_124 Depth=2
	s_or_b64 exec, exec, s[24:25]
	v_lshrrev_b64 v[2:3], 20, v[2:3]
	v_cmp_gt_i32_e32 vcc, 16, v11
	v_cndmask_b32_e32 v3, 0, v3, vcc
	v_cndmask_b32_e32 v2, 7, v2, vcc
	v_cmp_eq_u64_e64 s[24:25], 0, v[2:3]
	v_min_i32_e32 v3, 15, v11
	v_cmp_eq_u32_e32 vcc, 0, v11
	v_lshlrev_b32_e32 v3, 3, v3
	v_and_or_b32 v2, v2, 7, v3
	s_and_b64 s[24:25], vcc, s[24:25]
	v_cndmask_b32_e64 v2, v2, 0, s[24:25]
	v_or_b32_e32 v11, v2, v10
	v_mov_b32_e32 v32, 0x78
.LBB6_1320:                             ;   in Loop: Header=BB6_124 Depth=2
	s_or_b64 exec, exec, s[64:65]
.LBB6_1321:                             ;   in Loop: Header=BB6_124 Depth=2
	s_or_b64 exec, exec, s[62:63]
                                        ; implicit-def: $vgpr3
.LBB6_1322:                             ;   in Loop: Header=BB6_124 Depth=2
	s_andn2_saveexec_b64 s[24:25], s[60:61]
; %bb.1323:                             ;   in Loop: Header=BB6_124 Depth=2
	v_or_b32_sdwa v2, v3, s76 dst_sel:DWORD dst_unused:UNUSED_PAD src0_sel:BYTE_3 src1_sel:DWORD
	v_cmp_eq_u64_e32 vcc, 0, v[54:55]
	v_cndmask_b32_e32 v11, v2, v11, vcc
; %bb.1324:                             ;   in Loop: Header=BB6_124 Depth=2
	s_or_b64 exec, exec, s[24:25]
	v_lshrrev_b32_e32 v10, 16, v17
	v_lshrrev_b32_e32 v2, 16, v13
	s_and_b64 vcc, exec, s[22:23]
	v_cmp_ne_u16_sdwa s[24:25], v10, v55 src0_sel:BYTE_0 src1_sel:DWORD
	s_cbranch_vccnz .LBB6_1338
; %bb.1325:                             ;   in Loop: Header=BB6_124 Depth=2
	v_mov_b32_e32 v14, 0
	v_mov_b32_e32 v3, 0
	s_and_saveexec_b64 s[60:61], s[24:25]
	s_cbranch_execz .LBB6_1331
; %bb.1326:                             ;   in Loop: Header=BB6_124 Depth=2
	v_cmp_ne_u16_sdwa vcc, v10, s75 src0_sel:BYTE_0 src1_sel:DWORD
	v_bfrev_b32_e32 v3, 1
	s_and_saveexec_b64 s[62:63], vcc
	s_cbranch_execz .LBB6_1330
; %bb.1327:                             ;   in Loop: Header=BB6_124 Depth=2
	v_bfe_u32 v38, v17, 16, 7
	v_cmp_ne_u32_e32 vcc, s76, v38
	v_mov_b32_e32 v3, 0x7f800001
	s_and_saveexec_b64 s[64:65], vcc
	s_cbranch_execz .LBB6_1329
; %bb.1328:                             ;   in Loop: Header=BB6_124 Depth=2
	v_and_b32_e32 v3, 7, v10
	v_ffbh_u32_e32 v6, v3
	v_min_u32_e32 v9, 32, v6
	v_subrev_u32_e32 v6, 28, v9
	v_lshlrev_b64 v[6:7], v6, v[10:11]
	v_lshrrev_b32_e32 v8, 3, v38
	v_sub_u32_e32 v7, 29, v9
	v_and_b32_e32 v6, 7, v6
	v_cmp_gt_u32_e32 vcc, 8, v38
	v_cndmask_b32_e32 v7, v8, v7, vcc
	v_cndmask_b32_e32 v3, v3, v6, vcc
	v_lshlrev_b32_e32 v6, 24, v10
	v_lshlrev_b32_e32 v3, 20, v3
	v_and_b32_e32 v6, 0x80000000, v6
	v_lshl_add_u32 v7, v7, 23, v26
	v_or3_b32 v3, v6, v7, v3
.LBB6_1329:                             ;   in Loop: Header=BB6_124 Depth=2
	s_or_b64 exec, exec, s[64:65]
.LBB6_1330:                             ;   in Loop: Header=BB6_124 Depth=2
	s_or_b64 exec, exec, s[62:63]
.LBB6_1331:                             ;   in Loop: Header=BB6_124 Depth=2
	s_or_b64 exec, exec, s[60:61]
	v_cmp_ne_u16_sdwa vcc, v2, v55 src0_sel:BYTE_0 src1_sel:DWORD
	s_and_saveexec_b64 s[60:61], vcc
	s_cbranch_execz .LBB6_1337
; %bb.1332:                             ;   in Loop: Header=BB6_124 Depth=2
	v_cmp_ne_u16_sdwa vcc, v2, s75 src0_sel:BYTE_0 src1_sel:DWORD
	v_bfrev_b32_e32 v14, 1
	s_and_saveexec_b64 s[62:63], vcc
	s_cbranch_execz .LBB6_1336
; %bb.1333:                             ;   in Loop: Header=BB6_124 Depth=2
	v_bfe_u32 v38, v13, 16, 7
	v_cmp_ne_u32_e32 vcc, s76, v38
	v_mov_b32_e32 v14, 0x7f800001
	s_and_saveexec_b64 s[64:65], vcc
	s_cbranch_execz .LBB6_1335
; %bb.1334:                             ;   in Loop: Header=BB6_124 Depth=2
	v_and_b32_e32 v8, 7, v2
	v_ffbh_u32_e32 v6, v8
	v_min_u32_e32 v14, 32, v6
	v_subrev_u32_e32 v6, 28, v14
	v_lshlrev_b64 v[6:7], v6, v[2:3]
	v_lshrrev_b32_e32 v9, 3, v38
	v_sub_u32_e32 v7, 29, v14
	v_and_b32_e32 v6, 7, v6
	v_cmp_gt_u32_e32 vcc, 8, v38
	v_cndmask_b32_e32 v7, v9, v7, vcc
	v_cndmask_b32_e32 v6, v8, v6, vcc
	v_lshlrev_b32_e32 v8, 24, v2
	v_lshlrev_b32_e32 v6, 20, v6
	v_and_b32_e32 v8, 0x80000000, v8
	v_lshl_add_u32 v7, v7, 23, v26
	v_or3_b32 v14, v8, v7, v6
.LBB6_1335:                             ;   in Loop: Header=BB6_124 Depth=2
	s_or_b64 exec, exec, s[64:65]
.LBB6_1336:                             ;   in Loop: Header=BB6_124 Depth=2
	s_or_b64 exec, exec, s[62:63]
.LBB6_1337:                             ;   in Loop: Header=BB6_124 Depth=2
	s_or_b64 exec, exec, s[60:61]
	v_max_f32_e32 v6, v14, v14
	v_max_f32_e32 v3, v3, v3
	;; [unrolled: 1-line block ×3, first 2 shown]
	s_branch .LBB6_1352
.LBB6_1338:                             ;   in Loop: Header=BB6_124 Depth=2
                                        ; implicit-def: $vgpr3
	s_cbranch_execz .LBB6_1352
; %bb.1339:                             ;   in Loop: Header=BB6_124 Depth=2
	v_mov_b32_e32 v14, 0
	v_mov_b32_e32 v3, 0
	s_and_saveexec_b64 s[60:61], s[24:25]
	s_cbranch_execz .LBB6_1345
; %bb.1340:                             ;   in Loop: Header=BB6_124 Depth=2
	v_cmp_ne_u16_sdwa vcc, v10, s75 src0_sel:BYTE_0 src1_sel:DWORD
	v_bfrev_b32_e32 v3, 1
	s_and_saveexec_b64 s[24:25], vcc
	s_cbranch_execz .LBB6_1344
; %bb.1341:                             ;   in Loop: Header=BB6_124 Depth=2
	v_bfe_u32 v38, v17, 16, 7
	v_cmp_ne_u32_e32 vcc, s76, v38
	v_mov_b32_e32 v3, 0x7f800001
	s_and_saveexec_b64 s[62:63], vcc
	s_cbranch_execz .LBB6_1343
; %bb.1342:                             ;   in Loop: Header=BB6_124 Depth=2
	v_and_b32_e32 v3, 7, v10
	v_ffbh_u32_e32 v6, v3
	v_min_u32_e32 v9, 32, v6
	v_subrev_u32_e32 v6, 28, v9
	v_lshlrev_b64 v[6:7], v6, v[10:11]
	v_lshrrev_b32_e32 v8, 3, v38
	v_sub_u32_e32 v7, 29, v9
	v_and_b32_e32 v6, 7, v6
	v_cmp_gt_u32_e32 vcc, 8, v38
	v_cndmask_b32_e32 v7, v8, v7, vcc
	v_cndmask_b32_e32 v3, v3, v6, vcc
	v_lshlrev_b32_e32 v6, 24, v10
	v_lshlrev_b32_e32 v3, 20, v3
	v_and_b32_e32 v6, 0x80000000, v6
	v_lshl_add_u32 v7, v7, 23, v26
	v_or3_b32 v3, v6, v7, v3
.LBB6_1343:                             ;   in Loop: Header=BB6_124 Depth=2
	s_or_b64 exec, exec, s[62:63]
.LBB6_1344:                             ;   in Loop: Header=BB6_124 Depth=2
	s_or_b64 exec, exec, s[24:25]
.LBB6_1345:                             ;   in Loop: Header=BB6_124 Depth=2
	s_or_b64 exec, exec, s[60:61]
	v_cmp_ne_u16_sdwa vcc, v2, v55 src0_sel:BYTE_0 src1_sel:DWORD
	s_and_saveexec_b64 s[24:25], vcc
	s_cbranch_execz .LBB6_1351
; %bb.1346:                             ;   in Loop: Header=BB6_124 Depth=2
	v_cmp_ne_u16_sdwa vcc, v2, s75 src0_sel:BYTE_0 src1_sel:DWORD
	v_bfrev_b32_e32 v14, 1
	s_and_saveexec_b64 s[60:61], vcc
	s_cbranch_execz .LBB6_1350
; %bb.1347:                             ;   in Loop: Header=BB6_124 Depth=2
	v_bfe_u32 v10, v13, 16, 7
	v_cmp_ne_u32_e32 vcc, s76, v10
	v_mov_b32_e32 v14, 0x7f800001
	s_and_saveexec_b64 s[62:63], vcc
	s_cbranch_execz .LBB6_1349
; %bb.1348:                             ;   in Loop: Header=BB6_124 Depth=2
	v_and_b32_e32 v8, 7, v2
	v_ffbh_u32_e32 v6, v8
	v_min_u32_e32 v14, 32, v6
	v_subrev_u32_e32 v6, 28, v14
	v_lshlrev_b64 v[6:7], v6, v[2:3]
	v_lshrrev_b32_e32 v9, 3, v10
	v_sub_u32_e32 v7, 29, v14
	v_and_b32_e32 v6, 7, v6
	v_cmp_gt_u32_e32 vcc, 8, v10
	v_cndmask_b32_e32 v7, v9, v7, vcc
	v_cndmask_b32_e32 v6, v8, v6, vcc
	v_lshlrev_b32_e32 v2, 24, v2
	v_lshlrev_b32_e32 v6, 20, v6
	v_and_b32_e32 v2, 0x80000000, v2
	v_lshl_add_u32 v7, v7, 23, v26
	v_or3_b32 v14, v2, v7, v6
.LBB6_1349:                             ;   in Loop: Header=BB6_124 Depth=2
	s_or_b64 exec, exec, s[62:63]
.LBB6_1350:                             ;   in Loop: Header=BB6_124 Depth=2
	s_or_b64 exec, exec, s[60:61]
.LBB6_1351:                             ;   in Loop: Header=BB6_124 Depth=2
	s_or_b64 exec, exec, s[24:25]
	v_max_f32_e32 v2, v14, v14
	v_max_f32_e32 v3, v3, v3
	v_min_f32_e32 v3, v3, v2
.LBB6_1352:                             ;   in Loop: Header=BB6_124 Depth=2
	v_and_b32_sdwa v10, v3, s75 dst_sel:DWORD dst_unused:UNUSED_PAD src0_sel:BYTE_3 src1_sel:DWORD
	v_and_b32_e32 v6, 0x7f800000, v3
	v_mov_b32_e32 v7, v55
	v_and_b32_e32 v54, 0x7fffff, v3
	v_or_b32_e32 v14, 0x7e, v10
	v_cmp_ne_u64_e32 vcc, s[44:45], v[6:7]
	s_and_saveexec_b64 s[24:25], vcc
	s_xor_b64 s[60:61], exec, s[24:25]
	s_cbranch_execz .LBB6_1362
; %bb.1353:                             ;   in Loop: Header=BB6_124 Depth=2
	v_and_b32_e32 v6, 0x7fffffff, v3
	v_mov_b32_e32 v7, v55
	v_cmp_gt_u64_e32 vcc, s[46:47], v[6:7]
	s_and_saveexec_b64 s[62:63], vcc
	s_cbranch_execz .LBB6_1361
; %bb.1354:                             ;   in Loop: Header=BB6_124 Depth=2
	v_cmp_ne_u32_e32 vcc, 0, v3
	v_mov_b32_e32 v14, 0
	s_and_saveexec_b64 s[64:65], vcc
	s_cbranch_execz .LBB6_1360
; %bb.1355:                             ;   in Loop: Header=BB6_124 Depth=2
	v_bfe_u32 v2, v3, 23, 8
	v_sub_u32_e32 v6, 0x79, v2
	v_cmp_gt_u32_e32 vcc, s78, v2
	v_add_u32_e32 v3, 0xffffff81, v2
	v_cndmask_b32_e32 v6, 0, v6, vcc
	v_cmp_eq_u32_e32 vcc, 0, v2
	v_mov_b32_e32 v2, 0x78
	v_or_b32_e32 v7, 0x800000, v54
	v_cndmask_b32_e32 v32, v6, v2, vcc
	v_cndmask_b32_e32 v54, v7, v54, vcc
	v_add_u32_e32 v2, 20, v32
	v_cndmask_b32_e32 v14, v3, v33, vcc
	v_lshlrev_b64 v[2:3], v2, -1
	v_lshrrev_b64 v[8:9], v32, v[54:55]
	v_not_b32_e32 v3, v3
	v_not_b32_e32 v2, v2
	v_add_u32_e32 v6, 19, v32
	v_lshrrev_b32_e32 v33, 23, v8
	v_and_b32_e32 v3, 0, v3
	v_and_b32_e32 v2, v54, v2
	v_lshlrev_b64 v[6:7], v6, 1
	v_add3_u32 v38, v32, v14, v33
	v_bfe_u32 v14, v8, 20, 1
	v_add_u32_e32 v14, -1, v14
	v_cmp_eq_u64_e32 vcc, v[2:3], v[6:7]
	v_cndmask_b32_e32 v2, 0, v14, vcc
	v_add_u32_e32 v2, v2, v8
	v_and_b32_e32 v2, 0xfffff, v2
	v_add_co_u32_e32 v2, vcc, v2, v8
	v_add_u32_e32 v54, 6, v38
	v_addc_co_u32_e32 v3, vcc, 0, v9, vcc
	v_cmp_ne_u32_e32 vcc, 0, v54
                                        ; implicit-def: $vgpr14
	s_and_saveexec_b64 s[24:25], vcc
	s_xor_b64 s[24:25], exec, s[24:25]
; %bb.1356:                             ;   in Loop: Header=BB6_124 Depth=2
	v_add_u32_e32 v6, 7, v38
	v_cmp_lt_u64_e32 vcc, s[50:51], v[2:3]
	v_cndmask_b32_e32 v14, v54, v6, vcc
	v_cndmask_b32_e64 v6, 0, 1, vcc
	v_lshrrev_b64 v[2:3], v6, v[2:3]
; %bb.1357:                             ;   in Loop: Header=BB6_124 Depth=2
	s_andn2_saveexec_b64 s[24:25], s[24:25]
; %bb.1358:                             ;   in Loop: Header=BB6_124 Depth=2
	v_bfe_u32 v14, v2, 23, 1
; %bb.1359:                             ;   in Loop: Header=BB6_124 Depth=2
	s_or_b64 exec, exec, s[24:25]
	v_lshrrev_b64 v[2:3], 20, v[2:3]
	v_cmp_gt_i32_e32 vcc, 16, v14
	v_cndmask_b32_e32 v3, 0, v3, vcc
	v_cndmask_b32_e32 v2, 7, v2, vcc
	v_cmp_eq_u64_e64 s[24:25], 0, v[2:3]
	v_min_i32_e32 v3, 15, v14
	v_lshlrev_b32_e32 v3, 3, v3
	v_cmp_eq_u32_e32 vcc, 0, v14
	v_and_b32_e32 v3, 0xf8, v3
	v_and_or_b32 v2, v2, 7, v3
	s_and_b64 s[24:25], vcc, s[24:25]
	v_cndmask_b32_e64 v2, v2, 0, s[24:25]
	v_or_b32_e32 v14, v2, v10
	v_mov_b32_e32 v33, 0xffffff82
	v_mov_b32_e32 v32, 0x78
.LBB6_1360:                             ;   in Loop: Header=BB6_124 Depth=2
	s_or_b64 exec, exec, s[64:65]
.LBB6_1361:                             ;   in Loop: Header=BB6_124 Depth=2
	s_or_b64 exec, exec, s[62:63]
                                        ; implicit-def: $vgpr3
.LBB6_1362:                             ;   in Loop: Header=BB6_124 Depth=2
	s_andn2_saveexec_b64 s[24:25], s[60:61]
; %bb.1363:                             ;   in Loop: Header=BB6_124 Depth=2
	v_or_b32_sdwa v2, v3, s76 dst_sel:DWORD dst_unused:UNUSED_PAD src0_sel:BYTE_3 src1_sel:DWORD
	v_cmp_eq_u64_e32 vcc, 0, v[54:55]
	v_cndmask_b32_e32 v14, v2, v14, vcc
; %bb.1364:                             ;   in Loop: Header=BB6_124 Depth=2
	s_or_b64 exec, exec, s[24:25]
	v_lshrrev_b32_e32 v10, 24, v17
	v_lshrrev_b32_e32 v2, 24, v13
	s_and_b64 vcc, exec, s[22:23]
	v_cmp_lt_u64_e64 s[22:23], s[48:49], v[16:17]
	s_cbranch_vccnz .LBB6_1378
; %bb.1365:                             ;   in Loop: Header=BB6_124 Depth=2
	v_mov_b32_e32 v16, 0
	v_mov_b32_e32 v3, 0
	s_and_saveexec_b64 s[24:25], s[22:23]
	s_cbranch_execz .LBB6_1371
; %bb.1366:                             ;   in Loop: Header=BB6_124 Depth=2
	v_cmp_ne_u32_e32 vcc, s75, v10
	v_bfrev_b32_e32 v3, 1
	s_and_saveexec_b64 s[60:61], vcc
	s_cbranch_execz .LBB6_1370
; %bb.1367:                             ;   in Loop: Header=BB6_124 Depth=2
	v_bfe_u32 v38, v17, 24, 7
	v_cmp_ne_u32_e32 vcc, s76, v38
	v_mov_b32_e32 v3, 0x7f800001
	s_and_saveexec_b64 s[62:63], vcc
	s_cbranch_execz .LBB6_1369
; %bb.1368:                             ;   in Loop: Header=BB6_124 Depth=2
	v_and_b32_e32 v3, 7, v10
	v_ffbh_u32_e32 v6, v3
	v_min_u32_e32 v9, 32, v6
	v_subrev_u32_e32 v6, 28, v9
	v_lshlrev_b64 v[6:7], v6, v[10:11]
	v_lshrrev_b32_e32 v8, 3, v38
	v_sub_u32_e32 v7, 29, v9
	v_and_b32_e32 v6, 7, v6
	v_cmp_gt_u32_e32 vcc, 8, v38
	v_cndmask_b32_e32 v7, v8, v7, vcc
	v_cndmask_b32_e32 v3, v3, v6, vcc
	v_lshlrev_b32_e32 v6, 24, v10
	v_lshlrev_b32_e32 v3, 20, v3
	v_and_b32_e32 v6, 0x80000000, v6
	v_lshl_add_u32 v7, v7, 23, v26
	v_or3_b32 v3, v6, v7, v3
.LBB6_1369:                             ;   in Loop: Header=BB6_124 Depth=2
	s_or_b64 exec, exec, s[62:63]
.LBB6_1370:                             ;   in Loop: Header=BB6_124 Depth=2
	s_or_b64 exec, exec, s[60:61]
.LBB6_1371:                             ;   in Loop: Header=BB6_124 Depth=2
	s_or_b64 exec, exec, s[24:25]
	v_cmp_lt_u64_e32 vcc, s[48:49], v[12:13]
	s_and_saveexec_b64 s[24:25], vcc
	s_cbranch_execz .LBB6_1377
; %bb.1372:                             ;   in Loop: Header=BB6_124 Depth=2
	v_cmp_ne_u32_e32 vcc, s75, v2
	v_bfrev_b32_e32 v16, 1
	s_and_saveexec_b64 s[60:61], vcc
	s_cbranch_execz .LBB6_1376
; %bb.1373:                             ;   in Loop: Header=BB6_124 Depth=2
	v_bfe_u32 v38, v13, 24, 7
	v_cmp_ne_u32_e32 vcc, s76, v38
	v_mov_b32_e32 v16, 0x7f800001
	s_and_saveexec_b64 s[62:63], vcc
	s_cbranch_execz .LBB6_1375
; %bb.1374:                             ;   in Loop: Header=BB6_124 Depth=2
	v_and_b32_e32 v8, 7, v2
	v_ffbh_u32_e32 v6, v8
	v_min_u32_e32 v16, 32, v6
	v_subrev_u32_e32 v6, 28, v16
	v_lshlrev_b64 v[6:7], v6, v[2:3]
	v_lshrrev_b32_e32 v9, 3, v38
	v_sub_u32_e32 v7, 29, v16
	v_and_b32_e32 v6, 7, v6
	v_cmp_gt_u32_e32 vcc, 8, v38
	v_cndmask_b32_e32 v7, v9, v7, vcc
	v_cndmask_b32_e32 v6, v8, v6, vcc
	v_lshlrev_b32_e32 v8, 24, v2
	v_lshlrev_b32_e32 v6, 20, v6
	v_and_b32_e32 v8, 0x80000000, v8
	v_lshl_add_u32 v7, v7, 23, v26
	v_or3_b32 v16, v8, v7, v6
.LBB6_1375:                             ;   in Loop: Header=BB6_124 Depth=2
	s_or_b64 exec, exec, s[62:63]
.LBB6_1376:                             ;   in Loop: Header=BB6_124 Depth=2
	s_or_b64 exec, exec, s[60:61]
.LBB6_1377:                             ;   in Loop: Header=BB6_124 Depth=2
	s_or_b64 exec, exec, s[24:25]
	v_max_f32_e32 v6, v16, v16
	v_max_f32_e32 v3, v3, v3
	;; [unrolled: 1-line block ×3, first 2 shown]
	s_branch .LBB6_1392
.LBB6_1378:                             ;   in Loop: Header=BB6_124 Depth=2
                                        ; implicit-def: $vgpr3
	s_cbranch_execz .LBB6_1392
; %bb.1379:                             ;   in Loop: Header=BB6_124 Depth=2
	v_mov_b32_e32 v16, 0
	v_mov_b32_e32 v3, 0
	s_and_saveexec_b64 s[24:25], s[22:23]
	s_cbranch_execz .LBB6_1385
; %bb.1380:                             ;   in Loop: Header=BB6_124 Depth=2
	v_cmp_ne_u32_e32 vcc, s75, v10
	v_bfrev_b32_e32 v3, 1
	s_and_saveexec_b64 s[22:23], vcc
	s_cbranch_execz .LBB6_1384
; %bb.1381:                             ;   in Loop: Header=BB6_124 Depth=2
	v_bfe_u32 v17, v17, 24, 7
	v_cmp_ne_u32_e32 vcc, s76, v17
	v_mov_b32_e32 v3, 0x7f800001
	s_and_saveexec_b64 s[60:61], vcc
	s_cbranch_execz .LBB6_1383
; %bb.1382:                             ;   in Loop: Header=BB6_124 Depth=2
	v_and_b32_e32 v3, 7, v10
	v_ffbh_u32_e32 v6, v3
	v_min_u32_e32 v9, 32, v6
	v_subrev_u32_e32 v6, 28, v9
	v_lshlrev_b64 v[6:7], v6, v[10:11]
	v_lshrrev_b32_e32 v8, 3, v17
	v_sub_u32_e32 v7, 29, v9
	v_and_b32_e32 v6, 7, v6
	v_cmp_gt_u32_e32 vcc, 8, v17
	v_cndmask_b32_e32 v7, v8, v7, vcc
	v_cndmask_b32_e32 v3, v3, v6, vcc
	v_lshlrev_b32_e32 v6, 24, v10
	v_lshlrev_b32_e32 v3, 20, v3
	v_and_b32_e32 v6, 0x80000000, v6
	v_lshl_add_u32 v7, v7, 23, v26
	v_or3_b32 v3, v6, v7, v3
.LBB6_1383:                             ;   in Loop: Header=BB6_124 Depth=2
	s_or_b64 exec, exec, s[60:61]
.LBB6_1384:                             ;   in Loop: Header=BB6_124 Depth=2
	s_or_b64 exec, exec, s[22:23]
.LBB6_1385:                             ;   in Loop: Header=BB6_124 Depth=2
	s_or_b64 exec, exec, s[24:25]
	v_cmp_lt_u64_e32 vcc, s[48:49], v[12:13]
	s_and_saveexec_b64 s[22:23], vcc
	s_cbranch_execz .LBB6_1391
; %bb.1386:                             ;   in Loop: Header=BB6_124 Depth=2
	v_cmp_ne_u32_e32 vcc, s75, v2
	v_bfrev_b32_e32 v16, 1
	s_and_saveexec_b64 s[24:25], vcc
	s_cbranch_execz .LBB6_1390
; %bb.1387:                             ;   in Loop: Header=BB6_124 Depth=2
	v_bfe_u32 v10, v13, 24, 7
	v_cmp_ne_u32_e32 vcc, s76, v10
	v_mov_b32_e32 v16, 0x7f800001
	s_and_saveexec_b64 s[60:61], vcc
	s_cbranch_execz .LBB6_1389
; %bb.1388:                             ;   in Loop: Header=BB6_124 Depth=2
	v_and_b32_e32 v8, 7, v2
	v_ffbh_u32_e32 v6, v8
	v_min_u32_e32 v12, 32, v6
	v_subrev_u32_e32 v6, 28, v12
	v_lshlrev_b64 v[6:7], v6, v[2:3]
	v_lshrrev_b32_e32 v9, 3, v10
	v_sub_u32_e32 v7, 29, v12
	v_and_b32_e32 v6, 7, v6
	v_cmp_gt_u32_e32 vcc, 8, v10
	v_cndmask_b32_e32 v7, v9, v7, vcc
	v_cndmask_b32_e32 v6, v8, v6, vcc
	v_lshlrev_b32_e32 v2, 24, v2
	v_lshlrev_b32_e32 v6, 20, v6
	v_and_b32_e32 v2, 0x80000000, v2
	v_lshl_add_u32 v7, v7, 23, v26
	v_or3_b32 v16, v2, v7, v6
.LBB6_1389:                             ;   in Loop: Header=BB6_124 Depth=2
	s_or_b64 exec, exec, s[60:61]
.LBB6_1390:                             ;   in Loop: Header=BB6_124 Depth=2
	s_or_b64 exec, exec, s[24:25]
.LBB6_1391:                             ;   in Loop: Header=BB6_124 Depth=2
	s_or_b64 exec, exec, s[22:23]
	v_max_f32_e32 v2, v16, v16
	v_max_f32_e32 v3, v3, v3
	v_min_f32_e32 v3, v3, v2
.LBB6_1392:                             ;   in Loop: Header=BB6_124 Depth=2
	v_and_b32_sdwa v10, v3, s75 dst_sel:DWORD dst_unused:UNUSED_PAD src0_sel:BYTE_3 src1_sel:DWORD
	v_and_b32_e32 v6, 0x7f800000, v3
	v_mov_b32_e32 v7, v55
	v_and_b32_e32 v54, 0x7fffff, v3
	v_or_b32_e32 v2, 0x7e, v10
	v_cmp_ne_u64_e32 vcc, s[44:45], v[6:7]
	s_and_saveexec_b64 s[22:23], vcc
	s_xor_b64 s[24:25], exec, s[22:23]
	s_cbranch_execz .LBB6_1402
; %bb.1393:                             ;   in Loop: Header=BB6_124 Depth=2
	v_and_b32_e32 v6, 0x7fffffff, v3
	v_mov_b32_e32 v7, v55
	v_cmp_gt_u64_e32 vcc, s[46:47], v[6:7]
	s_and_saveexec_b64 s[60:61], vcc
	s_cbranch_execz .LBB6_1401
; %bb.1394:                             ;   in Loop: Header=BB6_124 Depth=2
	v_cmp_ne_u32_e32 vcc, 0, v3
	v_mov_b32_e32 v2, 0
	s_and_saveexec_b64 s[62:63], vcc
	s_cbranch_execz .LBB6_1400
; %bb.1395:                             ;   in Loop: Header=BB6_124 Depth=2
	v_bfe_u32 v2, v3, 23, 8
	v_sub_u32_e32 v6, 0x79, v2
	v_cmp_gt_u32_e32 vcc, s78, v2
	v_cndmask_b32_e32 v6, 0, v6, vcc
	v_cmp_eq_u32_e32 vcc, 0, v2
	v_or_b32_e32 v7, 0x800000, v54
	v_cndmask_b32_e32 v13, v6, v32, vcc
	v_add_u32_e32 v3, 0xffffff81, v2
	v_cndmask_b32_e32 v54, v7, v54, vcc
	v_add_u32_e32 v2, 20, v13
	v_cndmask_b32_e32 v12, v3, v33, vcc
	v_lshlrev_b64 v[2:3], v2, -1
	v_lshrrev_b64 v[8:9], v13, v[54:55]
	v_not_b32_e32 v3, v3
	v_not_b32_e32 v2, v2
	v_add_u32_e32 v6, 19, v13
	v_lshrrev_b32_e32 v16, 23, v8
	v_and_b32_e32 v3, 0, v3
	v_and_b32_e32 v2, v54, v2
	v_lshlrev_b64 v[6:7], v6, 1
	v_add3_u32 v16, v13, v12, v16
	v_bfe_u32 v12, v8, 20, 1
	v_add_u32_e32 v12, -1, v12
	v_cmp_eq_u64_e32 vcc, v[2:3], v[6:7]
	v_cndmask_b32_e32 v2, 0, v12, vcc
	v_add_u32_e32 v2, v2, v8
	v_and_b32_e32 v2, 0xfffff, v2
	v_add_co_u32_e32 v2, vcc, v2, v8
	v_add_u32_e32 v13, 6, v16
	v_addc_co_u32_e32 v3, vcc, 0, v9, vcc
	v_cmp_ne_u32_e32 vcc, 0, v13
                                        ; implicit-def: $vgpr12
	s_and_saveexec_b64 s[22:23], vcc
	s_xor_b64 s[22:23], exec, s[22:23]
; %bb.1396:                             ;   in Loop: Header=BB6_124 Depth=2
	v_add_u32_e32 v6, 7, v16
	v_cmp_lt_u64_e32 vcc, s[50:51], v[2:3]
	v_cndmask_b32_e32 v12, v13, v6, vcc
	v_cndmask_b32_e64 v6, 0, 1, vcc
	v_lshrrev_b64 v[2:3], v6, v[2:3]
; %bb.1397:                             ;   in Loop: Header=BB6_124 Depth=2
	s_andn2_saveexec_b64 s[22:23], s[22:23]
; %bb.1398:                             ;   in Loop: Header=BB6_124 Depth=2
	v_bfe_u32 v12, v2, 23, 1
; %bb.1399:                             ;   in Loop: Header=BB6_124 Depth=2
	s_or_b64 exec, exec, s[22:23]
	v_lshrrev_b64 v[2:3], 20, v[2:3]
	v_cmp_gt_i32_e32 vcc, 16, v12
	v_cndmask_b32_e32 v3, 0, v3, vcc
	v_cndmask_b32_e32 v2, 7, v2, vcc
	v_cmp_eq_u64_e64 s[22:23], 0, v[2:3]
	v_min_i32_e32 v3, 15, v12
	v_lshlrev_b32_e32 v3, 3, v3
	v_cmp_eq_u32_e32 vcc, 0, v12
	v_and_b32_e32 v3, 0xf8, v3
	v_and_or_b32 v2, v2, 7, v3
	s_and_b64 s[22:23], vcc, s[22:23]
	v_cndmask_b32_e64 v2, v2, 0, s[22:23]
	v_or_b32_e32 v2, v2, v10
.LBB6_1400:                             ;   in Loop: Header=BB6_124 Depth=2
	s_or_b64 exec, exec, s[62:63]
.LBB6_1401:                             ;   in Loop: Header=BB6_124 Depth=2
	s_or_b64 exec, exec, s[60:61]
                                        ; implicit-def: $vgpr3
.LBB6_1402:                             ;   in Loop: Header=BB6_124 Depth=2
	s_andn2_saveexec_b64 s[22:23], s[24:25]
	s_cbranch_execz .LBB6_123
; %bb.1403:                             ;   in Loop: Header=BB6_124 Depth=2
	v_or_b32_sdwa v3, v3, s76 dst_sel:DWORD dst_unused:UNUSED_PAD src0_sel:BYTE_3 src1_sel:DWORD
	v_cmp_eq_u64_e32 vcc, 0, v[54:55]
	v_cndmask_b32_e32 v2, v3, v2, vcc
	s_branch .LBB6_123
.LBB6_1404:                             ;   in Loop: Header=BB6_49 Depth=1
	s_or_b64 exec, exec, s[56:57]
	v_accvgpr_read_b32 v61, a7
	v_mov_b32_e32 v46, v39
	v_accvgpr_read_b32 v31, a0
	v_accvgpr_read_b32 v58, a1
	;; [unrolled: 1-line block ×6, first 2 shown]
.LBB6_1405:                             ;   in Loop: Header=BB6_49 Depth=1
	s_or_b64 exec, exec, s[26:27]
	v_accvgpr_read_b32 v0, a37
	v_and_b32_e32 v2, 0x3ffff800, v0
	v_cmp_ne_u32_e32 vcc, v2, v0
	s_mov_b64 s[22:23], 0
	v_mov_b32_e32 v1, 0
                                        ; implicit-def: $vgpr17
                                        ; implicit-def: $vgpr18
                                        ; implicit-def: $vgpr0
	s_and_saveexec_b64 s[26:27], vcc
	s_cbranch_execz .LBB6_2053
; %bb.1406:                             ;   in Loop: Header=BB6_49 Depth=1
	v_lshlrev_b32_e32 v0, 6, v47
	v_sub_u32_e32 v0, v62, v0
	v_ashrrev_i32_e32 v1, 31, v0
	v_lshrrev_b32_e32 v1, 26, v1
	v_add_u32_e32 v1, v0, v1
	v_accvgpr_read_b32 v42, a37
	v_ashrrev_i32_e32 v4, 6, v1
	v_and_b32_e32 v1, 0xffffffc0, v1
	v_and_b32_e32 v3, 0x7ff, v42
	v_sub_u32_e32 v30, v0, v1
	v_and_b32_e32 v6, 0x400, v42
	v_lshlrev_b32_e32 v0, 4, v30
	v_sub_u32_e32 v34, v3, v6
	v_lshl_add_u32 v0, v4, 10, v0
	v_bfe_u32 v5, v42, 10, 1
	v_cmp_lt_i32_e64 s[22:23], 15, v34
	v_sub_u32_e32 v1, v3, v0
	v_addc_co_u32_e64 v3, vcc, 0, v5, s[22:23]
	v_sub_u32_e32 v39, v3, v4
	v_cmp_lt_i32_e32 vcc, 15, v1
	s_and_saveexec_b64 s[56:57], vcc
	s_cbranch_execz .LBB6_2050
; %bb.1407:                             ;   in Loop: Header=BB6_49 Depth=1
	s_trap 2
	ds_read_b128 v[4:7], v0
	v_add_u32_e32 v0, v0, v2
	ds_read_b64 v[2:3], v0
	v_ashrrev_i32_e32 v8, 31, v0
	s_bitcmp1_b32 s68, 0
	s_waitcnt lgkmcnt(0)
	v_add_co_u32_e32 v18, vcc, v4, v0
	v_addc_co_u32_e32 v19, vcc, v5, v8, vcc
	v_add_co_u32_e32 v20, vcc, v6, v0
	v_addc_co_u32_e32 v21, vcc, v7, v8, vcc
	;; [unrolled: 2-line block ×3, first 2 shown]
	s_mov_b64 s[58:59], 0
	s_cselect_b64 s[60:61], -1, 0
	s_branch .LBB6_1409
.LBB6_1408:                             ;   in Loop: Header=BB6_1409 Depth=2
	s_or_b64 exec, exec, s[24:25]
	v_lshlrev_b32_e32 v3, 8, v25
	v_perm_b32 v0, v3, v0, s79
	v_lshl_or_b32 v0, v28, 16, v0
	v_lshl_or_b32 v7, v15, 24, v0
	v_and_b32_e32 v0, 0xff, v29
	v_lshlrev_b32_e32 v6, 8, v52
	v_lshlrev_b32_e32 v3, 24, v27
	;; [unrolled: 1-line block ×3, first 2 shown]
	v_perm_b32 v6, v6, v35, s79
	v_or3_b32 v6, v3, v0, v6
	v_and_b32_e32 v0, 0xff, v49
	v_lshlrev_b32_e32 v3, 24, v4
	v_lshlrev_b32_e32 v4, 8, v48
	;; [unrolled: 1-line block ×3, first 2 shown]
	v_perm_b32 v4, v4, v24, s79
	v_or3_b32 v8, v3, v0, v4
	v_lshlrev_b32_e32 v0, 8, v11
	v_add_co_u32_e32 v18, vcc, v18, v50
	v_perm_b32 v0, v0, v5, s79
	v_addc_co_u32_e32 v19, vcc, v19, v51, vcc
	v_lshl_or_b32 v0, v14, 16, v0
	v_add_co_u32_e32 v20, vcc, v20, v50
	v_lshl_or_b32 v9, v2, 24, v0
	v_addc_co_u32_e32 v21, vcc, v21, v51, vcc
	global_store_dwordx4 v[22:23], v[6:9], off glc slc
	v_add_co_u32_e32 v22, vcc, v22, v50
	v_addc_co_u32_e32 v23, vcc, v23, v51, vcc
	v_sub_u32_e32 v1, v1, v41
	v_cmp_gt_i32_e32 vcc, 16, v1
	v_accvgpr_read_b32 v0, a8
	s_or_b64 s[58:59], vcc, s[58:59]
	v_sub_u32_e32 v39, v39, v0
	s_andn2_b64 exec, exec, s[58:59]
	s_cbranch_execz .LBB6_2049
.LBB6_1409:                             ;   Parent Loop BB6_49 Depth=1
                                        ; =>  This Inner Loop Header: Depth=2
	global_load_dwordx4 v[14:17], v[18:19], off glc slc
	global_load_dwordx4 v[10:13], v[20:21], off glc slc
	s_and_b64 vcc, exec, s[60:61]
	s_waitcnt vmcnt(0)
	v_cmp_ne_u16_sdwa s[24:25], v14, v55 src0_sel:BYTE_0 src1_sel:DWORD
	s_cbranch_vccz .LBB6_1423
; %bb.1410:                             ;   in Loop: Header=BB6_1409 Depth=2
	v_mov_b32_e32 v2, 0
	v_mov_b32_e32 v0, 0
	s_and_saveexec_b64 s[62:63], s[24:25]
	s_cbranch_execz .LBB6_1416
; %bb.1411:                             ;   in Loop: Header=BB6_1409 Depth=2
	v_cmp_ne_u16_sdwa vcc, v14, s75 src0_sel:BYTE_0 src1_sel:DWORD
	v_bfrev_b32_e32 v0, 1
	s_and_saveexec_b64 s[64:65], vcc
	s_cbranch_execz .LBB6_1415
; %bb.1412:                             ;   in Loop: Header=BB6_1409 Depth=2
	v_and_b32_e32 v3, 0x7f, v14
	v_cmp_ne_u32_e32 vcc, s76, v3
	v_mov_b32_e32 v0, 0x7f800001
	s_and_saveexec_b64 s[66:67], vcc
	s_cbranch_execz .LBB6_1414
; %bb.1413:                             ;   in Loop: Header=BB6_1409 Depth=2
	v_and_b32_e32 v0, 7, v14
	v_ffbh_u32_e32 v0, v0
	v_min_u32_e32 v0, 32, v0
	v_subrev_u32_e32 v5, 28, v0
	v_cmp_gt_u32_e32 vcc, 8, v3
	v_lshrrev_b32_e32 v4, 3, v3
	v_sub_u32_e32 v0, 29, v0
	v_cndmask_b32_e32 v3, 0, v5, vcc
	v_cndmask_b32_e32 v0, v4, v0, vcc
	v_lshlrev_b64 v[4:5], v3, v[14:15]
	v_lshlrev_b32_e32 v3, 20, v4
	v_lshlrev_b32_e32 v4, 24, v14
	v_and_b32_e32 v3, 0x700000, v3
	v_and_b32_e32 v4, 0x80000000, v4
	v_lshl_add_u32 v0, v0, 23, v26
	v_or3_b32 v0, v4, v0, v3
.LBB6_1414:                             ;   in Loop: Header=BB6_1409 Depth=2
	s_or_b64 exec, exec, s[66:67]
.LBB6_1415:                             ;   in Loop: Header=BB6_1409 Depth=2
	s_or_b64 exec, exec, s[64:65]
.LBB6_1416:                             ;   in Loop: Header=BB6_1409 Depth=2
	s_or_b64 exec, exec, s[62:63]
	v_cmp_ne_u16_sdwa vcc, v10, v55 src0_sel:BYTE_0 src1_sel:DWORD
	s_and_saveexec_b64 s[62:63], vcc
	s_cbranch_execz .LBB6_1422
; %bb.1417:                             ;   in Loop: Header=BB6_1409 Depth=2
	v_cmp_ne_u16_sdwa vcc, v10, s75 src0_sel:BYTE_0 src1_sel:DWORD
	v_bfrev_b32_e32 v2, 1
	s_and_saveexec_b64 s[64:65], vcc
	s_cbranch_execz .LBB6_1421
; %bb.1418:                             ;   in Loop: Header=BB6_1409 Depth=2
	v_and_b32_e32 v3, 0x7f, v10
	v_cmp_ne_u32_e32 vcc, s76, v3
	v_mov_b32_e32 v2, 0x7f800001
	s_and_saveexec_b64 s[66:67], vcc
	s_cbranch_execz .LBB6_1420
; %bb.1419:                             ;   in Loop: Header=BB6_1409 Depth=2
	v_and_b32_e32 v2, 7, v10
	v_ffbh_u32_e32 v2, v2
	v_min_u32_e32 v2, 32, v2
	v_lshrrev_b32_e32 v4, 3, v3
	v_subrev_u32_e32 v5, 28, v2
	v_sub_u32_e32 v2, 29, v2
	v_cmp_gt_u32_e32 vcc, 8, v3
	v_cndmask_b32_e32 v4, v4, v2, vcc
	v_cndmask_b32_e32 v2, 0, v5, vcc
	v_lshlrev_b64 v[2:3], v2, v[10:11]
	v_lshlrev_b32_e32 v2, 20, v2
	v_lshlrev_b32_e32 v3, 24, v10
	v_and_b32_e32 v2, 0x700000, v2
	v_and_b32_e32 v3, 0x80000000, v3
	v_lshl_add_u32 v4, v4, 23, v26
	v_or3_b32 v2, v3, v4, v2
.LBB6_1420:                             ;   in Loop: Header=BB6_1409 Depth=2
	s_or_b64 exec, exec, s[66:67]
.LBB6_1421:                             ;   in Loop: Header=BB6_1409 Depth=2
	s_or_b64 exec, exec, s[64:65]
.LBB6_1422:                             ;   in Loop: Header=BB6_1409 Depth=2
	s_or_b64 exec, exec, s[62:63]
	v_max_f32_e32 v2, v2, v2
	v_max_f32_e32 v0, v0, v0
	;; [unrolled: 1-line block ×3, first 2 shown]
	s_branch .LBB6_1437
.LBB6_1423:                             ;   in Loop: Header=BB6_1409 Depth=2
                                        ; implicit-def: $vgpr2
	s_cbranch_execz .LBB6_1437
; %bb.1424:                             ;   in Loop: Header=BB6_1409 Depth=2
	v_mov_b32_e32 v2, 0
	v_mov_b32_e32 v0, 0
	s_and_saveexec_b64 s[62:63], s[24:25]
	s_cbranch_execz .LBB6_1430
; %bb.1425:                             ;   in Loop: Header=BB6_1409 Depth=2
	v_cmp_ne_u16_sdwa vcc, v14, s75 src0_sel:BYTE_0 src1_sel:DWORD
	v_bfrev_b32_e32 v0, 1
	s_and_saveexec_b64 s[24:25], vcc
	s_cbranch_execz .LBB6_1429
; %bb.1426:                             ;   in Loop: Header=BB6_1409 Depth=2
	v_and_b32_e32 v3, 0x7f, v14
	v_cmp_ne_u32_e32 vcc, s76, v3
	v_mov_b32_e32 v0, 0x7f800001
	s_and_saveexec_b64 s[64:65], vcc
	s_cbranch_execz .LBB6_1428
; %bb.1427:                             ;   in Loop: Header=BB6_1409 Depth=2
	v_and_b32_e32 v0, 7, v14
	v_ffbh_u32_e32 v0, v0
	v_min_u32_e32 v0, 32, v0
	v_subrev_u32_e32 v5, 28, v0
	v_cmp_gt_u32_e32 vcc, 8, v3
	v_lshrrev_b32_e32 v4, 3, v3
	v_sub_u32_e32 v0, 29, v0
	v_cndmask_b32_e32 v3, 0, v5, vcc
	v_cndmask_b32_e32 v0, v4, v0, vcc
	v_lshlrev_b64 v[4:5], v3, v[14:15]
	v_lshlrev_b32_e32 v3, 20, v4
	v_lshlrev_b32_e32 v4, 24, v14
	v_and_b32_e32 v3, 0x700000, v3
	v_and_b32_e32 v4, 0x80000000, v4
	v_lshl_add_u32 v0, v0, 23, v26
	v_or3_b32 v0, v4, v0, v3
.LBB6_1428:                             ;   in Loop: Header=BB6_1409 Depth=2
	s_or_b64 exec, exec, s[64:65]
.LBB6_1429:                             ;   in Loop: Header=BB6_1409 Depth=2
	s_or_b64 exec, exec, s[24:25]
.LBB6_1430:                             ;   in Loop: Header=BB6_1409 Depth=2
	s_or_b64 exec, exec, s[62:63]
	v_cmp_ne_u16_sdwa vcc, v10, v55 src0_sel:BYTE_0 src1_sel:DWORD
	s_and_saveexec_b64 s[24:25], vcc
	s_cbranch_execz .LBB6_1436
; %bb.1431:                             ;   in Loop: Header=BB6_1409 Depth=2
	v_cmp_ne_u16_sdwa vcc, v10, s75 src0_sel:BYTE_0 src1_sel:DWORD
	v_bfrev_b32_e32 v2, 1
	s_and_saveexec_b64 s[62:63], vcc
	s_cbranch_execz .LBB6_1435
; %bb.1432:                             ;   in Loop: Header=BB6_1409 Depth=2
	v_and_b32_e32 v3, 0x7f, v10
	v_cmp_ne_u32_e32 vcc, s76, v3
	v_mov_b32_e32 v2, 0x7f800001
	s_and_saveexec_b64 s[64:65], vcc
	s_cbranch_execz .LBB6_1434
; %bb.1433:                             ;   in Loop: Header=BB6_1409 Depth=2
	v_and_b32_e32 v2, 7, v10
	v_ffbh_u32_e32 v2, v2
	v_min_u32_e32 v2, 32, v2
	v_lshrrev_b32_e32 v4, 3, v3
	v_subrev_u32_e32 v5, 28, v2
	v_sub_u32_e32 v2, 29, v2
	v_cmp_gt_u32_e32 vcc, 8, v3
	v_cndmask_b32_e32 v4, v4, v2, vcc
	v_cndmask_b32_e32 v2, 0, v5, vcc
	v_lshlrev_b64 v[2:3], v2, v[10:11]
	v_lshlrev_b32_e32 v2, 20, v2
	v_lshlrev_b32_e32 v3, 24, v10
	v_and_b32_e32 v2, 0x700000, v2
	v_and_b32_e32 v3, 0x80000000, v3
	v_lshl_add_u32 v4, v4, 23, v26
	v_or3_b32 v2, v3, v4, v2
.LBB6_1434:                             ;   in Loop: Header=BB6_1409 Depth=2
	s_or_b64 exec, exec, s[64:65]
.LBB6_1435:                             ;   in Loop: Header=BB6_1409 Depth=2
	s_or_b64 exec, exec, s[62:63]
.LBB6_1436:                             ;   in Loop: Header=BB6_1409 Depth=2
	s_or_b64 exec, exec, s[24:25]
	v_max_f32_e32 v2, v2, v2
	v_max_f32_e32 v0, v0, v0
	v_min_f32_e32 v2, v0, v2
.LBB6_1437:                             ;   in Loop: Header=BB6_1409 Depth=2
	v_and_b32_sdwa v0, v2, s75 dst_sel:DWORD dst_unused:UNUSED_PAD src0_sel:BYTE_3 src1_sel:DWORD
	v_and_b32_e32 v4, 0x7f800000, v2
	v_mov_b32_e32 v5, v55
	v_and_b32_e32 v54, 0x7fffff, v2
	v_or_b32_e32 v35, 0x7e, v0
	v_cmp_ne_u64_e32 vcc, s[44:45], v[4:5]
	s_and_saveexec_b64 s[24:25], vcc
	s_xor_b64 s[62:63], exec, s[24:25]
	s_cbranch_execz .LBB6_1447
; %bb.1438:                             ;   in Loop: Header=BB6_1409 Depth=2
	v_and_b32_e32 v4, 0x7fffffff, v2
	v_mov_b32_e32 v5, v55
	v_cmp_gt_u64_e32 vcc, s[46:47], v[4:5]
	s_and_saveexec_b64 s[64:65], vcc
	s_cbranch_execz .LBB6_1446
; %bb.1439:                             ;   in Loop: Header=BB6_1409 Depth=2
	v_cmp_ne_u32_e32 vcc, 0, v2
	v_mov_b32_e32 v35, 0
	s_and_saveexec_b64 s[66:67], vcc
	s_cbranch_execz .LBB6_1445
; %bb.1440:                             ;   in Loop: Header=BB6_1409 Depth=2
	v_bfe_u32 v2, v2, 23, 8
	v_sub_u32_e32 v4, 0x79, v2
	v_cmp_gt_u32_e32 vcc, s78, v2
	v_cndmask_b32_e32 v4, 0, v4, vcc
	v_cmp_eq_u32_e32 vcc, 0, v2
	v_or_b32_e32 v5, 0x800000, v54
	v_cndmask_b32_e32 v4, v4, v32, vcc
	v_add_u32_e32 v3, 0xffffff81, v2
	v_cndmask_b32_e32 v54, v5, v54, vcc
	v_add_u32_e32 v2, 20, v4
	v_cndmask_b32_e32 v24, v3, v33, vcc
	v_lshlrev_b64 v[2:3], v2, -1
	v_add_u32_e32 v5, 19, v4
	v_lshrrev_b64 v[8:9], v4, v[54:55]
	v_not_b32_e32 v3, v3
	v_not_b32_e32 v2, v2
	v_lshlrev_b64 v[6:7], v5, 1
	v_lshrrev_b32_e32 v5, 23, v8
	v_and_b32_e32 v3, 0, v3
	v_and_b32_e32 v2, v54, v2
	v_add3_u32 v24, v4, v24, v5
	v_bfe_u32 v4, v8, 20, 1
	v_add_u32_e32 v4, -1, v4
	v_cmp_eq_u64_e32 vcc, v[2:3], v[6:7]
	v_cndmask_b32_e32 v2, 0, v4, vcc
	v_add_u32_e32 v2, v2, v8
	v_and_b32_e32 v2, 0xfffff, v2
	v_add_co_u32_e32 v2, vcc, v2, v8
	v_add_u32_e32 v5, 6, v24
	v_addc_co_u32_e32 v3, vcc, 0, v9, vcc
	v_cmp_ne_u32_e32 vcc, 0, v5
                                        ; implicit-def: $vgpr4
	s_and_saveexec_b64 s[24:25], vcc
	s_xor_b64 s[24:25], exec, s[24:25]
; %bb.1441:                             ;   in Loop: Header=BB6_1409 Depth=2
	v_add_u32_e32 v4, 7, v24
	v_cmp_lt_u64_e32 vcc, s[50:51], v[2:3]
	v_cndmask_b32_e32 v4, v5, v4, vcc
	v_cndmask_b32_e64 v5, 0, 1, vcc
	v_lshrrev_b64 v[2:3], v5, v[2:3]
; %bb.1442:                             ;   in Loop: Header=BB6_1409 Depth=2
	s_andn2_saveexec_b64 s[24:25], s[24:25]
; %bb.1443:                             ;   in Loop: Header=BB6_1409 Depth=2
	v_bfe_u32 v4, v2, 23, 1
; %bb.1444:                             ;   in Loop: Header=BB6_1409 Depth=2
	s_or_b64 exec, exec, s[24:25]
	v_lshrrev_b64 v[2:3], 20, v[2:3]
	v_cmp_gt_i32_e32 vcc, 16, v4
	v_cndmask_b32_e32 v3, 0, v3, vcc
	v_cndmask_b32_e32 v2, 7, v2, vcc
	v_cmp_eq_u64_e64 s[24:25], 0, v[2:3]
	v_min_i32_e32 v3, 15, v4
	v_cmp_eq_u32_e32 vcc, 0, v4
	v_lshlrev_b32_e32 v3, 3, v3
	v_and_or_b32 v2, v2, 7, v3
	s_and_b64 s[24:25], vcc, s[24:25]
	v_cndmask_b32_e64 v2, v2, 0, s[24:25]
	v_or_b32_e32 v35, v2, v0
.LBB6_1445:                             ;   in Loop: Header=BB6_1409 Depth=2
	s_or_b64 exec, exec, s[66:67]
.LBB6_1446:                             ;   in Loop: Header=BB6_1409 Depth=2
	s_or_b64 exec, exec, s[64:65]
                                        ; implicit-def: $vgpr2
.LBB6_1447:                             ;   in Loop: Header=BB6_1409 Depth=2
	s_andn2_saveexec_b64 s[24:25], s[62:63]
; %bb.1448:                             ;   in Loop: Header=BB6_1409 Depth=2
	v_or_b32_sdwa v0, v2, s76 dst_sel:DWORD dst_unused:UNUSED_PAD src0_sel:BYTE_3 src1_sel:DWORD
	v_cmp_eq_u64_e32 vcc, 0, v[54:55]
	v_cndmask_b32_e32 v35, v0, v35, vcc
; %bb.1449:                             ;   in Loop: Header=BB6_1409 Depth=2
	s_or_b64 exec, exec, s[24:25]
	v_lshrrev_b16_e32 v24, 8, v14
	v_lshrrev_b16_e32 v2, 8, v10
	v_cmp_ne_u16_e64 s[24:25], 0, v24
	s_and_b64 vcc, exec, s[60:61]
	s_cbranch_vccz .LBB6_1463
; %bb.1450:                             ;   in Loop: Header=BB6_1409 Depth=2
	v_mov_b32_e32 v3, 0
	v_mov_b32_e32 v0, 0
	s_and_saveexec_b64 s[62:63], s[24:25]
	s_cbranch_execz .LBB6_1456
; %bb.1451:                             ;   in Loop: Header=BB6_1409 Depth=2
	v_cmp_ne_u16_e32 vcc, s75, v24
	v_bfrev_b32_e32 v0, 1
	s_and_saveexec_b64 s[64:65], vcc
	s_cbranch_execz .LBB6_1455
; %bb.1452:                             ;   in Loop: Header=BB6_1409 Depth=2
	v_and_b32_e32 v4, 0x7f, v24
	v_cmp_ne_u32_e32 vcc, s76, v4
	v_mov_b32_e32 v0, 0x7f800001
	s_and_saveexec_b64 s[66:67], vcc
	s_cbranch_execz .LBB6_1454
; %bb.1453:                             ;   in Loop: Header=BB6_1409 Depth=2
	v_and_b32_e32 v0, 7, v24
	v_ffbh_u32_e32 v6, v0
	v_min_u32_e32 v8, 32, v6
	v_subrev_u32_e32 v6, 28, v8
	v_lshlrev_b64 v[6:7], v6, v[24:25]
	v_lshrrev_b32_e32 v5, 3, v4
	v_sub_u32_e32 v7, 29, v8
	v_and_b32_e32 v6, 7, v6
	v_cmp_gt_u32_e32 vcc, 8, v4
	v_cndmask_b32_e32 v4, v5, v7, vcc
	v_cndmask_b32_e32 v0, v0, v6, vcc
	v_lshlrev_b32_e32 v5, 16, v14
	v_lshlrev_b32_e32 v0, 20, v0
	v_and_b32_e32 v5, 0x80000000, v5
	v_lshl_add_u32 v4, v4, 23, v26
	v_or3_b32 v0, v5, v4, v0
.LBB6_1454:                             ;   in Loop: Header=BB6_1409 Depth=2
	s_or_b64 exec, exec, s[66:67]
.LBB6_1455:                             ;   in Loop: Header=BB6_1409 Depth=2
	s_or_b64 exec, exec, s[64:65]
.LBB6_1456:                             ;   in Loop: Header=BB6_1409 Depth=2
	s_or_b64 exec, exec, s[62:63]
	v_cmp_ne_u16_e32 vcc, 0, v2
	s_and_saveexec_b64 s[62:63], vcc
	s_cbranch_execz .LBB6_1462
; %bb.1457:                             ;   in Loop: Header=BB6_1409 Depth=2
	v_cmp_ne_u16_e32 vcc, s75, v2
	v_bfrev_b32_e32 v3, 1
	s_and_saveexec_b64 s[64:65], vcc
	s_cbranch_execz .LBB6_1461
; %bb.1458:                             ;   in Loop: Header=BB6_1409 Depth=2
	v_and_b32_e32 v4, 0x7f, v2
	v_cmp_ne_u32_e32 vcc, s76, v4
	v_mov_b32_e32 v3, 0x7f800001
	s_and_saveexec_b64 s[66:67], vcc
	s_cbranch_execz .LBB6_1460
; %bb.1459:                             ;   in Loop: Header=BB6_1409 Depth=2
	v_and_b32_e32 v3, 7, v2
	v_ffbh_u32_e32 v6, v3
	v_min_u32_e32 v8, 32, v6
	v_subrev_u32_e32 v6, 28, v8
	v_lshlrev_b64 v[6:7], v6, v[2:3]
	v_lshrrev_b32_e32 v5, 3, v4
	v_sub_u32_e32 v7, 29, v8
	v_and_b32_e32 v6, 7, v6
	v_cmp_gt_u32_e32 vcc, 8, v4
	v_cndmask_b32_e32 v4, v5, v7, vcc
	v_cndmask_b32_e32 v3, v3, v6, vcc
	v_lshlrev_b32_e32 v5, 16, v10
	v_lshlrev_b32_e32 v3, 20, v3
	v_and_b32_e32 v5, 0x80000000, v5
	v_lshl_add_u32 v4, v4, 23, v26
	v_or3_b32 v3, v5, v4, v3
.LBB6_1460:                             ;   in Loop: Header=BB6_1409 Depth=2
	s_or_b64 exec, exec, s[66:67]
.LBB6_1461:                             ;   in Loop: Header=BB6_1409 Depth=2
	s_or_b64 exec, exec, s[64:65]
.LBB6_1462:                             ;   in Loop: Header=BB6_1409 Depth=2
	s_or_b64 exec, exec, s[62:63]
	v_max_f32_e32 v3, v3, v3
	v_max_f32_e32 v0, v0, v0
	;; [unrolled: 1-line block ×3, first 2 shown]
	s_branch .LBB6_1477
.LBB6_1463:                             ;   in Loop: Header=BB6_1409 Depth=2
                                        ; implicit-def: $vgpr3
	s_cbranch_execz .LBB6_1477
; %bb.1464:                             ;   in Loop: Header=BB6_1409 Depth=2
	v_mov_b32_e32 v3, 0
	v_mov_b32_e32 v0, 0
	s_and_saveexec_b64 s[62:63], s[24:25]
	s_cbranch_execz .LBB6_1470
; %bb.1465:                             ;   in Loop: Header=BB6_1409 Depth=2
	v_cmp_ne_u16_e32 vcc, s75, v24
	v_bfrev_b32_e32 v0, 1
	s_and_saveexec_b64 s[24:25], vcc
	s_cbranch_execz .LBB6_1469
; %bb.1466:                             ;   in Loop: Header=BB6_1409 Depth=2
	v_and_b32_e32 v4, 0x7f, v24
	v_cmp_ne_u32_e32 vcc, s76, v4
	v_mov_b32_e32 v0, 0x7f800001
	s_and_saveexec_b64 s[64:65], vcc
	s_cbranch_execz .LBB6_1468
; %bb.1467:                             ;   in Loop: Header=BB6_1409 Depth=2
	v_and_b32_e32 v0, 7, v24
	v_ffbh_u32_e32 v6, v0
	v_min_u32_e32 v8, 32, v6
	v_subrev_u32_e32 v6, 28, v8
	v_lshlrev_b64 v[6:7], v6, v[24:25]
	v_lshrrev_b32_e32 v5, 3, v4
	v_sub_u32_e32 v7, 29, v8
	v_and_b32_e32 v6, 7, v6
	v_cmp_gt_u32_e32 vcc, 8, v4
	v_cndmask_b32_e32 v4, v5, v7, vcc
	v_cndmask_b32_e32 v0, v0, v6, vcc
	v_lshlrev_b32_e32 v5, 16, v14
	v_lshlrev_b32_e32 v0, 20, v0
	v_and_b32_e32 v5, 0x80000000, v5
	v_lshl_add_u32 v4, v4, 23, v26
	v_or3_b32 v0, v5, v4, v0
.LBB6_1468:                             ;   in Loop: Header=BB6_1409 Depth=2
	s_or_b64 exec, exec, s[64:65]
.LBB6_1469:                             ;   in Loop: Header=BB6_1409 Depth=2
	s_or_b64 exec, exec, s[24:25]
.LBB6_1470:                             ;   in Loop: Header=BB6_1409 Depth=2
	s_or_b64 exec, exec, s[62:63]
	v_cmp_ne_u16_e32 vcc, 0, v2
	s_and_saveexec_b64 s[24:25], vcc
	s_cbranch_execz .LBB6_1476
; %bb.1471:                             ;   in Loop: Header=BB6_1409 Depth=2
	v_cmp_ne_u16_e32 vcc, s75, v2
	v_bfrev_b32_e32 v3, 1
	s_and_saveexec_b64 s[62:63], vcc
	s_cbranch_execz .LBB6_1475
; %bb.1472:                             ;   in Loop: Header=BB6_1409 Depth=2
	v_and_b32_e32 v4, 0x7f, v2
	v_cmp_ne_u32_e32 vcc, s76, v4
	v_mov_b32_e32 v3, 0x7f800001
	s_and_saveexec_b64 s[64:65], vcc
	s_cbranch_execz .LBB6_1474
; %bb.1473:                             ;   in Loop: Header=BB6_1409 Depth=2
	v_and_b32_e32 v5, 7, v2
	v_ffbh_u32_e32 v3, v5
	v_min_u32_e32 v7, 32, v3
	v_subrev_u32_e32 v3, 28, v7
	v_lshlrev_b64 v[2:3], v3, v[2:3]
	v_lshrrev_b32_e32 v6, 3, v4
	v_sub_u32_e32 v3, 29, v7
	v_and_b32_e32 v2, 7, v2
	v_cmp_gt_u32_e32 vcc, 8, v4
	v_cndmask_b32_e32 v3, v6, v3, vcc
	v_cndmask_b32_e32 v2, v5, v2, vcc
	v_lshlrev_b32_e32 v4, 16, v10
	v_lshlrev_b32_e32 v2, 20, v2
	v_and_b32_e32 v4, 0x80000000, v4
	v_lshl_add_u32 v3, v3, 23, v26
	v_or3_b32 v3, v4, v3, v2
.LBB6_1474:                             ;   in Loop: Header=BB6_1409 Depth=2
	s_or_b64 exec, exec, s[64:65]
.LBB6_1475:                             ;   in Loop: Header=BB6_1409 Depth=2
	s_or_b64 exec, exec, s[62:63]
.LBB6_1476:                             ;   in Loop: Header=BB6_1409 Depth=2
	s_or_b64 exec, exec, s[24:25]
	v_max_f32_e32 v2, v3, v3
	v_max_f32_e32 v0, v0, v0
	v_min_f32_e32 v3, v0, v2
.LBB6_1477:                             ;   in Loop: Header=BB6_1409 Depth=2
	v_and_b32_sdwa v0, v3, s75 dst_sel:DWORD dst_unused:UNUSED_PAD src0_sel:BYTE_3 src1_sel:DWORD
	v_and_b32_e32 v4, 0x7f800000, v3
	v_mov_b32_e32 v5, v55
	v_and_b32_e32 v54, 0x7fffff, v3
	v_or_b32_e32 v52, 0x7e, v0
	v_cmp_ne_u64_e32 vcc, s[44:45], v[4:5]
	s_and_saveexec_b64 s[24:25], vcc
	s_xor_b64 s[62:63], exec, s[24:25]
	s_cbranch_execz .LBB6_1487
; %bb.1478:                             ;   in Loop: Header=BB6_1409 Depth=2
	v_and_b32_e32 v4, 0x7fffffff, v3
	v_mov_b32_e32 v5, v55
	v_cmp_gt_u64_e32 vcc, s[46:47], v[4:5]
	s_and_saveexec_b64 s[64:65], vcc
	s_cbranch_execz .LBB6_1486
; %bb.1479:                             ;   in Loop: Header=BB6_1409 Depth=2
	v_cmp_ne_u32_e32 vcc, 0, v3
	v_mov_b32_e32 v52, 0
	s_and_saveexec_b64 s[66:67], vcc
	s_cbranch_execz .LBB6_1485
; %bb.1480:                             ;   in Loop: Header=BB6_1409 Depth=2
	v_bfe_u32 v2, v3, 23, 8
	v_sub_u32_e32 v4, 0x79, v2
	v_cmp_gt_u32_e32 vcc, s78, v2
	v_cndmask_b32_e32 v4, 0, v4, vcc
	v_cmp_eq_u32_e32 vcc, 0, v2
	v_or_b32_e32 v5, 0x800000, v54
	v_cndmask_b32_e32 v4, v4, v32, vcc
	v_add_u32_e32 v3, 0xffffff81, v2
	v_cndmask_b32_e32 v54, v5, v54, vcc
	v_add_u32_e32 v2, 20, v4
	v_cndmask_b32_e32 v24, v3, v33, vcc
	v_lshlrev_b64 v[2:3], v2, -1
	v_add_u32_e32 v5, 19, v4
	v_lshrrev_b64 v[8:9], v4, v[54:55]
	v_not_b32_e32 v3, v3
	v_not_b32_e32 v2, v2
	v_lshlrev_b64 v[6:7], v5, 1
	v_lshrrev_b32_e32 v5, 23, v8
	v_and_b32_e32 v3, 0, v3
	v_and_b32_e32 v2, v54, v2
	v_add3_u32 v24, v4, v24, v5
	v_bfe_u32 v4, v8, 20, 1
	v_add_u32_e32 v4, -1, v4
	v_cmp_eq_u64_e32 vcc, v[2:3], v[6:7]
	v_cndmask_b32_e32 v2, 0, v4, vcc
	v_add_u32_e32 v2, v2, v8
	v_and_b32_e32 v2, 0xfffff, v2
	v_add_co_u32_e32 v2, vcc, v2, v8
	v_add_u32_e32 v5, 6, v24
	v_addc_co_u32_e32 v3, vcc, 0, v9, vcc
	v_cmp_ne_u32_e32 vcc, 0, v5
                                        ; implicit-def: $vgpr4
	s_and_saveexec_b64 s[24:25], vcc
	s_xor_b64 s[24:25], exec, s[24:25]
; %bb.1481:                             ;   in Loop: Header=BB6_1409 Depth=2
	v_add_u32_e32 v4, 7, v24
	v_cmp_lt_u64_e32 vcc, s[50:51], v[2:3]
	v_cndmask_b32_e32 v4, v5, v4, vcc
	v_cndmask_b32_e64 v5, 0, 1, vcc
	v_lshrrev_b64 v[2:3], v5, v[2:3]
; %bb.1482:                             ;   in Loop: Header=BB6_1409 Depth=2
	s_andn2_saveexec_b64 s[24:25], s[24:25]
; %bb.1483:                             ;   in Loop: Header=BB6_1409 Depth=2
	v_bfe_u32 v4, v2, 23, 1
; %bb.1484:                             ;   in Loop: Header=BB6_1409 Depth=2
	s_or_b64 exec, exec, s[24:25]
	v_lshrrev_b64 v[2:3], 20, v[2:3]
	v_cmp_gt_i32_e32 vcc, 16, v4
	v_cndmask_b32_e32 v3, 0, v3, vcc
	v_cndmask_b32_e32 v2, 7, v2, vcc
	v_cmp_eq_u64_e64 s[24:25], 0, v[2:3]
	v_min_i32_e32 v3, 15, v4
	v_cmp_eq_u32_e32 vcc, 0, v4
	v_lshlrev_b32_e32 v3, 3, v3
	v_and_or_b32 v2, v2, 7, v3
	s_and_b64 s[24:25], vcc, s[24:25]
	v_cndmask_b32_e64 v2, v2, 0, s[24:25]
	v_or_b32_e32 v52, v2, v0
.LBB6_1485:                             ;   in Loop: Header=BB6_1409 Depth=2
	s_or_b64 exec, exec, s[66:67]
.LBB6_1486:                             ;   in Loop: Header=BB6_1409 Depth=2
	s_or_b64 exec, exec, s[64:65]
                                        ; implicit-def: $vgpr3
.LBB6_1487:                             ;   in Loop: Header=BB6_1409 Depth=2
	s_andn2_saveexec_b64 s[24:25], s[62:63]
; %bb.1488:                             ;   in Loop: Header=BB6_1409 Depth=2
	v_or_b32_sdwa v0, v3, s76 dst_sel:DWORD dst_unused:UNUSED_PAD src0_sel:BYTE_3 src1_sel:DWORD
	v_cmp_eq_u64_e32 vcc, 0, v[54:55]
	v_cndmask_b32_e32 v52, v0, v52, vcc
; %bb.1489:                             ;   in Loop: Header=BB6_1409 Depth=2
	s_or_b64 exec, exec, s[24:25]
	v_lshrrev_b32_e32 v24, 16, v14
	v_lshrrev_b32_e32 v2, 16, v10
	v_cmp_ne_u16_sdwa s[24:25], v24, v55 src0_sel:BYTE_0 src1_sel:DWORD
	s_and_b64 vcc, exec, s[60:61]
	s_cbranch_vccz .LBB6_1503
; %bb.1490:                             ;   in Loop: Header=BB6_1409 Depth=2
	v_mov_b32_e32 v3, 0
	v_mov_b32_e32 v0, 0
	s_and_saveexec_b64 s[62:63], s[24:25]
	s_cbranch_execz .LBB6_1496
; %bb.1491:                             ;   in Loop: Header=BB6_1409 Depth=2
	v_cmp_ne_u16_sdwa vcc, v24, s75 src0_sel:BYTE_0 src1_sel:DWORD
	v_bfrev_b32_e32 v0, 1
	s_and_saveexec_b64 s[64:65], vcc
	s_cbranch_execz .LBB6_1495
; %bb.1492:                             ;   in Loop: Header=BB6_1409 Depth=2
	v_bfe_u32 v4, v14, 16, 7
	v_cmp_ne_u32_e32 vcc, s76, v4
	v_mov_b32_e32 v0, 0x7f800001
	s_and_saveexec_b64 s[66:67], vcc
	s_cbranch_execz .LBB6_1494
; %bb.1493:                             ;   in Loop: Header=BB6_1409 Depth=2
	v_and_b32_e32 v0, 7, v24
	v_ffbh_u32_e32 v6, v0
	v_min_u32_e32 v8, 32, v6
	v_subrev_u32_e32 v6, 28, v8
	v_lshlrev_b64 v[6:7], v6, v[24:25]
	v_lshrrev_b32_e32 v5, 3, v4
	v_sub_u32_e32 v7, 29, v8
	v_and_b32_e32 v6, 7, v6
	v_cmp_gt_u32_e32 vcc, 8, v4
	v_cndmask_b32_e32 v4, v5, v7, vcc
	v_cndmask_b32_e32 v0, v0, v6, vcc
	v_lshlrev_b32_e32 v5, 24, v24
	v_lshlrev_b32_e32 v0, 20, v0
	v_and_b32_e32 v5, 0x80000000, v5
	v_lshl_add_u32 v4, v4, 23, v26
	v_or3_b32 v0, v5, v4, v0
.LBB6_1494:                             ;   in Loop: Header=BB6_1409 Depth=2
	s_or_b64 exec, exec, s[66:67]
.LBB6_1495:                             ;   in Loop: Header=BB6_1409 Depth=2
	s_or_b64 exec, exec, s[64:65]
.LBB6_1496:                             ;   in Loop: Header=BB6_1409 Depth=2
	s_or_b64 exec, exec, s[62:63]
	v_cmp_ne_u16_sdwa vcc, v2, v55 src0_sel:BYTE_0 src1_sel:DWORD
	s_and_saveexec_b64 s[62:63], vcc
	s_cbranch_execz .LBB6_1502
; %bb.1497:                             ;   in Loop: Header=BB6_1409 Depth=2
	v_cmp_ne_u16_sdwa vcc, v2, s75 src0_sel:BYTE_0 src1_sel:DWORD
	v_bfrev_b32_e32 v3, 1
	s_and_saveexec_b64 s[64:65], vcc
	s_cbranch_execz .LBB6_1501
; %bb.1498:                             ;   in Loop: Header=BB6_1409 Depth=2
	v_bfe_u32 v4, v10, 16, 7
	v_cmp_ne_u32_e32 vcc, s76, v4
	v_mov_b32_e32 v3, 0x7f800001
	s_and_saveexec_b64 s[66:67], vcc
	s_cbranch_execz .LBB6_1500
; %bb.1499:                             ;   in Loop: Header=BB6_1409 Depth=2
	v_and_b32_e32 v3, 7, v2
	v_ffbh_u32_e32 v6, v3
	v_min_u32_e32 v8, 32, v6
	v_subrev_u32_e32 v6, 28, v8
	v_lshlrev_b64 v[6:7], v6, v[2:3]
	v_lshrrev_b32_e32 v5, 3, v4
	v_sub_u32_e32 v7, 29, v8
	v_and_b32_e32 v6, 7, v6
	v_cmp_gt_u32_e32 vcc, 8, v4
	v_cndmask_b32_e32 v4, v5, v7, vcc
	v_cndmask_b32_e32 v3, v3, v6, vcc
	v_lshlrev_b32_e32 v5, 24, v2
	v_lshlrev_b32_e32 v3, 20, v3
	v_and_b32_e32 v5, 0x80000000, v5
	v_lshl_add_u32 v4, v4, 23, v26
	v_or3_b32 v3, v5, v4, v3
.LBB6_1500:                             ;   in Loop: Header=BB6_1409 Depth=2
	s_or_b64 exec, exec, s[66:67]
.LBB6_1501:                             ;   in Loop: Header=BB6_1409 Depth=2
	s_or_b64 exec, exec, s[64:65]
.LBB6_1502:                             ;   in Loop: Header=BB6_1409 Depth=2
	s_or_b64 exec, exec, s[62:63]
	v_max_f32_e32 v3, v3, v3
	v_max_f32_e32 v0, v0, v0
	;; [unrolled: 1-line block ×3, first 2 shown]
	s_branch .LBB6_1517
.LBB6_1503:                             ;   in Loop: Header=BB6_1409 Depth=2
                                        ; implicit-def: $vgpr3
	s_cbranch_execz .LBB6_1517
; %bb.1504:                             ;   in Loop: Header=BB6_1409 Depth=2
	v_mov_b32_e32 v3, 0
	v_mov_b32_e32 v0, 0
	s_and_saveexec_b64 s[62:63], s[24:25]
	s_cbranch_execz .LBB6_1510
; %bb.1505:                             ;   in Loop: Header=BB6_1409 Depth=2
	v_cmp_ne_u16_sdwa vcc, v24, s75 src0_sel:BYTE_0 src1_sel:DWORD
	v_bfrev_b32_e32 v0, 1
	s_and_saveexec_b64 s[24:25], vcc
	s_cbranch_execz .LBB6_1509
; %bb.1506:                             ;   in Loop: Header=BB6_1409 Depth=2
	v_bfe_u32 v4, v14, 16, 7
	v_cmp_ne_u32_e32 vcc, s76, v4
	v_mov_b32_e32 v0, 0x7f800001
	s_and_saveexec_b64 s[64:65], vcc
	s_cbranch_execz .LBB6_1508
; %bb.1507:                             ;   in Loop: Header=BB6_1409 Depth=2
	v_and_b32_e32 v0, 7, v24
	v_ffbh_u32_e32 v6, v0
	v_min_u32_e32 v8, 32, v6
	v_subrev_u32_e32 v6, 28, v8
	v_lshlrev_b64 v[6:7], v6, v[24:25]
	v_lshrrev_b32_e32 v5, 3, v4
	v_sub_u32_e32 v7, 29, v8
	v_and_b32_e32 v6, 7, v6
	v_cmp_gt_u32_e32 vcc, 8, v4
	v_cndmask_b32_e32 v4, v5, v7, vcc
	v_cndmask_b32_e32 v0, v0, v6, vcc
	v_lshlrev_b32_e32 v5, 24, v24
	v_lshlrev_b32_e32 v0, 20, v0
	v_and_b32_e32 v5, 0x80000000, v5
	v_lshl_add_u32 v4, v4, 23, v26
	v_or3_b32 v0, v5, v4, v0
.LBB6_1508:                             ;   in Loop: Header=BB6_1409 Depth=2
	s_or_b64 exec, exec, s[64:65]
.LBB6_1509:                             ;   in Loop: Header=BB6_1409 Depth=2
	s_or_b64 exec, exec, s[24:25]
.LBB6_1510:                             ;   in Loop: Header=BB6_1409 Depth=2
	s_or_b64 exec, exec, s[62:63]
	v_cmp_ne_u16_sdwa vcc, v2, v55 src0_sel:BYTE_0 src1_sel:DWORD
	s_and_saveexec_b64 s[24:25], vcc
	s_cbranch_execz .LBB6_1516
; %bb.1511:                             ;   in Loop: Header=BB6_1409 Depth=2
	v_cmp_ne_u16_sdwa vcc, v2, s75 src0_sel:BYTE_0 src1_sel:DWORD
	v_bfrev_b32_e32 v3, 1
	s_and_saveexec_b64 s[62:63], vcc
	s_cbranch_execz .LBB6_1515
; %bb.1512:                             ;   in Loop: Header=BB6_1409 Depth=2
	v_bfe_u32 v4, v10, 16, 7
	v_cmp_ne_u32_e32 vcc, s76, v4
	v_mov_b32_e32 v3, 0x7f800001
	s_and_saveexec_b64 s[64:65], vcc
	s_cbranch_execz .LBB6_1514
; %bb.1513:                             ;   in Loop: Header=BB6_1409 Depth=2
	v_and_b32_e32 v3, 7, v2
	v_ffbh_u32_e32 v6, v3
	v_min_u32_e32 v8, 32, v6
	v_subrev_u32_e32 v6, 28, v8
	v_lshlrev_b64 v[6:7], v6, v[2:3]
	v_lshrrev_b32_e32 v5, 3, v4
	v_sub_u32_e32 v7, 29, v8
	v_and_b32_e32 v6, 7, v6
	v_cmp_gt_u32_e32 vcc, 8, v4
	v_cndmask_b32_e32 v4, v5, v7, vcc
	v_cndmask_b32_e32 v3, v3, v6, vcc
	v_lshlrev_b32_e32 v2, 24, v2
	v_lshlrev_b32_e32 v3, 20, v3
	v_and_b32_e32 v2, 0x80000000, v2
	v_lshl_add_u32 v4, v4, 23, v26
	v_or3_b32 v3, v2, v4, v3
.LBB6_1514:                             ;   in Loop: Header=BB6_1409 Depth=2
	s_or_b64 exec, exec, s[64:65]
.LBB6_1515:                             ;   in Loop: Header=BB6_1409 Depth=2
	s_or_b64 exec, exec, s[62:63]
.LBB6_1516:                             ;   in Loop: Header=BB6_1409 Depth=2
	s_or_b64 exec, exec, s[24:25]
	v_max_f32_e32 v2, v3, v3
	v_max_f32_e32 v0, v0, v0
	v_min_f32_e32 v3, v0, v2
.LBB6_1517:                             ;   in Loop: Header=BB6_1409 Depth=2
	v_and_b32_sdwa v0, v3, s75 dst_sel:DWORD dst_unused:UNUSED_PAD src0_sel:BYTE_3 src1_sel:DWORD
	v_and_b32_e32 v4, 0x7f800000, v3
	v_mov_b32_e32 v5, v55
	v_and_b32_e32 v54, 0x7fffff, v3
	v_or_b32_e32 v29, 0x7e, v0
	v_cmp_ne_u64_e32 vcc, s[44:45], v[4:5]
	s_and_saveexec_b64 s[24:25], vcc
	s_xor_b64 s[62:63], exec, s[24:25]
	s_cbranch_execz .LBB6_1527
; %bb.1518:                             ;   in Loop: Header=BB6_1409 Depth=2
	v_and_b32_e32 v4, 0x7fffffff, v3
	v_mov_b32_e32 v5, v55
	v_cmp_gt_u64_e32 vcc, s[46:47], v[4:5]
	s_and_saveexec_b64 s[64:65], vcc
	s_cbranch_execz .LBB6_1526
; %bb.1519:                             ;   in Loop: Header=BB6_1409 Depth=2
	v_cmp_ne_u32_e32 vcc, 0, v3
	v_mov_b32_e32 v29, 0
	s_and_saveexec_b64 s[66:67], vcc
	s_cbranch_execz .LBB6_1525
; %bb.1520:                             ;   in Loop: Header=BB6_1409 Depth=2
	v_bfe_u32 v2, v3, 23, 8
	v_sub_u32_e32 v4, 0x79, v2
	v_cmp_gt_u32_e32 vcc, s78, v2
	v_cndmask_b32_e32 v4, 0, v4, vcc
	v_cmp_eq_u32_e32 vcc, 0, v2
	v_or_b32_e32 v5, 0x800000, v54
	v_cndmask_b32_e32 v4, v4, v32, vcc
	v_add_u32_e32 v3, 0xffffff81, v2
	v_cndmask_b32_e32 v54, v5, v54, vcc
	v_add_u32_e32 v2, 20, v4
	v_cndmask_b32_e32 v24, v3, v33, vcc
	v_lshlrev_b64 v[2:3], v2, -1
	v_add_u32_e32 v5, 19, v4
	v_lshrrev_b64 v[8:9], v4, v[54:55]
	v_not_b32_e32 v3, v3
	v_not_b32_e32 v2, v2
	v_lshlrev_b64 v[6:7], v5, 1
	v_lshrrev_b32_e32 v5, 23, v8
	v_and_b32_e32 v3, 0, v3
	v_and_b32_e32 v2, v54, v2
	v_add3_u32 v24, v4, v24, v5
	v_bfe_u32 v4, v8, 20, 1
	v_add_u32_e32 v4, -1, v4
	v_cmp_eq_u64_e32 vcc, v[2:3], v[6:7]
	v_cndmask_b32_e32 v2, 0, v4, vcc
	v_add_u32_e32 v2, v2, v8
	v_and_b32_e32 v2, 0xfffff, v2
	v_add_co_u32_e32 v2, vcc, v2, v8
	v_add_u32_e32 v5, 6, v24
	v_addc_co_u32_e32 v3, vcc, 0, v9, vcc
	v_cmp_ne_u32_e32 vcc, 0, v5
                                        ; implicit-def: $vgpr4
	s_and_saveexec_b64 s[24:25], vcc
	s_xor_b64 s[24:25], exec, s[24:25]
; %bb.1521:                             ;   in Loop: Header=BB6_1409 Depth=2
	v_add_u32_e32 v4, 7, v24
	v_cmp_lt_u64_e32 vcc, s[50:51], v[2:3]
	v_cndmask_b32_e32 v4, v5, v4, vcc
	v_cndmask_b32_e64 v5, 0, 1, vcc
	v_lshrrev_b64 v[2:3], v5, v[2:3]
; %bb.1522:                             ;   in Loop: Header=BB6_1409 Depth=2
	s_andn2_saveexec_b64 s[24:25], s[24:25]
; %bb.1523:                             ;   in Loop: Header=BB6_1409 Depth=2
	v_bfe_u32 v4, v2, 23, 1
; %bb.1524:                             ;   in Loop: Header=BB6_1409 Depth=2
	s_or_b64 exec, exec, s[24:25]
	v_lshrrev_b64 v[2:3], 20, v[2:3]
	v_cmp_gt_i32_e32 vcc, 16, v4
	v_cndmask_b32_e32 v3, 0, v3, vcc
	v_cndmask_b32_e32 v2, 7, v2, vcc
	v_cmp_eq_u64_e64 s[24:25], 0, v[2:3]
	v_min_i32_e32 v3, 15, v4
	v_cmp_eq_u32_e32 vcc, 0, v4
	v_lshlrev_b32_e32 v3, 3, v3
	v_and_or_b32 v2, v2, 7, v3
	s_and_b64 s[24:25], vcc, s[24:25]
	v_cndmask_b32_e64 v2, v2, 0, s[24:25]
	v_or_b32_e32 v29, v2, v0
.LBB6_1525:                             ;   in Loop: Header=BB6_1409 Depth=2
	s_or_b64 exec, exec, s[66:67]
.LBB6_1526:                             ;   in Loop: Header=BB6_1409 Depth=2
	s_or_b64 exec, exec, s[64:65]
                                        ; implicit-def: $vgpr3
.LBB6_1527:                             ;   in Loop: Header=BB6_1409 Depth=2
	s_andn2_saveexec_b64 s[24:25], s[62:63]
; %bb.1528:                             ;   in Loop: Header=BB6_1409 Depth=2
	v_or_b32_sdwa v0, v3, s76 dst_sel:DWORD dst_unused:UNUSED_PAD src0_sel:BYTE_3 src1_sel:DWORD
	v_cmp_eq_u64_e32 vcc, 0, v[54:55]
	v_cndmask_b32_e32 v29, v0, v29, vcc
; %bb.1529:                             ;   in Loop: Header=BB6_1409 Depth=2
	s_or_b64 exec, exec, s[24:25]
	v_lshrrev_b32_e32 v24, 24, v14
	v_lshrrev_b32_e32 v2, 24, v10
	v_cmp_lt_u32_e64 s[24:25], s49, v14
	s_and_b64 vcc, exec, s[60:61]
	s_cbranch_vccz .LBB6_1543
; %bb.1530:                             ;   in Loop: Header=BB6_1409 Depth=2
	v_mov_b32_e32 v3, 0
	v_mov_b32_e32 v0, 0
	s_and_saveexec_b64 s[62:63], s[24:25]
	s_cbranch_execz .LBB6_1536
; %bb.1531:                             ;   in Loop: Header=BB6_1409 Depth=2
	v_cmp_ne_u32_e32 vcc, s75, v24
	v_bfrev_b32_e32 v0, 1
	s_and_saveexec_b64 s[64:65], vcc
	s_cbranch_execz .LBB6_1535
; %bb.1532:                             ;   in Loop: Header=BB6_1409 Depth=2
	v_bfe_u32 v4, v14, 24, 7
	v_cmp_ne_u32_e32 vcc, s76, v4
	v_mov_b32_e32 v0, 0x7f800001
	s_and_saveexec_b64 s[66:67], vcc
	s_cbranch_execz .LBB6_1534
; %bb.1533:                             ;   in Loop: Header=BB6_1409 Depth=2
	v_and_b32_e32 v0, 7, v24
	v_ffbh_u32_e32 v6, v0
	v_min_u32_e32 v8, 32, v6
	v_subrev_u32_e32 v6, 28, v8
	v_lshlrev_b64 v[6:7], v6, v[24:25]
	v_lshrrev_b32_e32 v5, 3, v4
	v_sub_u32_e32 v7, 29, v8
	v_and_b32_e32 v6, 7, v6
	v_cmp_gt_u32_e32 vcc, 8, v4
	v_cndmask_b32_e32 v4, v5, v7, vcc
	v_cndmask_b32_e32 v0, v0, v6, vcc
	v_lshlrev_b32_e32 v5, 24, v24
	v_lshlrev_b32_e32 v0, 20, v0
	v_and_b32_e32 v5, 0x80000000, v5
	v_lshl_add_u32 v4, v4, 23, v26
	v_or3_b32 v0, v5, v4, v0
.LBB6_1534:                             ;   in Loop: Header=BB6_1409 Depth=2
	s_or_b64 exec, exec, s[66:67]
.LBB6_1535:                             ;   in Loop: Header=BB6_1409 Depth=2
	s_or_b64 exec, exec, s[64:65]
.LBB6_1536:                             ;   in Loop: Header=BB6_1409 Depth=2
	s_or_b64 exec, exec, s[62:63]
	v_cmp_lt_u32_e32 vcc, s49, v10
	s_and_saveexec_b64 s[62:63], vcc
	s_cbranch_execz .LBB6_1542
; %bb.1537:                             ;   in Loop: Header=BB6_1409 Depth=2
	v_cmp_ne_u32_e32 vcc, s75, v2
	v_bfrev_b32_e32 v3, 1
	s_and_saveexec_b64 s[64:65], vcc
	s_cbranch_execz .LBB6_1541
; %bb.1538:                             ;   in Loop: Header=BB6_1409 Depth=2
	v_bfe_u32 v4, v10, 24, 7
	v_cmp_ne_u32_e32 vcc, s76, v4
	v_mov_b32_e32 v3, 0x7f800001
	s_and_saveexec_b64 s[66:67], vcc
	s_cbranch_execz .LBB6_1540
; %bb.1539:                             ;   in Loop: Header=BB6_1409 Depth=2
	v_and_b32_e32 v3, 7, v2
	v_ffbh_u32_e32 v6, v3
	v_min_u32_e32 v8, 32, v6
	v_subrev_u32_e32 v6, 28, v8
	v_lshlrev_b64 v[6:7], v6, v[2:3]
	v_lshrrev_b32_e32 v5, 3, v4
	v_sub_u32_e32 v7, 29, v8
	v_and_b32_e32 v6, 7, v6
	v_cmp_gt_u32_e32 vcc, 8, v4
	v_cndmask_b32_e32 v4, v5, v7, vcc
	v_cndmask_b32_e32 v3, v3, v6, vcc
	v_lshlrev_b32_e32 v5, 24, v2
	v_lshlrev_b32_e32 v3, 20, v3
	v_and_b32_e32 v5, 0x80000000, v5
	v_lshl_add_u32 v4, v4, 23, v26
	v_or3_b32 v3, v5, v4, v3
.LBB6_1540:                             ;   in Loop: Header=BB6_1409 Depth=2
	s_or_b64 exec, exec, s[66:67]
.LBB6_1541:                             ;   in Loop: Header=BB6_1409 Depth=2
	s_or_b64 exec, exec, s[64:65]
.LBB6_1542:                             ;   in Loop: Header=BB6_1409 Depth=2
	s_or_b64 exec, exec, s[62:63]
	v_max_f32_e32 v3, v3, v3
	v_max_f32_e32 v0, v0, v0
	;; [unrolled: 1-line block ×3, first 2 shown]
	s_branch .LBB6_1557
.LBB6_1543:                             ;   in Loop: Header=BB6_1409 Depth=2
                                        ; implicit-def: $vgpr3
	s_cbranch_execz .LBB6_1557
; %bb.1544:                             ;   in Loop: Header=BB6_1409 Depth=2
	v_mov_b32_e32 v3, 0
	v_mov_b32_e32 v0, 0
	s_and_saveexec_b64 s[62:63], s[24:25]
	s_cbranch_execz .LBB6_1550
; %bb.1545:                             ;   in Loop: Header=BB6_1409 Depth=2
	v_cmp_ne_u32_e32 vcc, s75, v24
	v_bfrev_b32_e32 v0, 1
	s_and_saveexec_b64 s[24:25], vcc
	s_cbranch_execz .LBB6_1549
; %bb.1546:                             ;   in Loop: Header=BB6_1409 Depth=2
	v_bfe_u32 v4, v14, 24, 7
	v_cmp_ne_u32_e32 vcc, s76, v4
	v_mov_b32_e32 v0, 0x7f800001
	s_and_saveexec_b64 s[64:65], vcc
	s_cbranch_execz .LBB6_1548
; %bb.1547:                             ;   in Loop: Header=BB6_1409 Depth=2
	v_and_b32_e32 v0, 7, v24
	v_ffbh_u32_e32 v6, v0
	v_min_u32_e32 v8, 32, v6
	v_subrev_u32_e32 v6, 28, v8
	v_lshlrev_b64 v[6:7], v6, v[24:25]
	v_lshrrev_b32_e32 v5, 3, v4
	v_sub_u32_e32 v7, 29, v8
	v_and_b32_e32 v6, 7, v6
	v_cmp_gt_u32_e32 vcc, 8, v4
	v_cndmask_b32_e32 v4, v5, v7, vcc
	v_cndmask_b32_e32 v0, v0, v6, vcc
	v_lshlrev_b32_e32 v5, 24, v24
	v_lshlrev_b32_e32 v0, 20, v0
	v_and_b32_e32 v5, 0x80000000, v5
	v_lshl_add_u32 v4, v4, 23, v26
	v_or3_b32 v0, v5, v4, v0
.LBB6_1548:                             ;   in Loop: Header=BB6_1409 Depth=2
	s_or_b64 exec, exec, s[64:65]
.LBB6_1549:                             ;   in Loop: Header=BB6_1409 Depth=2
	s_or_b64 exec, exec, s[24:25]
.LBB6_1550:                             ;   in Loop: Header=BB6_1409 Depth=2
	s_or_b64 exec, exec, s[62:63]
	v_cmp_lt_u32_e32 vcc, s49, v10
	s_and_saveexec_b64 s[24:25], vcc
	s_cbranch_execz .LBB6_1556
; %bb.1551:                             ;   in Loop: Header=BB6_1409 Depth=2
	v_cmp_ne_u32_e32 vcc, s75, v2
	v_bfrev_b32_e32 v3, 1
	s_and_saveexec_b64 s[62:63], vcc
	s_cbranch_execz .LBB6_1555
; %bb.1552:                             ;   in Loop: Header=BB6_1409 Depth=2
	v_bfe_u32 v4, v10, 24, 7
	v_cmp_ne_u32_e32 vcc, s76, v4
	v_mov_b32_e32 v3, 0x7f800001
	s_and_saveexec_b64 s[64:65], vcc
	s_cbranch_execz .LBB6_1554
; %bb.1553:                             ;   in Loop: Header=BB6_1409 Depth=2
	v_and_b32_e32 v3, 7, v2
	v_ffbh_u32_e32 v6, v3
	v_min_u32_e32 v8, 32, v6
	v_subrev_u32_e32 v6, 28, v8
	v_lshlrev_b64 v[6:7], v6, v[2:3]
	v_lshrrev_b32_e32 v5, 3, v4
	v_sub_u32_e32 v7, 29, v8
	v_and_b32_e32 v6, 7, v6
	v_cmp_gt_u32_e32 vcc, 8, v4
	v_cndmask_b32_e32 v4, v5, v7, vcc
	v_cndmask_b32_e32 v3, v3, v6, vcc
	v_lshlrev_b32_e32 v2, 24, v2
	v_lshlrev_b32_e32 v3, 20, v3
	v_and_b32_e32 v2, 0x80000000, v2
	v_lshl_add_u32 v4, v4, 23, v26
	v_or3_b32 v3, v2, v4, v3
.LBB6_1554:                             ;   in Loop: Header=BB6_1409 Depth=2
	s_or_b64 exec, exec, s[64:65]
.LBB6_1555:                             ;   in Loop: Header=BB6_1409 Depth=2
	s_or_b64 exec, exec, s[62:63]
.LBB6_1556:                             ;   in Loop: Header=BB6_1409 Depth=2
	s_or_b64 exec, exec, s[24:25]
	v_max_f32_e32 v2, v3, v3
	v_max_f32_e32 v0, v0, v0
	v_min_f32_e32 v3, v0, v2
.LBB6_1557:                             ;   in Loop: Header=BB6_1409 Depth=2
	v_and_b32_sdwa v0, v3, s75 dst_sel:DWORD dst_unused:UNUSED_PAD src0_sel:BYTE_3 src1_sel:DWORD
	v_and_b32_e32 v4, 0x7f800000, v3
	v_mov_b32_e32 v5, v55
	v_and_b32_e32 v54, 0x7fffff, v3
	v_or_b32_e32 v27, 0x7e, v0
	v_cmp_ne_u64_e32 vcc, s[44:45], v[4:5]
	s_and_saveexec_b64 s[24:25], vcc
	s_xor_b64 s[62:63], exec, s[24:25]
	s_cbranch_execz .LBB6_1567
; %bb.1558:                             ;   in Loop: Header=BB6_1409 Depth=2
	v_and_b32_e32 v4, 0x7fffffff, v3
	v_mov_b32_e32 v5, v55
	v_cmp_gt_u64_e32 vcc, s[46:47], v[4:5]
	s_and_saveexec_b64 s[64:65], vcc
	s_cbranch_execz .LBB6_1566
; %bb.1559:                             ;   in Loop: Header=BB6_1409 Depth=2
	v_cmp_ne_u32_e32 vcc, 0, v3
	v_mov_b32_e32 v27, 0
	s_and_saveexec_b64 s[66:67], vcc
	s_cbranch_execz .LBB6_1565
; %bb.1560:                             ;   in Loop: Header=BB6_1409 Depth=2
	v_bfe_u32 v2, v3, 23, 8
	v_sub_u32_e32 v4, 0x79, v2
	v_cmp_gt_u32_e32 vcc, s78, v2
	v_cndmask_b32_e32 v4, 0, v4, vcc
	v_cmp_eq_u32_e32 vcc, 0, v2
	v_or_b32_e32 v5, 0x800000, v54
	v_cndmask_b32_e32 v4, v4, v32, vcc
	v_add_u32_e32 v3, 0xffffff81, v2
	v_cndmask_b32_e32 v54, v5, v54, vcc
	v_add_u32_e32 v2, 20, v4
	v_cndmask_b32_e32 v24, v3, v33, vcc
	v_lshlrev_b64 v[2:3], v2, -1
	v_add_u32_e32 v5, 19, v4
	v_lshrrev_b64 v[8:9], v4, v[54:55]
	v_not_b32_e32 v3, v3
	v_not_b32_e32 v2, v2
	v_lshlrev_b64 v[6:7], v5, 1
	v_lshrrev_b32_e32 v5, 23, v8
	v_and_b32_e32 v3, 0, v3
	v_and_b32_e32 v2, v54, v2
	v_add3_u32 v24, v4, v24, v5
	v_bfe_u32 v4, v8, 20, 1
	v_add_u32_e32 v4, -1, v4
	v_cmp_eq_u64_e32 vcc, v[2:3], v[6:7]
	v_cndmask_b32_e32 v2, 0, v4, vcc
	v_add_u32_e32 v2, v2, v8
	v_and_b32_e32 v2, 0xfffff, v2
	v_add_co_u32_e32 v2, vcc, v2, v8
	v_add_u32_e32 v5, 6, v24
	v_addc_co_u32_e32 v3, vcc, 0, v9, vcc
	v_cmp_ne_u32_e32 vcc, 0, v5
                                        ; implicit-def: $vgpr4
	s_and_saveexec_b64 s[24:25], vcc
	s_xor_b64 s[24:25], exec, s[24:25]
; %bb.1561:                             ;   in Loop: Header=BB6_1409 Depth=2
	v_add_u32_e32 v4, 7, v24
	v_cmp_lt_u64_e32 vcc, s[50:51], v[2:3]
	v_cndmask_b32_e32 v4, v5, v4, vcc
	v_cndmask_b32_e64 v5, 0, 1, vcc
	v_lshrrev_b64 v[2:3], v5, v[2:3]
; %bb.1562:                             ;   in Loop: Header=BB6_1409 Depth=2
	s_andn2_saveexec_b64 s[24:25], s[24:25]
; %bb.1563:                             ;   in Loop: Header=BB6_1409 Depth=2
	v_bfe_u32 v4, v2, 23, 1
; %bb.1564:                             ;   in Loop: Header=BB6_1409 Depth=2
	s_or_b64 exec, exec, s[24:25]
	v_lshrrev_b64 v[2:3], 20, v[2:3]
	v_cmp_gt_i32_e32 vcc, 16, v4
	v_cndmask_b32_e32 v3, 0, v3, vcc
	v_cndmask_b32_e32 v2, 7, v2, vcc
	v_cmp_eq_u64_e64 s[24:25], 0, v[2:3]
	v_min_i32_e32 v3, 15, v4
	v_cmp_eq_u32_e32 vcc, 0, v4
	v_lshlrev_b32_e32 v3, 3, v3
	v_and_or_b32 v2, v2, 7, v3
	s_and_b64 s[24:25], vcc, s[24:25]
	v_cndmask_b32_e64 v2, v2, 0, s[24:25]
	v_or_b32_e32 v27, v2, v0
.LBB6_1565:                             ;   in Loop: Header=BB6_1409 Depth=2
	s_or_b64 exec, exec, s[66:67]
.LBB6_1566:                             ;   in Loop: Header=BB6_1409 Depth=2
	s_or_b64 exec, exec, s[64:65]
                                        ; implicit-def: $vgpr3
.LBB6_1567:                             ;   in Loop: Header=BB6_1409 Depth=2
	s_andn2_saveexec_b64 s[24:25], s[62:63]
; %bb.1568:                             ;   in Loop: Header=BB6_1409 Depth=2
	v_or_b32_sdwa v0, v3, s76 dst_sel:DWORD dst_unused:UNUSED_PAD src0_sel:BYTE_3 src1_sel:DWORD
	v_cmp_eq_u64_e32 vcc, 0, v[54:55]
	v_cndmask_b32_e32 v27, v0, v27, vcc
; %bb.1569:                             ;   in Loop: Header=BB6_1409 Depth=2
	s_or_b64 exec, exec, s[24:25]
	v_mov_b32_e32 v54, v15
	v_mov_b32_e32 v24, v11
	;; [unrolled: 1-line block ×3, first 2 shown]
	v_cmp_ne_u16_sdwa s[24:25], v15, v55 src0_sel:BYTE_0 src1_sel:DWORD
	s_and_b64 vcc, exec, s[60:61]
	s_cbranch_vccz .LBB6_1583
; %bb.1570:                             ;   in Loop: Header=BB6_1409 Depth=2
	v_mov_b32_e32 v2, 0
	v_mov_b32_e32 v0, 0
	s_and_saveexec_b64 s[62:63], s[24:25]
	s_cbranch_execz .LBB6_1576
; %bb.1571:                             ;   in Loop: Header=BB6_1409 Depth=2
	v_cmp_ne_u16_sdwa vcc, v15, s75 src0_sel:BYTE_0 src1_sel:DWORD
	v_bfrev_b32_e32 v0, 1
	s_and_saveexec_b64 s[64:65], vcc
	s_cbranch_execz .LBB6_1575
; %bb.1572:                             ;   in Loop: Header=BB6_1409 Depth=2
	v_and_b32_e32 v3, 0x7f, v15
	v_cmp_ne_u32_e32 vcc, s76, v3
	v_mov_b32_e32 v0, 0x7f800001
	s_and_saveexec_b64 s[66:67], vcc
	s_cbranch_execz .LBB6_1574
; %bb.1573:                             ;   in Loop: Header=BB6_1409 Depth=2
	v_and_b32_e32 v0, 7, v15
	v_ffbh_u32_e32 v0, v0
	v_min_u32_e32 v0, 32, v0
	v_subrev_u32_e32 v5, 28, v0
	v_cmp_gt_u32_e32 vcc, 8, v3
	v_lshrrev_b32_e32 v4, 3, v3
	v_sub_u32_e32 v0, 29, v0
	v_cndmask_b32_e32 v3, 0, v5, vcc
	v_cndmask_b32_e32 v0, v4, v0, vcc
	v_lshlrev_b64 v[4:5], v3, v[54:55]
	v_lshlrev_b32_e32 v3, 20, v4
	v_lshlrev_b32_e32 v4, 24, v54
	v_and_b32_e32 v3, 0x700000, v3
	v_and_b32_e32 v4, 0x80000000, v4
	v_lshl_add_u32 v0, v0, 23, v26
	v_or3_b32 v0, v4, v0, v3
.LBB6_1574:                             ;   in Loop: Header=BB6_1409 Depth=2
	s_or_b64 exec, exec, s[66:67]
.LBB6_1575:                             ;   in Loop: Header=BB6_1409 Depth=2
	s_or_b64 exec, exec, s[64:65]
.LBB6_1576:                             ;   in Loop: Header=BB6_1409 Depth=2
	s_or_b64 exec, exec, s[62:63]
	v_cmp_ne_u16_sdwa vcc, v11, v55 src0_sel:BYTE_0 src1_sel:DWORD
	s_and_saveexec_b64 s[62:63], vcc
	s_cbranch_execz .LBB6_1582
; %bb.1577:                             ;   in Loop: Header=BB6_1409 Depth=2
	v_cmp_ne_u16_sdwa vcc, v11, s75 src0_sel:BYTE_0 src1_sel:DWORD
	v_bfrev_b32_e32 v2, 1
	s_and_saveexec_b64 s[64:65], vcc
	s_cbranch_execz .LBB6_1581
; %bb.1578:                             ;   in Loop: Header=BB6_1409 Depth=2
	v_and_b32_e32 v3, 0x7f, v11
	v_cmp_ne_u32_e32 vcc, s76, v3
	v_mov_b32_e32 v2, 0x7f800001
	s_and_saveexec_b64 s[66:67], vcc
	s_cbranch_execz .LBB6_1580
; %bb.1579:                             ;   in Loop: Header=BB6_1409 Depth=2
	v_and_b32_e32 v2, 7, v11
	v_ffbh_u32_e32 v2, v2
	v_min_u32_e32 v2, 32, v2
	v_lshrrev_b32_e32 v4, 3, v3
	v_subrev_u32_e32 v5, 28, v2
	v_sub_u32_e32 v2, 29, v2
	v_cmp_gt_u32_e32 vcc, 8, v3
	v_cndmask_b32_e32 v4, v4, v2, vcc
	v_cndmask_b32_e32 v2, 0, v5, vcc
	v_lshlrev_b64 v[2:3], v2, v[24:25]
	v_lshlrev_b32_e32 v2, 20, v2
	v_lshlrev_b32_e32 v3, 24, v24
	v_and_b32_e32 v2, 0x700000, v2
	v_and_b32_e32 v3, 0x80000000, v3
	v_lshl_add_u32 v4, v4, 23, v26
	v_or3_b32 v2, v3, v4, v2
.LBB6_1580:                             ;   in Loop: Header=BB6_1409 Depth=2
	s_or_b64 exec, exec, s[66:67]
.LBB6_1581:                             ;   in Loop: Header=BB6_1409 Depth=2
	s_or_b64 exec, exec, s[64:65]
.LBB6_1582:                             ;   in Loop: Header=BB6_1409 Depth=2
	s_or_b64 exec, exec, s[62:63]
	v_max_f32_e32 v2, v2, v2
	v_max_f32_e32 v0, v0, v0
	v_max_f32_e32 v5, v0, v2
	s_branch .LBB6_1597
.LBB6_1583:                             ;   in Loop: Header=BB6_1409 Depth=2
                                        ; implicit-def: $vgpr5
	s_cbranch_execz .LBB6_1597
; %bb.1584:                             ;   in Loop: Header=BB6_1409 Depth=2
	v_mov_b32_e32 v2, 0
	v_mov_b32_e32 v0, 0
	s_and_saveexec_b64 s[62:63], s[24:25]
	s_cbranch_execz .LBB6_1590
; %bb.1585:                             ;   in Loop: Header=BB6_1409 Depth=2
	v_cmp_ne_u16_sdwa vcc, v15, s75 src0_sel:BYTE_0 src1_sel:DWORD
	v_bfrev_b32_e32 v0, 1
	s_and_saveexec_b64 s[24:25], vcc
	s_cbranch_execz .LBB6_1589
; %bb.1586:                             ;   in Loop: Header=BB6_1409 Depth=2
	v_and_b32_e32 v3, 0x7f, v15
	v_cmp_ne_u32_e32 vcc, s76, v3
	v_mov_b32_e32 v0, 0x7f800001
	s_and_saveexec_b64 s[64:65], vcc
	s_cbranch_execz .LBB6_1588
; %bb.1587:                             ;   in Loop: Header=BB6_1409 Depth=2
	v_and_b32_e32 v0, 7, v15
	v_ffbh_u32_e32 v0, v0
	v_min_u32_e32 v0, 32, v0
	v_subrev_u32_e32 v5, 28, v0
	v_cmp_gt_u32_e32 vcc, 8, v3
	v_lshrrev_b32_e32 v4, 3, v3
	v_sub_u32_e32 v0, 29, v0
	v_cndmask_b32_e32 v3, 0, v5, vcc
	v_cndmask_b32_e32 v0, v4, v0, vcc
	v_lshlrev_b64 v[4:5], v3, v[54:55]
	v_lshlrev_b32_e32 v3, 20, v4
	v_lshlrev_b32_e32 v4, 24, v54
	v_and_b32_e32 v3, 0x700000, v3
	v_and_b32_e32 v4, 0x80000000, v4
	v_lshl_add_u32 v0, v0, 23, v26
	v_or3_b32 v0, v4, v0, v3
.LBB6_1588:                             ;   in Loop: Header=BB6_1409 Depth=2
	s_or_b64 exec, exec, s[64:65]
.LBB6_1589:                             ;   in Loop: Header=BB6_1409 Depth=2
	s_or_b64 exec, exec, s[24:25]
.LBB6_1590:                             ;   in Loop: Header=BB6_1409 Depth=2
	s_or_b64 exec, exec, s[62:63]
	v_cmp_ne_u16_sdwa vcc, v11, v55 src0_sel:BYTE_0 src1_sel:DWORD
	s_and_saveexec_b64 s[24:25], vcc
	s_cbranch_execz .LBB6_1596
; %bb.1591:                             ;   in Loop: Header=BB6_1409 Depth=2
	v_cmp_ne_u16_sdwa vcc, v11, s75 src0_sel:BYTE_0 src1_sel:DWORD
	v_bfrev_b32_e32 v2, 1
	s_and_saveexec_b64 s[62:63], vcc
	s_cbranch_execz .LBB6_1595
; %bb.1592:                             ;   in Loop: Header=BB6_1409 Depth=2
	v_and_b32_e32 v3, 0x7f, v11
	v_cmp_ne_u32_e32 vcc, s76, v3
	v_mov_b32_e32 v2, 0x7f800001
	s_and_saveexec_b64 s[64:65], vcc
	s_cbranch_execz .LBB6_1594
; %bb.1593:                             ;   in Loop: Header=BB6_1409 Depth=2
	v_and_b32_e32 v2, 7, v11
	v_ffbh_u32_e32 v2, v2
	v_min_u32_e32 v2, 32, v2
	v_lshrrev_b32_e32 v4, 3, v3
	v_subrev_u32_e32 v5, 28, v2
	v_sub_u32_e32 v2, 29, v2
	v_cmp_gt_u32_e32 vcc, 8, v3
	v_cndmask_b32_e32 v4, v4, v2, vcc
	v_cndmask_b32_e32 v2, 0, v5, vcc
	v_lshlrev_b64 v[2:3], v2, v[24:25]
	v_lshlrev_b32_e32 v2, 20, v2
	v_lshlrev_b32_e32 v3, 24, v24
	v_and_b32_e32 v2, 0x700000, v2
	v_and_b32_e32 v3, 0x80000000, v3
	v_lshl_add_u32 v4, v4, 23, v26
	v_or3_b32 v2, v3, v4, v2
.LBB6_1594:                             ;   in Loop: Header=BB6_1409 Depth=2
	s_or_b64 exec, exec, s[64:65]
.LBB6_1595:                             ;   in Loop: Header=BB6_1409 Depth=2
	s_or_b64 exec, exec, s[62:63]
.LBB6_1596:                             ;   in Loop: Header=BB6_1409 Depth=2
	s_or_b64 exec, exec, s[24:25]
	v_max_f32_e32 v2, v2, v2
	v_max_f32_e32 v0, v0, v0
	v_min_f32_e32 v5, v0, v2
.LBB6_1597:                             ;   in Loop: Header=BB6_1409 Depth=2
	v_and_b32_sdwa v4, v5, s75 dst_sel:DWORD dst_unused:UNUSED_PAD src0_sel:BYTE_3 src1_sel:DWORD
	v_and_b32_e32 v6, 0x7f800000, v5
	v_mov_b32_e32 v7, v55
	v_and_b32_e32 v2, 0x7fffff, v5
	v_mov_b32_e32 v3, v55
	v_or_b32_e32 v0, 0x7e, v4
	v_cmp_ne_u64_e32 vcc, s[44:45], v[6:7]
	s_and_saveexec_b64 s[24:25], vcc
	s_xor_b64 s[62:63], exec, s[24:25]
	s_cbranch_execz .LBB6_1607
; %bb.1598:                             ;   in Loop: Header=BB6_1409 Depth=2
	v_and_b32_e32 v6, 0x7fffffff, v5
	v_mov_b32_e32 v7, v55
	v_cmp_gt_u64_e32 vcc, s[46:47], v[6:7]
	s_and_saveexec_b64 s[64:65], vcc
	s_cbranch_execz .LBB6_1606
; %bb.1599:                             ;   in Loop: Header=BB6_1409 Depth=2
	v_cmp_ne_u32_e32 vcc, 0, v5
	v_mov_b32_e32 v0, 0
	s_and_saveexec_b64 s[66:67], vcc
	s_cbranch_execz .LBB6_1605
; %bb.1600:                             ;   in Loop: Header=BB6_1409 Depth=2
	v_bfe_u32 v0, v5, 23, 8
	v_sub_u32_e32 v6, 0x79, v0
	v_cmp_gt_u32_e32 vcc, s78, v0
	v_add_u32_e32 v5, 0xffffff81, v0
	v_cndmask_b32_e32 v6, 0, v6, vcc
	v_cmp_eq_u32_e32 vcc, 0, v0
	v_cndmask_b32_e32 v0, v5, v33, vcc
	v_cndmask_b32_e32 v5, v6, v32, vcc
	v_or_b32_e32 v7, 0x800000, v2
	v_add_u32_e32 v6, 20, v5
	v_cndmask_b32_e32 v2, v7, v2, vcc
	v_lshlrev_b64 v[6:7], v6, -1
	v_not_b32_e32 v6, v6
	v_and_b32_e32 v6, v2, v6
	v_lshrrev_b64 v[2:3], v5, v[2:3]
	v_not_b32_e32 v7, v7
	v_add_u32_e32 v8, 19, v5
	v_lshrrev_b32_e32 v25, 23, v2
	v_and_b32_e32 v7, 0, v7
	v_lshlrev_b64 v[8:9], v8, 1
	v_add3_u32 v25, v5, v0, v25
	v_bfe_u32 v0, v2, 20, 1
	v_add_u32_e32 v0, -1, v0
	v_cmp_eq_u64_e32 vcc, v[6:7], v[8:9]
	v_cndmask_b32_e32 v0, 0, v0, vcc
	v_add_u32_e32 v0, v0, v2
	v_and_b32_e32 v0, 0xfffff, v0
	v_add_co_u32_e32 v2, vcc, v0, v2
	v_add_u32_e32 v5, 6, v25
	v_addc_co_u32_e32 v3, vcc, 0, v3, vcc
	v_cmp_ne_u32_e32 vcc, 0, v5
                                        ; implicit-def: $vgpr0
	s_and_saveexec_b64 s[24:25], vcc
	s_xor_b64 s[24:25], exec, s[24:25]
; %bb.1601:                             ;   in Loop: Header=BB6_1409 Depth=2
	v_add_u32_e32 v0, 7, v25
	v_cmp_lt_u64_e32 vcc, s[50:51], v[2:3]
	v_cndmask_b32_e32 v0, v5, v0, vcc
	v_cndmask_b32_e64 v5, 0, 1, vcc
	v_lshrrev_b64 v[2:3], v5, v[2:3]
; %bb.1602:                             ;   in Loop: Header=BB6_1409 Depth=2
	s_andn2_saveexec_b64 s[24:25], s[24:25]
; %bb.1603:                             ;   in Loop: Header=BB6_1409 Depth=2
	v_bfe_u32 v0, v2, 23, 1
; %bb.1604:                             ;   in Loop: Header=BB6_1409 Depth=2
	s_or_b64 exec, exec, s[24:25]
	v_lshrrev_b64 v[2:3], 20, v[2:3]
	v_cmp_gt_i32_e32 vcc, 16, v0
	v_cndmask_b32_e32 v3, 0, v3, vcc
	v_cndmask_b32_e32 v2, 7, v2, vcc
	v_cmp_eq_u32_e32 vcc, 0, v0
	v_min_i32_e32 v0, 15, v0
	v_cmp_eq_u64_e64 s[24:25], 0, v[2:3]
	v_lshlrev_b32_e32 v0, 3, v0
	v_and_or_b32 v0, v2, 7, v0
	s_and_b64 s[24:25], vcc, s[24:25]
	v_cndmask_b32_e64 v0, v0, 0, s[24:25]
	v_or_b32_e32 v0, v0, v4
.LBB6_1605:                             ;   in Loop: Header=BB6_1409 Depth=2
	s_or_b64 exec, exec, s[66:67]
.LBB6_1606:                             ;   in Loop: Header=BB6_1409 Depth=2
	s_or_b64 exec, exec, s[64:65]
                                        ; implicit-def: $vgpr5
                                        ; implicit-def: $vgpr2_vgpr3
.LBB6_1607:                             ;   in Loop: Header=BB6_1409 Depth=2
	s_andn2_saveexec_b64 s[24:25], s[62:63]
; %bb.1608:                             ;   in Loop: Header=BB6_1409 Depth=2
	v_or_b32_sdwa v4, v5, s76 dst_sel:DWORD dst_unused:UNUSED_PAD src0_sel:BYTE_3 src1_sel:DWORD
	v_cmp_eq_u64_e32 vcc, 0, v[2:3]
	v_cndmask_b32_e32 v0, v4, v0, vcc
; %bb.1609:                             ;   in Loop: Header=BB6_1409 Depth=2
	s_or_b64 exec, exec, s[24:25]
	v_lshrrev_b16_e32 v28, 8, v54
	v_lshrrev_b16_e32 v2, 8, v24
	v_cmp_ne_u16_e64 s[24:25], 0, v28
	s_and_b64 vcc, exec, s[60:61]
	s_cbranch_vccz .LBB6_1623
; %bb.1610:                             ;   in Loop: Header=BB6_1409 Depth=2
	v_mov_b32_e32 v4, 0
	v_mov_b32_e32 v3, 0
	s_and_saveexec_b64 s[62:63], s[24:25]
	s_cbranch_execz .LBB6_1616
; %bb.1611:                             ;   in Loop: Header=BB6_1409 Depth=2
	v_cmp_ne_u16_e32 vcc, s75, v28
	v_bfrev_b32_e32 v3, 1
	s_and_saveexec_b64 s[64:65], vcc
	s_cbranch_execz .LBB6_1615
; %bb.1612:                             ;   in Loop: Header=BB6_1409 Depth=2
	v_and_b32_e32 v5, 0x7f, v28
	v_cmp_ne_u32_e32 vcc, s76, v5
	v_mov_b32_e32 v3, 0x7f800001
	s_and_saveexec_b64 s[66:67], vcc
	s_cbranch_execz .LBB6_1614
; %bb.1613:                             ;   in Loop: Header=BB6_1409 Depth=2
	v_and_b32_e32 v3, 7, v28
	v_ffbh_u32_e32 v6, v3
	v_min_u32_e32 v9, 32, v6
	v_subrev_u32_e32 v6, 28, v9
	v_lshlrev_b64 v[6:7], v6, v[28:29]
	v_lshrrev_b32_e32 v8, 3, v5
	v_sub_u32_e32 v7, 29, v9
	v_and_b32_e32 v6, 7, v6
	v_cmp_gt_u32_e32 vcc, 8, v5
	v_cndmask_b32_e32 v5, v8, v7, vcc
	v_cndmask_b32_e32 v3, v3, v6, vcc
	v_lshlrev_b32_e32 v6, 16, v54
	v_lshlrev_b32_e32 v3, 20, v3
	v_and_b32_e32 v6, 0x80000000, v6
	v_lshl_add_u32 v5, v5, 23, v26
	v_or3_b32 v3, v6, v5, v3
.LBB6_1614:                             ;   in Loop: Header=BB6_1409 Depth=2
	s_or_b64 exec, exec, s[66:67]
.LBB6_1615:                             ;   in Loop: Header=BB6_1409 Depth=2
	s_or_b64 exec, exec, s[64:65]
.LBB6_1616:                             ;   in Loop: Header=BB6_1409 Depth=2
	s_or_b64 exec, exec, s[62:63]
	v_cmp_ne_u16_e32 vcc, 0, v2
	s_and_saveexec_b64 s[62:63], vcc
	s_cbranch_execz .LBB6_1622
; %bb.1617:                             ;   in Loop: Header=BB6_1409 Depth=2
	v_cmp_ne_u16_e32 vcc, s75, v2
	v_bfrev_b32_e32 v4, 1
	s_and_saveexec_b64 s[64:65], vcc
	s_cbranch_execz .LBB6_1621
; %bb.1618:                             ;   in Loop: Header=BB6_1409 Depth=2
	v_and_b32_e32 v5, 0x7f, v2
	v_cmp_ne_u32_e32 vcc, s76, v5
	v_mov_b32_e32 v4, 0x7f800001
	s_and_saveexec_b64 s[66:67], vcc
	s_cbranch_execz .LBB6_1620
; %bb.1619:                             ;   in Loop: Header=BB6_1409 Depth=2
	v_and_b32_e32 v4, 7, v2
	v_ffbh_u32_e32 v6, v4
	v_min_u32_e32 v9, 32, v6
	v_subrev_u32_e32 v6, 28, v9
	v_lshlrev_b64 v[6:7], v6, v[2:3]
	v_lshrrev_b32_e32 v8, 3, v5
	v_sub_u32_e32 v7, 29, v9
	v_and_b32_e32 v6, 7, v6
	v_cmp_gt_u32_e32 vcc, 8, v5
	v_cndmask_b32_e32 v5, v8, v7, vcc
	v_cndmask_b32_e32 v4, v4, v6, vcc
	v_lshlrev_b32_e32 v6, 16, v24
	v_lshlrev_b32_e32 v4, 20, v4
	v_and_b32_e32 v6, 0x80000000, v6
	v_lshl_add_u32 v5, v5, 23, v26
	v_or3_b32 v4, v6, v5, v4
.LBB6_1620:                             ;   in Loop: Header=BB6_1409 Depth=2
	s_or_b64 exec, exec, s[66:67]
.LBB6_1621:                             ;   in Loop: Header=BB6_1409 Depth=2
	s_or_b64 exec, exec, s[64:65]
.LBB6_1622:                             ;   in Loop: Header=BB6_1409 Depth=2
	s_or_b64 exec, exec, s[62:63]
	v_max_f32_e32 v4, v4, v4
	v_max_f32_e32 v3, v3, v3
	;; [unrolled: 1-line block ×3, first 2 shown]
	s_branch .LBB6_1637
.LBB6_1623:                             ;   in Loop: Header=BB6_1409 Depth=2
                                        ; implicit-def: $vgpr3
	s_cbranch_execz .LBB6_1637
; %bb.1624:                             ;   in Loop: Header=BB6_1409 Depth=2
	v_mov_b32_e32 v4, 0
	v_mov_b32_e32 v3, 0
	s_and_saveexec_b64 s[62:63], s[24:25]
	s_cbranch_execz .LBB6_1630
; %bb.1625:                             ;   in Loop: Header=BB6_1409 Depth=2
	v_cmp_ne_u16_e32 vcc, s75, v28
	v_bfrev_b32_e32 v3, 1
	s_and_saveexec_b64 s[24:25], vcc
	s_cbranch_execz .LBB6_1629
; %bb.1626:                             ;   in Loop: Header=BB6_1409 Depth=2
	v_and_b32_e32 v5, 0x7f, v28
	v_cmp_ne_u32_e32 vcc, s76, v5
	v_mov_b32_e32 v3, 0x7f800001
	s_and_saveexec_b64 s[64:65], vcc
	s_cbranch_execz .LBB6_1628
; %bb.1627:                             ;   in Loop: Header=BB6_1409 Depth=2
	v_and_b32_e32 v3, 7, v28
	v_ffbh_u32_e32 v6, v3
	v_min_u32_e32 v9, 32, v6
	v_subrev_u32_e32 v6, 28, v9
	v_lshlrev_b64 v[6:7], v6, v[28:29]
	v_lshrrev_b32_e32 v8, 3, v5
	v_sub_u32_e32 v7, 29, v9
	v_and_b32_e32 v6, 7, v6
	v_cmp_gt_u32_e32 vcc, 8, v5
	v_cndmask_b32_e32 v5, v8, v7, vcc
	v_cndmask_b32_e32 v3, v3, v6, vcc
	v_lshlrev_b32_e32 v6, 16, v54
	v_lshlrev_b32_e32 v3, 20, v3
	v_and_b32_e32 v6, 0x80000000, v6
	v_lshl_add_u32 v5, v5, 23, v26
	v_or3_b32 v3, v6, v5, v3
.LBB6_1628:                             ;   in Loop: Header=BB6_1409 Depth=2
	s_or_b64 exec, exec, s[64:65]
.LBB6_1629:                             ;   in Loop: Header=BB6_1409 Depth=2
	s_or_b64 exec, exec, s[24:25]
.LBB6_1630:                             ;   in Loop: Header=BB6_1409 Depth=2
	s_or_b64 exec, exec, s[62:63]
	v_cmp_ne_u16_e32 vcc, 0, v2
	s_and_saveexec_b64 s[24:25], vcc
	s_cbranch_execz .LBB6_1636
; %bb.1631:                             ;   in Loop: Header=BB6_1409 Depth=2
	v_cmp_ne_u16_e32 vcc, s75, v2
	v_bfrev_b32_e32 v4, 1
	s_and_saveexec_b64 s[62:63], vcc
	s_cbranch_execz .LBB6_1635
; %bb.1632:                             ;   in Loop: Header=BB6_1409 Depth=2
	v_and_b32_e32 v5, 0x7f, v2
	v_cmp_ne_u32_e32 vcc, s76, v5
	v_mov_b32_e32 v4, 0x7f800001
	s_and_saveexec_b64 s[64:65], vcc
	s_cbranch_execz .LBB6_1634
; %bb.1633:                             ;   in Loop: Header=BB6_1409 Depth=2
	v_and_b32_e32 v4, 7, v2
	v_ffbh_u32_e32 v6, v4
	v_min_u32_e32 v9, 32, v6
	v_subrev_u32_e32 v6, 28, v9
	v_lshlrev_b64 v[6:7], v6, v[2:3]
	v_lshrrev_b32_e32 v8, 3, v5
	v_sub_u32_e32 v2, 29, v9
	v_and_b32_e32 v6, 7, v6
	v_cmp_gt_u32_e32 vcc, 8, v5
	v_cndmask_b32_e32 v2, v8, v2, vcc
	v_cndmask_b32_e32 v4, v4, v6, vcc
	v_lshlrev_b32_e32 v5, 16, v24
	v_lshlrev_b32_e32 v4, 20, v4
	v_and_b32_e32 v5, 0x80000000, v5
	v_lshl_add_u32 v2, v2, 23, v26
	v_or3_b32 v4, v5, v2, v4
.LBB6_1634:                             ;   in Loop: Header=BB6_1409 Depth=2
	s_or_b64 exec, exec, s[64:65]
.LBB6_1635:                             ;   in Loop: Header=BB6_1409 Depth=2
	s_or_b64 exec, exec, s[62:63]
.LBB6_1636:                             ;   in Loop: Header=BB6_1409 Depth=2
	s_or_b64 exec, exec, s[24:25]
	v_max_f32_e32 v2, v4, v4
	v_max_f32_e32 v3, v3, v3
	v_min_f32_e32 v3, v3, v2
.LBB6_1637:                             ;   in Loop: Header=BB6_1409 Depth=2
	v_and_b32_sdwa v4, v3, s75 dst_sel:DWORD dst_unused:UNUSED_PAD src0_sel:BYTE_3 src1_sel:DWORD
	v_and_b32_e32 v6, 0x7f800000, v3
	v_mov_b32_e32 v7, v55
	v_and_b32_e32 v54, 0x7fffff, v3
	v_or_b32_e32 v25, 0x7e, v4
	v_cmp_ne_u64_e32 vcc, s[44:45], v[6:7]
	s_and_saveexec_b64 s[24:25], vcc
	s_xor_b64 s[62:63], exec, s[24:25]
	s_cbranch_execz .LBB6_1647
; %bb.1638:                             ;   in Loop: Header=BB6_1409 Depth=2
	v_and_b32_e32 v6, 0x7fffffff, v3
	v_mov_b32_e32 v7, v55
	v_cmp_gt_u64_e32 vcc, s[46:47], v[6:7]
	s_and_saveexec_b64 s[64:65], vcc
	s_cbranch_execz .LBB6_1646
; %bb.1639:                             ;   in Loop: Header=BB6_1409 Depth=2
	v_cmp_ne_u32_e32 vcc, 0, v3
	v_mov_b32_e32 v25, 0
	s_and_saveexec_b64 s[66:67], vcc
	s_cbranch_execz .LBB6_1645
; %bb.1640:                             ;   in Loop: Header=BB6_1409 Depth=2
	v_bfe_u32 v2, v3, 23, 8
	v_sub_u32_e32 v5, 0x79, v2
	v_cmp_gt_u32_e32 vcc, s78, v2
	v_cndmask_b32_e32 v5, 0, v5, vcc
	v_cmp_eq_u32_e32 vcc, 0, v2
	v_or_b32_e32 v6, 0x800000, v54
	v_cndmask_b32_e32 v5, v5, v32, vcc
	v_add_u32_e32 v3, 0xffffff81, v2
	v_cndmask_b32_e32 v54, v6, v54, vcc
	v_add_u32_e32 v2, 20, v5
	v_cndmask_b32_e32 v24, v3, v33, vcc
	v_lshlrev_b64 v[2:3], v2, -1
	v_lshrrev_b64 v[8:9], v5, v[54:55]
	v_not_b32_e32 v3, v3
	v_not_b32_e32 v2, v2
	v_add_u32_e32 v6, 19, v5
	v_lshrrev_b32_e32 v25, 23, v8
	v_and_b32_e32 v3, 0, v3
	v_and_b32_e32 v2, v54, v2
	v_lshlrev_b64 v[6:7], v6, 1
	v_add3_u32 v25, v5, v24, v25
	v_bfe_u32 v5, v8, 20, 1
	v_add_u32_e32 v5, -1, v5
	v_cmp_eq_u64_e32 vcc, v[2:3], v[6:7]
	v_cndmask_b32_e32 v2, 0, v5, vcc
	v_add_u32_e32 v2, v2, v8
	v_and_b32_e32 v2, 0xfffff, v2
	v_add_co_u32_e32 v2, vcc, v2, v8
	v_add_u32_e32 v24, 6, v25
	v_addc_co_u32_e32 v3, vcc, 0, v9, vcc
	v_cmp_ne_u32_e32 vcc, 0, v24
                                        ; implicit-def: $vgpr5
	s_and_saveexec_b64 s[24:25], vcc
	s_xor_b64 s[24:25], exec, s[24:25]
; %bb.1641:                             ;   in Loop: Header=BB6_1409 Depth=2
	v_cmp_lt_u64_e32 vcc, s[50:51], v[2:3]
	v_add_u32_e32 v5, 7, v25
	v_cndmask_b32_e64 v6, 0, 1, vcc
	v_cndmask_b32_e32 v5, v24, v5, vcc
	v_lshrrev_b64 v[2:3], v6, v[2:3]
; %bb.1642:                             ;   in Loop: Header=BB6_1409 Depth=2
	s_andn2_saveexec_b64 s[24:25], s[24:25]
; %bb.1643:                             ;   in Loop: Header=BB6_1409 Depth=2
	v_bfe_u32 v5, v2, 23, 1
; %bb.1644:                             ;   in Loop: Header=BB6_1409 Depth=2
	s_or_b64 exec, exec, s[24:25]
	v_lshrrev_b64 v[2:3], 20, v[2:3]
	v_cmp_gt_i32_e32 vcc, 16, v5
	v_cndmask_b32_e32 v3, 0, v3, vcc
	v_cndmask_b32_e32 v2, 7, v2, vcc
	v_cmp_eq_u64_e64 s[24:25], 0, v[2:3]
	v_min_i32_e32 v3, 15, v5
	v_cmp_eq_u32_e32 vcc, 0, v5
	v_lshlrev_b32_e32 v3, 3, v3
	v_and_or_b32 v2, v2, 7, v3
	s_and_b64 s[24:25], vcc, s[24:25]
	v_cndmask_b32_e64 v2, v2, 0, s[24:25]
	v_or_b32_e32 v25, v2, v4
.LBB6_1645:                             ;   in Loop: Header=BB6_1409 Depth=2
	s_or_b64 exec, exec, s[66:67]
.LBB6_1646:                             ;   in Loop: Header=BB6_1409 Depth=2
	s_or_b64 exec, exec, s[64:65]
                                        ; implicit-def: $vgpr3
.LBB6_1647:                             ;   in Loop: Header=BB6_1409 Depth=2
	s_andn2_saveexec_b64 s[24:25], s[62:63]
; %bb.1648:                             ;   in Loop: Header=BB6_1409 Depth=2
	v_or_b32_sdwa v2, v3, s76 dst_sel:DWORD dst_unused:UNUSED_PAD src0_sel:BYTE_3 src1_sel:DWORD
	v_cmp_eq_u64_e32 vcc, 0, v[54:55]
	v_cndmask_b32_e32 v25, v2, v25, vcc
; %bb.1649:                             ;   in Loop: Header=BB6_1409 Depth=2
	s_or_b64 exec, exec, s[24:25]
	v_lshrrev_b32_e32 v24, 16, v15
	v_lshrrev_b32_e32 v2, 16, v11
	v_cmp_ne_u16_sdwa s[24:25], v24, v55 src0_sel:BYTE_0 src1_sel:DWORD
	s_and_b64 vcc, exec, s[60:61]
	s_cbranch_vccz .LBB6_1663
; %bb.1650:                             ;   in Loop: Header=BB6_1409 Depth=2
	v_mov_b32_e32 v4, 0
	v_mov_b32_e32 v3, 0
	s_and_saveexec_b64 s[62:63], s[24:25]
	s_cbranch_execz .LBB6_1656
; %bb.1651:                             ;   in Loop: Header=BB6_1409 Depth=2
	v_cmp_ne_u16_sdwa vcc, v24, s75 src0_sel:BYTE_0 src1_sel:DWORD
	v_bfrev_b32_e32 v3, 1
	s_and_saveexec_b64 s[64:65], vcc
	s_cbranch_execz .LBB6_1655
; %bb.1652:                             ;   in Loop: Header=BB6_1409 Depth=2
	v_bfe_u32 v5, v15, 16, 7
	v_cmp_ne_u32_e32 vcc, s76, v5
	v_mov_b32_e32 v3, 0x7f800001
	s_and_saveexec_b64 s[66:67], vcc
	s_cbranch_execz .LBB6_1654
; %bb.1653:                             ;   in Loop: Header=BB6_1409 Depth=2
	v_and_b32_e32 v3, 7, v24
	v_ffbh_u32_e32 v6, v3
	v_min_u32_e32 v9, 32, v6
	v_subrev_u32_e32 v6, 28, v9
	v_lshlrev_b64 v[6:7], v6, v[24:25]
	v_lshrrev_b32_e32 v8, 3, v5
	v_sub_u32_e32 v7, 29, v9
	v_and_b32_e32 v6, 7, v6
	v_cmp_gt_u32_e32 vcc, 8, v5
	v_cndmask_b32_e32 v5, v8, v7, vcc
	v_cndmask_b32_e32 v3, v3, v6, vcc
	v_lshlrev_b32_e32 v6, 24, v24
	v_lshlrev_b32_e32 v3, 20, v3
	v_and_b32_e32 v6, 0x80000000, v6
	v_lshl_add_u32 v5, v5, 23, v26
	v_or3_b32 v3, v6, v5, v3
.LBB6_1654:                             ;   in Loop: Header=BB6_1409 Depth=2
	s_or_b64 exec, exec, s[66:67]
.LBB6_1655:                             ;   in Loop: Header=BB6_1409 Depth=2
	s_or_b64 exec, exec, s[64:65]
.LBB6_1656:                             ;   in Loop: Header=BB6_1409 Depth=2
	s_or_b64 exec, exec, s[62:63]
	v_cmp_ne_u16_sdwa vcc, v2, v55 src0_sel:BYTE_0 src1_sel:DWORD
	s_and_saveexec_b64 s[62:63], vcc
	s_cbranch_execz .LBB6_1662
; %bb.1657:                             ;   in Loop: Header=BB6_1409 Depth=2
	v_cmp_ne_u16_sdwa vcc, v2, s75 src0_sel:BYTE_0 src1_sel:DWORD
	v_bfrev_b32_e32 v4, 1
	s_and_saveexec_b64 s[64:65], vcc
	s_cbranch_execz .LBB6_1661
; %bb.1658:                             ;   in Loop: Header=BB6_1409 Depth=2
	v_bfe_u32 v5, v11, 16, 7
	v_cmp_ne_u32_e32 vcc, s76, v5
	v_mov_b32_e32 v4, 0x7f800001
	s_and_saveexec_b64 s[66:67], vcc
	s_cbranch_execz .LBB6_1660
; %bb.1659:                             ;   in Loop: Header=BB6_1409 Depth=2
	v_and_b32_e32 v4, 7, v2
	v_ffbh_u32_e32 v6, v4
	v_min_u32_e32 v9, 32, v6
	v_subrev_u32_e32 v6, 28, v9
	v_lshlrev_b64 v[6:7], v6, v[2:3]
	v_lshrrev_b32_e32 v8, 3, v5
	v_sub_u32_e32 v7, 29, v9
	v_and_b32_e32 v6, 7, v6
	v_cmp_gt_u32_e32 vcc, 8, v5
	v_cndmask_b32_e32 v5, v8, v7, vcc
	v_cndmask_b32_e32 v4, v4, v6, vcc
	v_lshlrev_b32_e32 v6, 24, v2
	v_lshlrev_b32_e32 v4, 20, v4
	v_and_b32_e32 v6, 0x80000000, v6
	v_lshl_add_u32 v5, v5, 23, v26
	v_or3_b32 v4, v6, v5, v4
.LBB6_1660:                             ;   in Loop: Header=BB6_1409 Depth=2
	s_or_b64 exec, exec, s[66:67]
.LBB6_1661:                             ;   in Loop: Header=BB6_1409 Depth=2
	s_or_b64 exec, exec, s[64:65]
.LBB6_1662:                             ;   in Loop: Header=BB6_1409 Depth=2
	s_or_b64 exec, exec, s[62:63]
	v_max_f32_e32 v4, v4, v4
	v_max_f32_e32 v3, v3, v3
	;; [unrolled: 1-line block ×3, first 2 shown]
	s_branch .LBB6_1677
.LBB6_1663:                             ;   in Loop: Header=BB6_1409 Depth=2
                                        ; implicit-def: $vgpr3
	s_cbranch_execz .LBB6_1677
; %bb.1664:                             ;   in Loop: Header=BB6_1409 Depth=2
	v_mov_b32_e32 v4, 0
	v_mov_b32_e32 v3, 0
	s_and_saveexec_b64 s[62:63], s[24:25]
	s_cbranch_execz .LBB6_1670
; %bb.1665:                             ;   in Loop: Header=BB6_1409 Depth=2
	v_cmp_ne_u16_sdwa vcc, v24, s75 src0_sel:BYTE_0 src1_sel:DWORD
	v_bfrev_b32_e32 v3, 1
	s_and_saveexec_b64 s[24:25], vcc
	s_cbranch_execz .LBB6_1669
; %bb.1666:                             ;   in Loop: Header=BB6_1409 Depth=2
	v_bfe_u32 v5, v15, 16, 7
	v_cmp_ne_u32_e32 vcc, s76, v5
	v_mov_b32_e32 v3, 0x7f800001
	s_and_saveexec_b64 s[64:65], vcc
	s_cbranch_execz .LBB6_1668
; %bb.1667:                             ;   in Loop: Header=BB6_1409 Depth=2
	v_and_b32_e32 v3, 7, v24
	v_ffbh_u32_e32 v6, v3
	v_min_u32_e32 v9, 32, v6
	v_subrev_u32_e32 v6, 28, v9
	v_lshlrev_b64 v[6:7], v6, v[24:25]
	v_lshrrev_b32_e32 v8, 3, v5
	v_sub_u32_e32 v7, 29, v9
	v_and_b32_e32 v6, 7, v6
	v_cmp_gt_u32_e32 vcc, 8, v5
	v_cndmask_b32_e32 v5, v8, v7, vcc
	v_cndmask_b32_e32 v3, v3, v6, vcc
	v_lshlrev_b32_e32 v6, 24, v24
	v_lshlrev_b32_e32 v3, 20, v3
	v_and_b32_e32 v6, 0x80000000, v6
	v_lshl_add_u32 v5, v5, 23, v26
	v_or3_b32 v3, v6, v5, v3
.LBB6_1668:                             ;   in Loop: Header=BB6_1409 Depth=2
	s_or_b64 exec, exec, s[64:65]
.LBB6_1669:                             ;   in Loop: Header=BB6_1409 Depth=2
	s_or_b64 exec, exec, s[24:25]
.LBB6_1670:                             ;   in Loop: Header=BB6_1409 Depth=2
	s_or_b64 exec, exec, s[62:63]
	v_cmp_ne_u16_sdwa vcc, v2, v55 src0_sel:BYTE_0 src1_sel:DWORD
	s_and_saveexec_b64 s[24:25], vcc
	s_cbranch_execz .LBB6_1676
; %bb.1671:                             ;   in Loop: Header=BB6_1409 Depth=2
	v_cmp_ne_u16_sdwa vcc, v2, s75 src0_sel:BYTE_0 src1_sel:DWORD
	v_bfrev_b32_e32 v4, 1
	s_and_saveexec_b64 s[62:63], vcc
	s_cbranch_execz .LBB6_1675
; %bb.1672:                             ;   in Loop: Header=BB6_1409 Depth=2
	v_bfe_u32 v5, v11, 16, 7
	v_cmp_ne_u32_e32 vcc, s76, v5
	v_mov_b32_e32 v4, 0x7f800001
	s_and_saveexec_b64 s[64:65], vcc
	s_cbranch_execz .LBB6_1674
; %bb.1673:                             ;   in Loop: Header=BB6_1409 Depth=2
	v_and_b32_e32 v4, 7, v2
	v_ffbh_u32_e32 v6, v4
	v_min_u32_e32 v9, 32, v6
	v_subrev_u32_e32 v6, 28, v9
	v_lshlrev_b64 v[6:7], v6, v[2:3]
	v_lshrrev_b32_e32 v8, 3, v5
	v_sub_u32_e32 v7, 29, v9
	v_and_b32_e32 v6, 7, v6
	v_cmp_gt_u32_e32 vcc, 8, v5
	v_cndmask_b32_e32 v5, v8, v7, vcc
	v_cndmask_b32_e32 v4, v4, v6, vcc
	v_lshlrev_b32_e32 v2, 24, v2
	v_lshlrev_b32_e32 v4, 20, v4
	v_and_b32_e32 v2, 0x80000000, v2
	v_lshl_add_u32 v5, v5, 23, v26
	v_or3_b32 v4, v2, v5, v4
.LBB6_1674:                             ;   in Loop: Header=BB6_1409 Depth=2
	s_or_b64 exec, exec, s[64:65]
.LBB6_1675:                             ;   in Loop: Header=BB6_1409 Depth=2
	s_or_b64 exec, exec, s[62:63]
.LBB6_1676:                             ;   in Loop: Header=BB6_1409 Depth=2
	s_or_b64 exec, exec, s[24:25]
	v_max_f32_e32 v2, v4, v4
	v_max_f32_e32 v3, v3, v3
	v_min_f32_e32 v3, v3, v2
.LBB6_1677:                             ;   in Loop: Header=BB6_1409 Depth=2
	v_and_b32_sdwa v4, v3, s75 dst_sel:DWORD dst_unused:UNUSED_PAD src0_sel:BYTE_3 src1_sel:DWORD
	v_and_b32_e32 v6, 0x7f800000, v3
	v_mov_b32_e32 v7, v55
	v_and_b32_e32 v54, 0x7fffff, v3
	v_or_b32_e32 v28, 0x7e, v4
	v_cmp_ne_u64_e32 vcc, s[44:45], v[6:7]
	s_and_saveexec_b64 s[24:25], vcc
	s_xor_b64 s[62:63], exec, s[24:25]
	s_cbranch_execz .LBB6_1687
; %bb.1678:                             ;   in Loop: Header=BB6_1409 Depth=2
	v_and_b32_e32 v6, 0x7fffffff, v3
	v_mov_b32_e32 v7, v55
	v_cmp_gt_u64_e32 vcc, s[46:47], v[6:7]
	s_and_saveexec_b64 s[64:65], vcc
	s_cbranch_execz .LBB6_1686
; %bb.1679:                             ;   in Loop: Header=BB6_1409 Depth=2
	v_cmp_ne_u32_e32 vcc, 0, v3
	v_mov_b32_e32 v28, 0
	s_and_saveexec_b64 s[66:67], vcc
	s_cbranch_execz .LBB6_1685
; %bb.1680:                             ;   in Loop: Header=BB6_1409 Depth=2
	v_bfe_u32 v2, v3, 23, 8
	v_sub_u32_e32 v5, 0x79, v2
	v_cmp_gt_u32_e32 vcc, s78, v2
	v_cndmask_b32_e32 v5, 0, v5, vcc
	v_cmp_eq_u32_e32 vcc, 0, v2
	v_or_b32_e32 v6, 0x800000, v54
	v_cndmask_b32_e32 v5, v5, v32, vcc
	v_add_u32_e32 v3, 0xffffff81, v2
	v_cndmask_b32_e32 v54, v6, v54, vcc
	v_add_u32_e32 v2, 20, v5
	v_cndmask_b32_e32 v24, v3, v33, vcc
	v_lshlrev_b64 v[2:3], v2, -1
	v_lshrrev_b64 v[8:9], v5, v[54:55]
	v_not_b32_e32 v3, v3
	v_not_b32_e32 v2, v2
	v_add_u32_e32 v6, 19, v5
	v_lshrrev_b32_e32 v28, 23, v8
	v_and_b32_e32 v3, 0, v3
	v_and_b32_e32 v2, v54, v2
	v_lshlrev_b64 v[6:7], v6, 1
	v_add3_u32 v28, v5, v24, v28
	v_bfe_u32 v5, v8, 20, 1
	v_add_u32_e32 v5, -1, v5
	v_cmp_eq_u64_e32 vcc, v[2:3], v[6:7]
	v_cndmask_b32_e32 v2, 0, v5, vcc
	v_add_u32_e32 v2, v2, v8
	v_and_b32_e32 v2, 0xfffff, v2
	v_add_co_u32_e32 v2, vcc, v2, v8
	v_add_u32_e32 v24, 6, v28
	v_addc_co_u32_e32 v3, vcc, 0, v9, vcc
	v_cmp_ne_u32_e32 vcc, 0, v24
                                        ; implicit-def: $vgpr5
	s_and_saveexec_b64 s[24:25], vcc
	s_xor_b64 s[24:25], exec, s[24:25]
; %bb.1681:                             ;   in Loop: Header=BB6_1409 Depth=2
	v_cmp_lt_u64_e32 vcc, s[50:51], v[2:3]
	v_add_u32_e32 v5, 7, v28
	v_cndmask_b32_e64 v6, 0, 1, vcc
	v_cndmask_b32_e32 v5, v24, v5, vcc
	v_lshrrev_b64 v[2:3], v6, v[2:3]
; %bb.1682:                             ;   in Loop: Header=BB6_1409 Depth=2
	s_andn2_saveexec_b64 s[24:25], s[24:25]
; %bb.1683:                             ;   in Loop: Header=BB6_1409 Depth=2
	v_bfe_u32 v5, v2, 23, 1
; %bb.1684:                             ;   in Loop: Header=BB6_1409 Depth=2
	s_or_b64 exec, exec, s[24:25]
	v_lshrrev_b64 v[2:3], 20, v[2:3]
	v_cmp_gt_i32_e32 vcc, 16, v5
	v_cndmask_b32_e32 v3, 0, v3, vcc
	v_cndmask_b32_e32 v2, 7, v2, vcc
	v_cmp_eq_u64_e64 s[24:25], 0, v[2:3]
	v_min_i32_e32 v3, 15, v5
	v_lshlrev_b32_e32 v3, 3, v3
	v_cmp_eq_u32_e32 vcc, 0, v5
	v_and_b32_e32 v3, 0xf8, v3
	v_and_or_b32 v2, v2, 7, v3
	s_and_b64 s[24:25], vcc, s[24:25]
	v_cndmask_b32_e64 v2, v2, 0, s[24:25]
	v_or_b32_e32 v28, v2, v4
.LBB6_1685:                             ;   in Loop: Header=BB6_1409 Depth=2
	s_or_b64 exec, exec, s[66:67]
.LBB6_1686:                             ;   in Loop: Header=BB6_1409 Depth=2
	s_or_b64 exec, exec, s[64:65]
                                        ; implicit-def: $vgpr3
.LBB6_1687:                             ;   in Loop: Header=BB6_1409 Depth=2
	s_andn2_saveexec_b64 s[24:25], s[62:63]
; %bb.1688:                             ;   in Loop: Header=BB6_1409 Depth=2
	v_or_b32_sdwa v2, v3, s76 dst_sel:DWORD dst_unused:UNUSED_PAD src0_sel:BYTE_3 src1_sel:DWORD
	v_cmp_eq_u64_e32 vcc, 0, v[54:55]
	v_cndmask_b32_e32 v28, v2, v28, vcc
; %bb.1689:                             ;   in Loop: Header=BB6_1409 Depth=2
	s_or_b64 exec, exec, s[24:25]
	v_lshrrev_b32_e32 v24, 24, v15
	v_lshrrev_b32_e32 v2, 24, v11
	v_cmp_lt_u64_e64 s[24:25], s[48:49], v[14:15]
	s_and_b64 vcc, exec, s[60:61]
	s_cbranch_vccz .LBB6_1703
; %bb.1690:                             ;   in Loop: Header=BB6_1409 Depth=2
	v_mov_b32_e32 v4, 0
	v_mov_b32_e32 v3, 0
	s_and_saveexec_b64 s[62:63], s[24:25]
	s_cbranch_execz .LBB6_1696
; %bb.1691:                             ;   in Loop: Header=BB6_1409 Depth=2
	v_cmp_ne_u32_e32 vcc, s75, v24
	v_bfrev_b32_e32 v3, 1
	s_and_saveexec_b64 s[64:65], vcc
	s_cbranch_execz .LBB6_1695
; %bb.1692:                             ;   in Loop: Header=BB6_1409 Depth=2
	v_bfe_u32 v5, v15, 24, 7
	v_cmp_ne_u32_e32 vcc, s76, v5
	v_mov_b32_e32 v3, 0x7f800001
	s_and_saveexec_b64 s[66:67], vcc
	s_cbranch_execz .LBB6_1694
; %bb.1693:                             ;   in Loop: Header=BB6_1409 Depth=2
	v_and_b32_e32 v3, 7, v24
	v_ffbh_u32_e32 v6, v3
	v_min_u32_e32 v9, 32, v6
	v_subrev_u32_e32 v6, 28, v9
	v_lshlrev_b64 v[6:7], v6, v[24:25]
	v_lshrrev_b32_e32 v8, 3, v5
	v_sub_u32_e32 v7, 29, v9
	v_and_b32_e32 v6, 7, v6
	v_cmp_gt_u32_e32 vcc, 8, v5
	v_cndmask_b32_e32 v5, v8, v7, vcc
	v_cndmask_b32_e32 v3, v3, v6, vcc
	v_lshlrev_b32_e32 v6, 24, v24
	v_lshlrev_b32_e32 v3, 20, v3
	v_and_b32_e32 v6, 0x80000000, v6
	v_lshl_add_u32 v5, v5, 23, v26
	v_or3_b32 v3, v6, v5, v3
.LBB6_1694:                             ;   in Loop: Header=BB6_1409 Depth=2
	s_or_b64 exec, exec, s[66:67]
.LBB6_1695:                             ;   in Loop: Header=BB6_1409 Depth=2
	s_or_b64 exec, exec, s[64:65]
.LBB6_1696:                             ;   in Loop: Header=BB6_1409 Depth=2
	s_or_b64 exec, exec, s[62:63]
	v_cmp_lt_u64_e32 vcc, s[48:49], v[10:11]
	s_and_saveexec_b64 s[62:63], vcc
	s_cbranch_execz .LBB6_1702
; %bb.1697:                             ;   in Loop: Header=BB6_1409 Depth=2
	v_cmp_ne_u32_e32 vcc, s75, v2
	v_bfrev_b32_e32 v4, 1
	s_and_saveexec_b64 s[64:65], vcc
	s_cbranch_execz .LBB6_1701
; %bb.1698:                             ;   in Loop: Header=BB6_1409 Depth=2
	v_bfe_u32 v5, v11, 24, 7
	v_cmp_ne_u32_e32 vcc, s76, v5
	v_mov_b32_e32 v4, 0x7f800001
	s_and_saveexec_b64 s[66:67], vcc
	s_cbranch_execz .LBB6_1700
; %bb.1699:                             ;   in Loop: Header=BB6_1409 Depth=2
	v_and_b32_e32 v4, 7, v2
	v_ffbh_u32_e32 v6, v4
	v_min_u32_e32 v9, 32, v6
	v_subrev_u32_e32 v6, 28, v9
	v_lshlrev_b64 v[6:7], v6, v[2:3]
	v_lshrrev_b32_e32 v8, 3, v5
	v_sub_u32_e32 v7, 29, v9
	v_and_b32_e32 v6, 7, v6
	v_cmp_gt_u32_e32 vcc, 8, v5
	v_cndmask_b32_e32 v5, v8, v7, vcc
	v_cndmask_b32_e32 v4, v4, v6, vcc
	v_lshlrev_b32_e32 v6, 24, v2
	v_lshlrev_b32_e32 v4, 20, v4
	v_and_b32_e32 v6, 0x80000000, v6
	v_lshl_add_u32 v5, v5, 23, v26
	v_or3_b32 v4, v6, v5, v4
.LBB6_1700:                             ;   in Loop: Header=BB6_1409 Depth=2
	s_or_b64 exec, exec, s[66:67]
.LBB6_1701:                             ;   in Loop: Header=BB6_1409 Depth=2
	s_or_b64 exec, exec, s[64:65]
.LBB6_1702:                             ;   in Loop: Header=BB6_1409 Depth=2
	s_or_b64 exec, exec, s[62:63]
	v_max_f32_e32 v4, v4, v4
	v_max_f32_e32 v3, v3, v3
	v_max_f32_e32 v3, v3, v4
	s_branch .LBB6_1717
.LBB6_1703:                             ;   in Loop: Header=BB6_1409 Depth=2
                                        ; implicit-def: $vgpr3
	s_cbranch_execz .LBB6_1717
; %bb.1704:                             ;   in Loop: Header=BB6_1409 Depth=2
	v_mov_b32_e32 v4, 0
	v_mov_b32_e32 v3, 0
	s_and_saveexec_b64 s[62:63], s[24:25]
	s_cbranch_execz .LBB6_1710
; %bb.1705:                             ;   in Loop: Header=BB6_1409 Depth=2
	v_cmp_ne_u32_e32 vcc, s75, v24
	v_bfrev_b32_e32 v3, 1
	s_and_saveexec_b64 s[24:25], vcc
	s_cbranch_execz .LBB6_1709
; %bb.1706:                             ;   in Loop: Header=BB6_1409 Depth=2
	v_bfe_u32 v5, v15, 24, 7
	v_cmp_ne_u32_e32 vcc, s76, v5
	v_mov_b32_e32 v3, 0x7f800001
	s_and_saveexec_b64 s[64:65], vcc
	s_cbranch_execz .LBB6_1708
; %bb.1707:                             ;   in Loop: Header=BB6_1409 Depth=2
	v_and_b32_e32 v3, 7, v24
	v_ffbh_u32_e32 v6, v3
	v_min_u32_e32 v9, 32, v6
	v_subrev_u32_e32 v6, 28, v9
	v_lshlrev_b64 v[6:7], v6, v[24:25]
	v_lshrrev_b32_e32 v8, 3, v5
	v_sub_u32_e32 v7, 29, v9
	v_and_b32_e32 v6, 7, v6
	v_cmp_gt_u32_e32 vcc, 8, v5
	v_cndmask_b32_e32 v5, v8, v7, vcc
	v_cndmask_b32_e32 v3, v3, v6, vcc
	v_lshlrev_b32_e32 v6, 24, v24
	v_lshlrev_b32_e32 v3, 20, v3
	v_and_b32_e32 v6, 0x80000000, v6
	v_lshl_add_u32 v5, v5, 23, v26
	v_or3_b32 v3, v6, v5, v3
.LBB6_1708:                             ;   in Loop: Header=BB6_1409 Depth=2
	s_or_b64 exec, exec, s[64:65]
.LBB6_1709:                             ;   in Loop: Header=BB6_1409 Depth=2
	s_or_b64 exec, exec, s[24:25]
.LBB6_1710:                             ;   in Loop: Header=BB6_1409 Depth=2
	s_or_b64 exec, exec, s[62:63]
	v_cmp_lt_u64_e32 vcc, s[48:49], v[10:11]
	s_and_saveexec_b64 s[24:25], vcc
	s_cbranch_execz .LBB6_1716
; %bb.1711:                             ;   in Loop: Header=BB6_1409 Depth=2
	v_cmp_ne_u32_e32 vcc, s75, v2
	v_bfrev_b32_e32 v4, 1
	s_and_saveexec_b64 s[62:63], vcc
	s_cbranch_execz .LBB6_1715
; %bb.1712:                             ;   in Loop: Header=BB6_1409 Depth=2
	v_bfe_u32 v5, v11, 24, 7
	v_cmp_ne_u32_e32 vcc, s76, v5
	v_mov_b32_e32 v4, 0x7f800001
	s_and_saveexec_b64 s[64:65], vcc
	s_cbranch_execz .LBB6_1714
; %bb.1713:                             ;   in Loop: Header=BB6_1409 Depth=2
	v_and_b32_e32 v4, 7, v2
	v_ffbh_u32_e32 v6, v4
	v_min_u32_e32 v9, 32, v6
	v_subrev_u32_e32 v6, 28, v9
	v_lshlrev_b64 v[6:7], v6, v[2:3]
	v_lshrrev_b32_e32 v8, 3, v5
	v_sub_u32_e32 v7, 29, v9
	v_and_b32_e32 v6, 7, v6
	v_cmp_gt_u32_e32 vcc, 8, v5
	v_cndmask_b32_e32 v5, v8, v7, vcc
	v_cndmask_b32_e32 v4, v4, v6, vcc
	v_lshlrev_b32_e32 v2, 24, v2
	v_lshlrev_b32_e32 v4, 20, v4
	v_and_b32_e32 v2, 0x80000000, v2
	v_lshl_add_u32 v5, v5, 23, v26
	v_or3_b32 v4, v2, v5, v4
.LBB6_1714:                             ;   in Loop: Header=BB6_1409 Depth=2
	s_or_b64 exec, exec, s[64:65]
.LBB6_1715:                             ;   in Loop: Header=BB6_1409 Depth=2
	s_or_b64 exec, exec, s[62:63]
.LBB6_1716:                             ;   in Loop: Header=BB6_1409 Depth=2
	s_or_b64 exec, exec, s[24:25]
	v_max_f32_e32 v2, v4, v4
	v_max_f32_e32 v3, v3, v3
	v_min_f32_e32 v3, v3, v2
.LBB6_1717:                             ;   in Loop: Header=BB6_1409 Depth=2
	v_and_b32_sdwa v4, v3, s75 dst_sel:DWORD dst_unused:UNUSED_PAD src0_sel:BYTE_3 src1_sel:DWORD
	v_and_b32_e32 v6, 0x7f800000, v3
	v_mov_b32_e32 v7, v55
	v_and_b32_e32 v54, 0x7fffff, v3
	v_or_b32_e32 v15, 0x7e, v4
	v_cmp_ne_u64_e32 vcc, s[44:45], v[6:7]
	s_and_saveexec_b64 s[24:25], vcc
	s_xor_b64 s[62:63], exec, s[24:25]
	s_cbranch_execnz .LBB6_1733
; %bb.1718:                             ;   in Loop: Header=BB6_1409 Depth=2
	s_andn2_saveexec_b64 s[24:25], s[62:63]
	s_cbranch_execnz .LBB6_1742
.LBB6_1719:                             ;   in Loop: Header=BB6_1409 Depth=2
	s_or_b64 exec, exec, s[24:25]
	v_cmp_ne_u16_sdwa s[24:25], v16, v55 src0_sel:BYTE_0 src1_sel:DWORD
	s_and_b64 vcc, exec, s[60:61]
	s_cbranch_vccz .LBB6_1743
.LBB6_1720:                             ;   in Loop: Header=BB6_1409 Depth=2
	v_mov_b32_e32 v3, 0
	v_mov_b32_e32 v2, 0
	s_and_saveexec_b64 s[62:63], s[24:25]
	s_cbranch_execz .LBB6_1726
; %bb.1721:                             ;   in Loop: Header=BB6_1409 Depth=2
	v_cmp_ne_u16_sdwa vcc, v16, s75 src0_sel:BYTE_0 src1_sel:DWORD
	v_bfrev_b32_e32 v2, 1
	s_and_saveexec_b64 s[64:65], vcc
	s_cbranch_execz .LBB6_1725
; %bb.1722:                             ;   in Loop: Header=BB6_1409 Depth=2
	v_and_b32_e32 v4, 0x7f, v16
	v_cmp_ne_u32_e32 vcc, s76, v4
	v_mov_b32_e32 v2, 0x7f800001
	s_and_saveexec_b64 s[66:67], vcc
	s_cbranch_execz .LBB6_1724
; %bb.1723:                             ;   in Loop: Header=BB6_1409 Depth=2
	v_and_b32_e32 v2, 7, v16
	v_ffbh_u32_e32 v2, v2
	v_min_u32_e32 v2, 32, v2
	v_subrev_u32_e32 v6, 28, v2
	v_cmp_gt_u32_e32 vcc, 8, v4
	v_lshrrev_b32_e32 v5, 3, v4
	v_sub_u32_e32 v2, 29, v2
	v_cndmask_b32_e32 v4, 0, v6, vcc
	v_cndmask_b32_e32 v2, v5, v2, vcc
	v_lshlrev_b64 v[4:5], v4, v[16:17]
	v_lshlrev_b32_e32 v4, 20, v4
	v_lshlrev_b32_e32 v5, 24, v16
	v_and_b32_e32 v4, 0x700000, v4
	v_and_b32_e32 v5, 0x80000000, v5
	v_lshl_add_u32 v2, v2, 23, v26
	v_or3_b32 v2, v5, v2, v4
.LBB6_1724:                             ;   in Loop: Header=BB6_1409 Depth=2
	s_or_b64 exec, exec, s[66:67]
.LBB6_1725:                             ;   in Loop: Header=BB6_1409 Depth=2
	s_or_b64 exec, exec, s[64:65]
.LBB6_1726:                             ;   in Loop: Header=BB6_1409 Depth=2
	s_or_b64 exec, exec, s[62:63]
	v_cmp_ne_u16_sdwa vcc, v12, v55 src0_sel:BYTE_0 src1_sel:DWORD
	s_and_saveexec_b64 s[62:63], vcc
	s_cbranch_execz .LBB6_1732
; %bb.1727:                             ;   in Loop: Header=BB6_1409 Depth=2
	v_cmp_ne_u16_sdwa vcc, v12, s75 src0_sel:BYTE_0 src1_sel:DWORD
	v_bfrev_b32_e32 v3, 1
	s_and_saveexec_b64 s[64:65], vcc
	s_cbranch_execz .LBB6_1731
; %bb.1728:                             ;   in Loop: Header=BB6_1409 Depth=2
	v_and_b32_e32 v4, 0x7f, v12
	v_cmp_ne_u32_e32 vcc, s76, v4
	v_mov_b32_e32 v3, 0x7f800001
	s_and_saveexec_b64 s[66:67], vcc
	s_cbranch_execz .LBB6_1730
; %bb.1729:                             ;   in Loop: Header=BB6_1409 Depth=2
	v_and_b32_e32 v3, 7, v12
	v_ffbh_u32_e32 v3, v3
	v_min_u32_e32 v3, 32, v3
	v_subrev_u32_e32 v6, 28, v3
	v_cmp_gt_u32_e32 vcc, 8, v4
	v_lshrrev_b32_e32 v5, 3, v4
	v_sub_u32_e32 v3, 29, v3
	v_cndmask_b32_e32 v4, 0, v6, vcc
	v_cndmask_b32_e32 v3, v5, v3, vcc
	v_lshlrev_b64 v[4:5], v4, v[12:13]
	v_lshlrev_b32_e32 v4, 20, v4
	v_lshlrev_b32_e32 v5, 24, v12
	v_and_b32_e32 v4, 0x700000, v4
	v_and_b32_e32 v5, 0x80000000, v5
	v_lshl_add_u32 v3, v3, 23, v26
	v_or3_b32 v3, v5, v3, v4
.LBB6_1730:                             ;   in Loop: Header=BB6_1409 Depth=2
	s_or_b64 exec, exec, s[66:67]
.LBB6_1731:                             ;   in Loop: Header=BB6_1409 Depth=2
	s_or_b64 exec, exec, s[64:65]
.LBB6_1732:                             ;   in Loop: Header=BB6_1409 Depth=2
	s_or_b64 exec, exec, s[62:63]
	v_max_f32_e32 v3, v3, v3
	v_max_f32_e32 v2, v2, v2
	;; [unrolled: 1-line block ×3, first 2 shown]
	s_branch .LBB6_1757
.LBB6_1733:                             ;   in Loop: Header=BB6_1409 Depth=2
	v_and_b32_e32 v6, 0x7fffffff, v3
	v_mov_b32_e32 v7, v55
	v_cmp_gt_u64_e32 vcc, s[46:47], v[6:7]
	s_and_saveexec_b64 s[64:65], vcc
	s_cbranch_execz .LBB6_1741
; %bb.1734:                             ;   in Loop: Header=BB6_1409 Depth=2
	v_cmp_ne_u32_e32 vcc, 0, v3
	v_mov_b32_e32 v15, 0
	s_and_saveexec_b64 s[66:67], vcc
	s_cbranch_execz .LBB6_1740
; %bb.1735:                             ;   in Loop: Header=BB6_1409 Depth=2
	v_bfe_u32 v2, v3, 23, 8
	v_sub_u32_e32 v5, 0x79, v2
	v_cmp_gt_u32_e32 vcc, s78, v2
	v_cndmask_b32_e32 v5, 0, v5, vcc
	v_cmp_eq_u32_e32 vcc, 0, v2
	v_or_b32_e32 v6, 0x800000, v54
	v_cndmask_b32_e32 v5, v5, v32, vcc
	v_add_u32_e32 v3, 0xffffff81, v2
	v_cndmask_b32_e32 v54, v6, v54, vcc
	v_add_u32_e32 v2, 20, v5
	v_cndmask_b32_e32 v10, v3, v33, vcc
	v_lshlrev_b64 v[2:3], v2, -1
	v_lshrrev_b64 v[8:9], v5, v[54:55]
	v_not_b32_e32 v3, v3
	v_not_b32_e32 v2, v2
	v_add_u32_e32 v6, 19, v5
	v_lshrrev_b32_e32 v11, 23, v8
	v_and_b32_e32 v3, 0, v3
	v_and_b32_e32 v2, v54, v2
	v_lshlrev_b64 v[6:7], v6, 1
	v_add3_u32 v11, v5, v10, v11
	v_bfe_u32 v5, v8, 20, 1
	v_add_u32_e32 v5, -1, v5
	v_cmp_eq_u64_e32 vcc, v[2:3], v[6:7]
	v_cndmask_b32_e32 v2, 0, v5, vcc
	v_add_u32_e32 v2, v2, v8
	v_and_b32_e32 v2, 0xfffff, v2
	v_add_co_u32_e32 v2, vcc, v2, v8
	v_add_u32_e32 v10, 6, v11
	v_addc_co_u32_e32 v3, vcc, 0, v9, vcc
	v_cmp_ne_u32_e32 vcc, 0, v10
                                        ; implicit-def: $vgpr5
	s_and_saveexec_b64 s[24:25], vcc
	s_xor_b64 s[24:25], exec, s[24:25]
; %bb.1736:                             ;   in Loop: Header=BB6_1409 Depth=2
	v_cmp_lt_u64_e32 vcc, s[50:51], v[2:3]
	v_add_u32_e32 v5, 7, v11
	v_cndmask_b32_e64 v6, 0, 1, vcc
	v_cndmask_b32_e32 v5, v10, v5, vcc
	v_lshrrev_b64 v[2:3], v6, v[2:3]
; %bb.1737:                             ;   in Loop: Header=BB6_1409 Depth=2
	s_andn2_saveexec_b64 s[24:25], s[24:25]
; %bb.1738:                             ;   in Loop: Header=BB6_1409 Depth=2
	v_bfe_u32 v5, v2, 23, 1
; %bb.1739:                             ;   in Loop: Header=BB6_1409 Depth=2
	s_or_b64 exec, exec, s[24:25]
	v_lshrrev_b64 v[2:3], 20, v[2:3]
	v_cmp_gt_i32_e32 vcc, 16, v5
	v_cndmask_b32_e32 v3, 0, v3, vcc
	v_cndmask_b32_e32 v2, 7, v2, vcc
	v_cmp_eq_u64_e64 s[24:25], 0, v[2:3]
	v_min_i32_e32 v3, 15, v5
	v_lshlrev_b32_e32 v3, 3, v3
	v_cmp_eq_u32_e32 vcc, 0, v5
	v_and_b32_e32 v3, 0xf8, v3
	v_and_or_b32 v2, v2, 7, v3
	s_and_b64 s[24:25], vcc, s[24:25]
	v_cndmask_b32_e64 v2, v2, 0, s[24:25]
	v_or_b32_e32 v15, v2, v4
.LBB6_1740:                             ;   in Loop: Header=BB6_1409 Depth=2
	s_or_b64 exec, exec, s[66:67]
.LBB6_1741:                             ;   in Loop: Header=BB6_1409 Depth=2
	s_or_b64 exec, exec, s[64:65]
                                        ; implicit-def: $vgpr3
	s_andn2_saveexec_b64 s[24:25], s[62:63]
	s_cbranch_execz .LBB6_1719
.LBB6_1742:                             ;   in Loop: Header=BB6_1409 Depth=2
	v_or_b32_sdwa v2, v3, s76 dst_sel:DWORD dst_unused:UNUSED_PAD src0_sel:BYTE_3 src1_sel:DWORD
	v_cmp_eq_u64_e32 vcc, 0, v[54:55]
	v_cndmask_b32_e32 v15, v2, v15, vcc
	s_or_b64 exec, exec, s[24:25]
	v_cmp_ne_u16_sdwa s[24:25], v16, v55 src0_sel:BYTE_0 src1_sel:DWORD
	s_and_b64 vcc, exec, s[60:61]
	s_cbranch_vccnz .LBB6_1720
.LBB6_1743:                             ;   in Loop: Header=BB6_1409 Depth=2
                                        ; implicit-def: $vgpr2
	s_cbranch_execz .LBB6_1757
; %bb.1744:                             ;   in Loop: Header=BB6_1409 Depth=2
	v_mov_b32_e32 v3, 0
	v_mov_b32_e32 v2, 0
	s_and_saveexec_b64 s[62:63], s[24:25]
	s_cbranch_execz .LBB6_1750
; %bb.1745:                             ;   in Loop: Header=BB6_1409 Depth=2
	v_cmp_ne_u16_sdwa vcc, v16, s75 src0_sel:BYTE_0 src1_sel:DWORD
	v_bfrev_b32_e32 v2, 1
	s_and_saveexec_b64 s[24:25], vcc
	s_cbranch_execz .LBB6_1749
; %bb.1746:                             ;   in Loop: Header=BB6_1409 Depth=2
	v_and_b32_e32 v4, 0x7f, v16
	v_cmp_ne_u32_e32 vcc, s76, v4
	v_mov_b32_e32 v2, 0x7f800001
	s_and_saveexec_b64 s[64:65], vcc
	s_cbranch_execz .LBB6_1748
; %bb.1747:                             ;   in Loop: Header=BB6_1409 Depth=2
	v_and_b32_e32 v2, 7, v16
	v_ffbh_u32_e32 v2, v2
	v_min_u32_e32 v2, 32, v2
	v_subrev_u32_e32 v6, 28, v2
	v_cmp_gt_u32_e32 vcc, 8, v4
	v_lshrrev_b32_e32 v5, 3, v4
	v_sub_u32_e32 v2, 29, v2
	v_cndmask_b32_e32 v4, 0, v6, vcc
	v_cndmask_b32_e32 v2, v5, v2, vcc
	v_lshlrev_b64 v[4:5], v4, v[16:17]
	v_lshlrev_b32_e32 v4, 20, v4
	v_lshlrev_b32_e32 v5, 24, v16
	v_and_b32_e32 v4, 0x700000, v4
	v_and_b32_e32 v5, 0x80000000, v5
	v_lshl_add_u32 v2, v2, 23, v26
	v_or3_b32 v2, v5, v2, v4
.LBB6_1748:                             ;   in Loop: Header=BB6_1409 Depth=2
	s_or_b64 exec, exec, s[64:65]
.LBB6_1749:                             ;   in Loop: Header=BB6_1409 Depth=2
	s_or_b64 exec, exec, s[24:25]
.LBB6_1750:                             ;   in Loop: Header=BB6_1409 Depth=2
	s_or_b64 exec, exec, s[62:63]
	v_cmp_ne_u16_sdwa vcc, v12, v55 src0_sel:BYTE_0 src1_sel:DWORD
	s_and_saveexec_b64 s[24:25], vcc
	s_cbranch_execz .LBB6_1756
; %bb.1751:                             ;   in Loop: Header=BB6_1409 Depth=2
	v_cmp_ne_u16_sdwa vcc, v12, s75 src0_sel:BYTE_0 src1_sel:DWORD
	v_bfrev_b32_e32 v3, 1
	s_and_saveexec_b64 s[62:63], vcc
	s_cbranch_execz .LBB6_1755
; %bb.1752:                             ;   in Loop: Header=BB6_1409 Depth=2
	v_and_b32_e32 v4, 0x7f, v12
	v_cmp_ne_u32_e32 vcc, s76, v4
	v_mov_b32_e32 v3, 0x7f800001
	s_and_saveexec_b64 s[64:65], vcc
	s_cbranch_execz .LBB6_1754
; %bb.1753:                             ;   in Loop: Header=BB6_1409 Depth=2
	v_and_b32_e32 v3, 7, v12
	v_ffbh_u32_e32 v3, v3
	v_min_u32_e32 v3, 32, v3
	v_subrev_u32_e32 v6, 28, v3
	v_cmp_gt_u32_e32 vcc, 8, v4
	v_lshrrev_b32_e32 v5, 3, v4
	v_sub_u32_e32 v3, 29, v3
	v_cndmask_b32_e32 v4, 0, v6, vcc
	v_cndmask_b32_e32 v3, v5, v3, vcc
	v_lshlrev_b64 v[4:5], v4, v[12:13]
	v_lshlrev_b32_e32 v4, 20, v4
	v_lshlrev_b32_e32 v5, 24, v12
	v_and_b32_e32 v4, 0x700000, v4
	v_and_b32_e32 v5, 0x80000000, v5
	v_lshl_add_u32 v3, v3, 23, v26
	v_or3_b32 v3, v5, v3, v4
.LBB6_1754:                             ;   in Loop: Header=BB6_1409 Depth=2
	s_or_b64 exec, exec, s[64:65]
.LBB6_1755:                             ;   in Loop: Header=BB6_1409 Depth=2
	s_or_b64 exec, exec, s[62:63]
.LBB6_1756:                             ;   in Loop: Header=BB6_1409 Depth=2
	s_or_b64 exec, exec, s[24:25]
	v_max_f32_e32 v3, v3, v3
	v_max_f32_e32 v2, v2, v2
	v_min_f32_e32 v2, v2, v3
.LBB6_1757:                             ;   in Loop: Header=BB6_1409 Depth=2
	v_and_b32_sdwa v4, v2, s75 dst_sel:DWORD dst_unused:UNUSED_PAD src0_sel:BYTE_3 src1_sel:DWORD
	v_and_b32_e32 v6, 0x7f800000, v2
	v_mov_b32_e32 v7, v55
	v_and_b32_e32 v54, 0x7fffff, v2
	v_or_b32_e32 v24, 0x7e, v4
	v_cmp_ne_u64_e32 vcc, s[44:45], v[6:7]
	s_and_saveexec_b64 s[24:25], vcc
	s_xor_b64 s[62:63], exec, s[24:25]
	s_cbranch_execz .LBB6_1767
; %bb.1758:                             ;   in Loop: Header=BB6_1409 Depth=2
	v_and_b32_e32 v6, 0x7fffffff, v2
	v_mov_b32_e32 v7, v55
	v_cmp_gt_u64_e32 vcc, s[46:47], v[6:7]
	s_and_saveexec_b64 s[64:65], vcc
	s_cbranch_execz .LBB6_1766
; %bb.1759:                             ;   in Loop: Header=BB6_1409 Depth=2
	v_cmp_ne_u32_e32 vcc, 0, v2
	v_mov_b32_e32 v24, 0
	s_and_saveexec_b64 s[66:67], vcc
	s_cbranch_execz .LBB6_1765
; %bb.1760:                             ;   in Loop: Header=BB6_1409 Depth=2
	v_bfe_u32 v2, v2, 23, 8
	v_sub_u32_e32 v5, 0x79, v2
	v_cmp_gt_u32_e32 vcc, s78, v2
	v_cndmask_b32_e32 v5, 0, v5, vcc
	v_cmp_eq_u32_e32 vcc, 0, v2
	v_or_b32_e32 v6, 0x800000, v54
	v_cndmask_b32_e32 v5, v5, v32, vcc
	v_add_u32_e32 v3, 0xffffff81, v2
	v_cndmask_b32_e32 v54, v6, v54, vcc
	v_add_u32_e32 v2, 20, v5
	v_cndmask_b32_e32 v10, v3, v33, vcc
	v_lshlrev_b64 v[2:3], v2, -1
	v_lshrrev_b64 v[8:9], v5, v[54:55]
	v_not_b32_e32 v3, v3
	v_not_b32_e32 v2, v2
	v_add_u32_e32 v6, 19, v5
	v_lshrrev_b32_e32 v11, 23, v8
	v_and_b32_e32 v3, 0, v3
	v_and_b32_e32 v2, v54, v2
	v_lshlrev_b64 v[6:7], v6, 1
	v_add3_u32 v11, v5, v10, v11
	v_bfe_u32 v5, v8, 20, 1
	v_add_u32_e32 v5, -1, v5
	v_cmp_eq_u64_e32 vcc, v[2:3], v[6:7]
	v_cndmask_b32_e32 v2, 0, v5, vcc
	v_add_u32_e32 v2, v2, v8
	v_and_b32_e32 v2, 0xfffff, v2
	v_add_co_u32_e32 v2, vcc, v2, v8
	v_add_u32_e32 v10, 6, v11
	v_addc_co_u32_e32 v3, vcc, 0, v9, vcc
	v_cmp_ne_u32_e32 vcc, 0, v10
                                        ; implicit-def: $vgpr5
	s_and_saveexec_b64 s[24:25], vcc
	s_xor_b64 s[24:25], exec, s[24:25]
; %bb.1761:                             ;   in Loop: Header=BB6_1409 Depth=2
	v_cmp_lt_u64_e32 vcc, s[50:51], v[2:3]
	v_add_u32_e32 v5, 7, v11
	v_cndmask_b32_e64 v6, 0, 1, vcc
	v_cndmask_b32_e32 v5, v10, v5, vcc
	v_lshrrev_b64 v[2:3], v6, v[2:3]
; %bb.1762:                             ;   in Loop: Header=BB6_1409 Depth=2
	s_andn2_saveexec_b64 s[24:25], s[24:25]
; %bb.1763:                             ;   in Loop: Header=BB6_1409 Depth=2
	v_bfe_u32 v5, v2, 23, 1
; %bb.1764:                             ;   in Loop: Header=BB6_1409 Depth=2
	s_or_b64 exec, exec, s[24:25]
	v_lshrrev_b64 v[2:3], 20, v[2:3]
	v_cmp_gt_i32_e32 vcc, 16, v5
	v_cndmask_b32_e32 v3, 0, v3, vcc
	v_cndmask_b32_e32 v2, 7, v2, vcc
	v_cmp_eq_u64_e64 s[24:25], 0, v[2:3]
	v_min_i32_e32 v3, 15, v5
	v_cmp_eq_u32_e32 vcc, 0, v5
	v_lshlrev_b32_e32 v3, 3, v3
	v_and_or_b32 v2, v2, 7, v3
	s_and_b64 s[24:25], vcc, s[24:25]
	v_cndmask_b32_e64 v2, v2, 0, s[24:25]
	v_or_b32_e32 v24, v2, v4
.LBB6_1765:                             ;   in Loop: Header=BB6_1409 Depth=2
	s_or_b64 exec, exec, s[66:67]
.LBB6_1766:                             ;   in Loop: Header=BB6_1409 Depth=2
	s_or_b64 exec, exec, s[64:65]
                                        ; implicit-def: $vgpr2
.LBB6_1767:                             ;   in Loop: Header=BB6_1409 Depth=2
	s_andn2_saveexec_b64 s[24:25], s[62:63]
; %bb.1768:                             ;   in Loop: Header=BB6_1409 Depth=2
	v_or_b32_sdwa v2, v2, s76 dst_sel:DWORD dst_unused:UNUSED_PAD src0_sel:BYTE_3 src1_sel:DWORD
	v_cmp_eq_u64_e32 vcc, 0, v[54:55]
	v_cndmask_b32_e32 v24, v2, v24, vcc
; %bb.1769:                             ;   in Loop: Header=BB6_1409 Depth=2
	s_or_b64 exec, exec, s[24:25]
	v_lshrrev_b16_e32 v10, 8, v16
	v_lshrrev_b16_e32 v2, 8, v12
	v_cmp_ne_u16_e64 s[24:25], 0, v10
	s_and_b64 vcc, exec, s[60:61]
	s_cbranch_vccz .LBB6_1783
; %bb.1770:                             ;   in Loop: Header=BB6_1409 Depth=2
	v_mov_b32_e32 v4, 0
	v_mov_b32_e32 v3, 0
	s_and_saveexec_b64 s[62:63], s[24:25]
	s_cbranch_execz .LBB6_1776
; %bb.1771:                             ;   in Loop: Header=BB6_1409 Depth=2
	v_cmp_ne_u16_e32 vcc, s75, v10
	v_bfrev_b32_e32 v3, 1
	s_and_saveexec_b64 s[64:65], vcc
	s_cbranch_execz .LBB6_1775
; %bb.1772:                             ;   in Loop: Header=BB6_1409 Depth=2
	v_and_b32_e32 v5, 0x7f, v10
	v_cmp_ne_u32_e32 vcc, s76, v5
	v_mov_b32_e32 v3, 0x7f800001
	s_and_saveexec_b64 s[66:67], vcc
	s_cbranch_execz .LBB6_1774
; %bb.1773:                             ;   in Loop: Header=BB6_1409 Depth=2
	v_and_b32_e32 v3, 7, v10
	v_ffbh_u32_e32 v6, v3
	v_min_u32_e32 v9, 32, v6
	v_subrev_u32_e32 v6, 28, v9
	v_lshlrev_b64 v[6:7], v6, v[10:11]
	v_lshrrev_b32_e32 v8, 3, v5
	v_sub_u32_e32 v7, 29, v9
	v_and_b32_e32 v6, 7, v6
	v_cmp_gt_u32_e32 vcc, 8, v5
	v_cndmask_b32_e32 v5, v8, v7, vcc
	v_cndmask_b32_e32 v3, v3, v6, vcc
	v_lshlrev_b32_e32 v6, 16, v16
	v_lshlrev_b32_e32 v3, 20, v3
	v_and_b32_e32 v6, 0x80000000, v6
	v_lshl_add_u32 v5, v5, 23, v26
	v_or3_b32 v3, v6, v5, v3
.LBB6_1774:                             ;   in Loop: Header=BB6_1409 Depth=2
	s_or_b64 exec, exec, s[66:67]
.LBB6_1775:                             ;   in Loop: Header=BB6_1409 Depth=2
	s_or_b64 exec, exec, s[64:65]
.LBB6_1776:                             ;   in Loop: Header=BB6_1409 Depth=2
	s_or_b64 exec, exec, s[62:63]
	v_cmp_ne_u16_e32 vcc, 0, v2
	s_and_saveexec_b64 s[62:63], vcc
	s_cbranch_execz .LBB6_1782
; %bb.1777:                             ;   in Loop: Header=BB6_1409 Depth=2
	v_cmp_ne_u16_e32 vcc, s75, v2
	v_bfrev_b32_e32 v4, 1
	s_and_saveexec_b64 s[64:65], vcc
	s_cbranch_execz .LBB6_1781
; %bb.1778:                             ;   in Loop: Header=BB6_1409 Depth=2
	v_and_b32_e32 v5, 0x7f, v2
	v_cmp_ne_u32_e32 vcc, s76, v5
	v_mov_b32_e32 v4, 0x7f800001
	s_and_saveexec_b64 s[66:67], vcc
	s_cbranch_execz .LBB6_1780
; %bb.1779:                             ;   in Loop: Header=BB6_1409 Depth=2
	v_and_b32_e32 v4, 7, v2
	v_ffbh_u32_e32 v6, v4
	v_min_u32_e32 v9, 32, v6
	v_subrev_u32_e32 v6, 28, v9
	v_lshlrev_b64 v[6:7], v6, v[2:3]
	v_lshrrev_b32_e32 v8, 3, v5
	v_sub_u32_e32 v7, 29, v9
	v_and_b32_e32 v6, 7, v6
	v_cmp_gt_u32_e32 vcc, 8, v5
	v_cndmask_b32_e32 v5, v8, v7, vcc
	v_cndmask_b32_e32 v4, v4, v6, vcc
	v_lshlrev_b32_e32 v6, 16, v12
	v_lshlrev_b32_e32 v4, 20, v4
	v_and_b32_e32 v6, 0x80000000, v6
	v_lshl_add_u32 v5, v5, 23, v26
	v_or3_b32 v4, v6, v5, v4
.LBB6_1780:                             ;   in Loop: Header=BB6_1409 Depth=2
	s_or_b64 exec, exec, s[66:67]
.LBB6_1781:                             ;   in Loop: Header=BB6_1409 Depth=2
	s_or_b64 exec, exec, s[64:65]
.LBB6_1782:                             ;   in Loop: Header=BB6_1409 Depth=2
	s_or_b64 exec, exec, s[62:63]
	v_max_f32_e32 v4, v4, v4
	v_max_f32_e32 v3, v3, v3
	;; [unrolled: 1-line block ×3, first 2 shown]
	s_branch .LBB6_1797
.LBB6_1783:                             ;   in Loop: Header=BB6_1409 Depth=2
                                        ; implicit-def: $vgpr3
	s_cbranch_execz .LBB6_1797
; %bb.1784:                             ;   in Loop: Header=BB6_1409 Depth=2
	v_mov_b32_e32 v4, 0
	v_mov_b32_e32 v3, 0
	s_and_saveexec_b64 s[62:63], s[24:25]
	s_cbranch_execz .LBB6_1790
; %bb.1785:                             ;   in Loop: Header=BB6_1409 Depth=2
	v_cmp_ne_u16_e32 vcc, s75, v10
	v_bfrev_b32_e32 v3, 1
	s_and_saveexec_b64 s[24:25], vcc
	s_cbranch_execz .LBB6_1789
; %bb.1786:                             ;   in Loop: Header=BB6_1409 Depth=2
	v_and_b32_e32 v5, 0x7f, v10
	v_cmp_ne_u32_e32 vcc, s76, v5
	v_mov_b32_e32 v3, 0x7f800001
	s_and_saveexec_b64 s[64:65], vcc
	s_cbranch_execz .LBB6_1788
; %bb.1787:                             ;   in Loop: Header=BB6_1409 Depth=2
	v_and_b32_e32 v3, 7, v10
	v_ffbh_u32_e32 v6, v3
	v_min_u32_e32 v9, 32, v6
	v_subrev_u32_e32 v6, 28, v9
	v_lshlrev_b64 v[6:7], v6, v[10:11]
	v_lshrrev_b32_e32 v8, 3, v5
	v_sub_u32_e32 v7, 29, v9
	v_and_b32_e32 v6, 7, v6
	v_cmp_gt_u32_e32 vcc, 8, v5
	v_cndmask_b32_e32 v5, v8, v7, vcc
	v_cndmask_b32_e32 v3, v3, v6, vcc
	v_lshlrev_b32_e32 v6, 16, v16
	v_lshlrev_b32_e32 v3, 20, v3
	v_and_b32_e32 v6, 0x80000000, v6
	v_lshl_add_u32 v5, v5, 23, v26
	v_or3_b32 v3, v6, v5, v3
.LBB6_1788:                             ;   in Loop: Header=BB6_1409 Depth=2
	s_or_b64 exec, exec, s[64:65]
.LBB6_1789:                             ;   in Loop: Header=BB6_1409 Depth=2
	s_or_b64 exec, exec, s[24:25]
.LBB6_1790:                             ;   in Loop: Header=BB6_1409 Depth=2
	s_or_b64 exec, exec, s[62:63]
	v_cmp_ne_u16_e32 vcc, 0, v2
	s_and_saveexec_b64 s[24:25], vcc
	s_cbranch_execz .LBB6_1796
; %bb.1791:                             ;   in Loop: Header=BB6_1409 Depth=2
	v_cmp_ne_u16_e32 vcc, s75, v2
	v_bfrev_b32_e32 v4, 1
	s_and_saveexec_b64 s[62:63], vcc
	s_cbranch_execz .LBB6_1795
; %bb.1792:                             ;   in Loop: Header=BB6_1409 Depth=2
	v_and_b32_e32 v5, 0x7f, v2
	v_cmp_ne_u32_e32 vcc, s76, v5
	v_mov_b32_e32 v4, 0x7f800001
	s_and_saveexec_b64 s[64:65], vcc
	s_cbranch_execz .LBB6_1794
; %bb.1793:                             ;   in Loop: Header=BB6_1409 Depth=2
	v_and_b32_e32 v4, 7, v2
	v_ffbh_u32_e32 v6, v4
	v_min_u32_e32 v9, 32, v6
	v_subrev_u32_e32 v6, 28, v9
	v_lshlrev_b64 v[6:7], v6, v[2:3]
	v_lshrrev_b32_e32 v8, 3, v5
	v_sub_u32_e32 v2, 29, v9
	v_and_b32_e32 v6, 7, v6
	v_cmp_gt_u32_e32 vcc, 8, v5
	v_cndmask_b32_e32 v2, v8, v2, vcc
	v_cndmask_b32_e32 v4, v4, v6, vcc
	v_lshlrev_b32_e32 v5, 16, v12
	v_lshlrev_b32_e32 v4, 20, v4
	v_and_b32_e32 v5, 0x80000000, v5
	v_lshl_add_u32 v2, v2, 23, v26
	v_or3_b32 v4, v5, v2, v4
.LBB6_1794:                             ;   in Loop: Header=BB6_1409 Depth=2
	s_or_b64 exec, exec, s[64:65]
.LBB6_1795:                             ;   in Loop: Header=BB6_1409 Depth=2
	s_or_b64 exec, exec, s[62:63]
.LBB6_1796:                             ;   in Loop: Header=BB6_1409 Depth=2
	s_or_b64 exec, exec, s[24:25]
	v_max_f32_e32 v2, v4, v4
	v_max_f32_e32 v3, v3, v3
	v_min_f32_e32 v3, v3, v2
.LBB6_1797:                             ;   in Loop: Header=BB6_1409 Depth=2
	v_and_b32_sdwa v4, v3, s75 dst_sel:DWORD dst_unused:UNUSED_PAD src0_sel:BYTE_3 src1_sel:DWORD
	v_and_b32_e32 v6, 0x7f800000, v3
	v_mov_b32_e32 v7, v55
	v_and_b32_e32 v54, 0x7fffff, v3
	v_or_b32_e32 v48, 0x7e, v4
	v_cmp_ne_u64_e32 vcc, s[44:45], v[6:7]
	s_and_saveexec_b64 s[24:25], vcc
	s_xor_b64 s[62:63], exec, s[24:25]
	s_cbranch_execz .LBB6_1807
; %bb.1798:                             ;   in Loop: Header=BB6_1409 Depth=2
	v_and_b32_e32 v6, 0x7fffffff, v3
	v_mov_b32_e32 v7, v55
	v_cmp_gt_u64_e32 vcc, s[46:47], v[6:7]
	s_and_saveexec_b64 s[64:65], vcc
	s_cbranch_execz .LBB6_1806
; %bb.1799:                             ;   in Loop: Header=BB6_1409 Depth=2
	v_cmp_ne_u32_e32 vcc, 0, v3
	v_mov_b32_e32 v48, 0
	s_and_saveexec_b64 s[66:67], vcc
	s_cbranch_execz .LBB6_1805
; %bb.1800:                             ;   in Loop: Header=BB6_1409 Depth=2
	v_bfe_u32 v2, v3, 23, 8
	v_sub_u32_e32 v5, 0x79, v2
	v_cmp_gt_u32_e32 vcc, s78, v2
	v_cndmask_b32_e32 v5, 0, v5, vcc
	v_cmp_eq_u32_e32 vcc, 0, v2
	v_or_b32_e32 v6, 0x800000, v54
	v_cndmask_b32_e32 v5, v5, v32, vcc
	v_add_u32_e32 v3, 0xffffff81, v2
	v_cndmask_b32_e32 v54, v6, v54, vcc
	v_add_u32_e32 v2, 20, v5
	v_cndmask_b32_e32 v10, v3, v33, vcc
	v_lshlrev_b64 v[2:3], v2, -1
	v_lshrrev_b64 v[8:9], v5, v[54:55]
	v_not_b32_e32 v3, v3
	v_not_b32_e32 v2, v2
	v_add_u32_e32 v6, 19, v5
	v_lshrrev_b32_e32 v11, 23, v8
	v_and_b32_e32 v3, 0, v3
	v_and_b32_e32 v2, v54, v2
	v_lshlrev_b64 v[6:7], v6, 1
	v_add3_u32 v11, v5, v10, v11
	v_bfe_u32 v5, v8, 20, 1
	v_add_u32_e32 v5, -1, v5
	v_cmp_eq_u64_e32 vcc, v[2:3], v[6:7]
	v_cndmask_b32_e32 v2, 0, v5, vcc
	v_add_u32_e32 v2, v2, v8
	v_and_b32_e32 v2, 0xfffff, v2
	v_add_co_u32_e32 v2, vcc, v2, v8
	v_add_u32_e32 v10, 6, v11
	v_addc_co_u32_e32 v3, vcc, 0, v9, vcc
	v_cmp_ne_u32_e32 vcc, 0, v10
                                        ; implicit-def: $vgpr5
	s_and_saveexec_b64 s[24:25], vcc
	s_xor_b64 s[24:25], exec, s[24:25]
; %bb.1801:                             ;   in Loop: Header=BB6_1409 Depth=2
	v_cmp_lt_u64_e32 vcc, s[50:51], v[2:3]
	v_add_u32_e32 v5, 7, v11
	v_cndmask_b32_e64 v6, 0, 1, vcc
	v_cndmask_b32_e32 v5, v10, v5, vcc
	v_lshrrev_b64 v[2:3], v6, v[2:3]
; %bb.1802:                             ;   in Loop: Header=BB6_1409 Depth=2
	s_andn2_saveexec_b64 s[24:25], s[24:25]
; %bb.1803:                             ;   in Loop: Header=BB6_1409 Depth=2
	v_bfe_u32 v5, v2, 23, 1
; %bb.1804:                             ;   in Loop: Header=BB6_1409 Depth=2
	s_or_b64 exec, exec, s[24:25]
	v_lshrrev_b64 v[2:3], 20, v[2:3]
	v_cmp_gt_i32_e32 vcc, 16, v5
	v_cndmask_b32_e32 v3, 0, v3, vcc
	v_cndmask_b32_e32 v2, 7, v2, vcc
	v_cmp_eq_u64_e64 s[24:25], 0, v[2:3]
	v_min_i32_e32 v3, 15, v5
	v_cmp_eq_u32_e32 vcc, 0, v5
	v_lshlrev_b32_e32 v3, 3, v3
	v_and_or_b32 v2, v2, 7, v3
	s_and_b64 s[24:25], vcc, s[24:25]
	v_cndmask_b32_e64 v2, v2, 0, s[24:25]
	v_or_b32_e32 v48, v2, v4
.LBB6_1805:                             ;   in Loop: Header=BB6_1409 Depth=2
	s_or_b64 exec, exec, s[66:67]
.LBB6_1806:                             ;   in Loop: Header=BB6_1409 Depth=2
	s_or_b64 exec, exec, s[64:65]
                                        ; implicit-def: $vgpr3
.LBB6_1807:                             ;   in Loop: Header=BB6_1409 Depth=2
	s_andn2_saveexec_b64 s[24:25], s[62:63]
; %bb.1808:                             ;   in Loop: Header=BB6_1409 Depth=2
	v_or_b32_sdwa v2, v3, s76 dst_sel:DWORD dst_unused:UNUSED_PAD src0_sel:BYTE_3 src1_sel:DWORD
	v_cmp_eq_u64_e32 vcc, 0, v[54:55]
	v_cndmask_b32_e32 v48, v2, v48, vcc
; %bb.1809:                             ;   in Loop: Header=BB6_1409 Depth=2
	s_or_b64 exec, exec, s[24:25]
	v_lshrrev_b32_e32 v10, 16, v16
	v_lshrrev_b32_e32 v2, 16, v12
	v_cmp_ne_u16_sdwa s[24:25], v10, v55 src0_sel:BYTE_0 src1_sel:DWORD
	s_and_b64 vcc, exec, s[60:61]
	s_cbranch_vccz .LBB6_1823
; %bb.1810:                             ;   in Loop: Header=BB6_1409 Depth=2
	v_mov_b32_e32 v4, 0
	v_mov_b32_e32 v3, 0
	s_and_saveexec_b64 s[62:63], s[24:25]
	s_cbranch_execz .LBB6_1816
; %bb.1811:                             ;   in Loop: Header=BB6_1409 Depth=2
	v_cmp_ne_u16_sdwa vcc, v10, s75 src0_sel:BYTE_0 src1_sel:DWORD
	v_bfrev_b32_e32 v3, 1
	s_and_saveexec_b64 s[64:65], vcc
	s_cbranch_execz .LBB6_1815
; %bb.1812:                             ;   in Loop: Header=BB6_1409 Depth=2
	v_bfe_u32 v5, v16, 16, 7
	v_cmp_ne_u32_e32 vcc, s76, v5
	v_mov_b32_e32 v3, 0x7f800001
	s_and_saveexec_b64 s[66:67], vcc
	s_cbranch_execz .LBB6_1814
; %bb.1813:                             ;   in Loop: Header=BB6_1409 Depth=2
	v_and_b32_e32 v3, 7, v10
	v_ffbh_u32_e32 v6, v3
	v_min_u32_e32 v9, 32, v6
	v_subrev_u32_e32 v6, 28, v9
	v_lshlrev_b64 v[6:7], v6, v[10:11]
	v_lshrrev_b32_e32 v8, 3, v5
	v_sub_u32_e32 v7, 29, v9
	v_and_b32_e32 v6, 7, v6
	v_cmp_gt_u32_e32 vcc, 8, v5
	v_cndmask_b32_e32 v5, v8, v7, vcc
	v_cndmask_b32_e32 v3, v3, v6, vcc
	v_lshlrev_b32_e32 v6, 24, v10
	v_lshlrev_b32_e32 v3, 20, v3
	v_and_b32_e32 v6, 0x80000000, v6
	v_lshl_add_u32 v5, v5, 23, v26
	v_or3_b32 v3, v6, v5, v3
.LBB6_1814:                             ;   in Loop: Header=BB6_1409 Depth=2
	s_or_b64 exec, exec, s[66:67]
.LBB6_1815:                             ;   in Loop: Header=BB6_1409 Depth=2
	s_or_b64 exec, exec, s[64:65]
.LBB6_1816:                             ;   in Loop: Header=BB6_1409 Depth=2
	s_or_b64 exec, exec, s[62:63]
	v_cmp_ne_u16_sdwa vcc, v2, v55 src0_sel:BYTE_0 src1_sel:DWORD
	s_and_saveexec_b64 s[62:63], vcc
	s_cbranch_execz .LBB6_1822
; %bb.1817:                             ;   in Loop: Header=BB6_1409 Depth=2
	v_cmp_ne_u16_sdwa vcc, v2, s75 src0_sel:BYTE_0 src1_sel:DWORD
	v_bfrev_b32_e32 v4, 1
	s_and_saveexec_b64 s[64:65], vcc
	s_cbranch_execz .LBB6_1821
; %bb.1818:                             ;   in Loop: Header=BB6_1409 Depth=2
	v_bfe_u32 v5, v12, 16, 7
	v_cmp_ne_u32_e32 vcc, s76, v5
	v_mov_b32_e32 v4, 0x7f800001
	s_and_saveexec_b64 s[66:67], vcc
	s_cbranch_execz .LBB6_1820
; %bb.1819:                             ;   in Loop: Header=BB6_1409 Depth=2
	v_and_b32_e32 v4, 7, v2
	v_ffbh_u32_e32 v6, v4
	v_min_u32_e32 v9, 32, v6
	v_subrev_u32_e32 v6, 28, v9
	v_lshlrev_b64 v[6:7], v6, v[2:3]
	v_lshrrev_b32_e32 v8, 3, v5
	v_sub_u32_e32 v7, 29, v9
	v_and_b32_e32 v6, 7, v6
	v_cmp_gt_u32_e32 vcc, 8, v5
	v_cndmask_b32_e32 v5, v8, v7, vcc
	v_cndmask_b32_e32 v4, v4, v6, vcc
	v_lshlrev_b32_e32 v6, 24, v2
	v_lshlrev_b32_e32 v4, 20, v4
	v_and_b32_e32 v6, 0x80000000, v6
	v_lshl_add_u32 v5, v5, 23, v26
	v_or3_b32 v4, v6, v5, v4
.LBB6_1820:                             ;   in Loop: Header=BB6_1409 Depth=2
	s_or_b64 exec, exec, s[66:67]
.LBB6_1821:                             ;   in Loop: Header=BB6_1409 Depth=2
	s_or_b64 exec, exec, s[64:65]
.LBB6_1822:                             ;   in Loop: Header=BB6_1409 Depth=2
	s_or_b64 exec, exec, s[62:63]
	v_max_f32_e32 v4, v4, v4
	v_max_f32_e32 v3, v3, v3
	;; [unrolled: 1-line block ×3, first 2 shown]
	s_branch .LBB6_1837
.LBB6_1823:                             ;   in Loop: Header=BB6_1409 Depth=2
                                        ; implicit-def: $vgpr3
	s_cbranch_execz .LBB6_1837
; %bb.1824:                             ;   in Loop: Header=BB6_1409 Depth=2
	v_mov_b32_e32 v4, 0
	v_mov_b32_e32 v3, 0
	s_and_saveexec_b64 s[62:63], s[24:25]
	s_cbranch_execz .LBB6_1830
; %bb.1825:                             ;   in Loop: Header=BB6_1409 Depth=2
	v_cmp_ne_u16_sdwa vcc, v10, s75 src0_sel:BYTE_0 src1_sel:DWORD
	v_bfrev_b32_e32 v3, 1
	s_and_saveexec_b64 s[24:25], vcc
	s_cbranch_execz .LBB6_1829
; %bb.1826:                             ;   in Loop: Header=BB6_1409 Depth=2
	v_bfe_u32 v5, v16, 16, 7
	v_cmp_ne_u32_e32 vcc, s76, v5
	v_mov_b32_e32 v3, 0x7f800001
	s_and_saveexec_b64 s[64:65], vcc
	s_cbranch_execz .LBB6_1828
; %bb.1827:                             ;   in Loop: Header=BB6_1409 Depth=2
	v_and_b32_e32 v3, 7, v10
	v_ffbh_u32_e32 v6, v3
	v_min_u32_e32 v9, 32, v6
	v_subrev_u32_e32 v6, 28, v9
	v_lshlrev_b64 v[6:7], v6, v[10:11]
	v_lshrrev_b32_e32 v8, 3, v5
	v_sub_u32_e32 v7, 29, v9
	v_and_b32_e32 v6, 7, v6
	v_cmp_gt_u32_e32 vcc, 8, v5
	v_cndmask_b32_e32 v5, v8, v7, vcc
	v_cndmask_b32_e32 v3, v3, v6, vcc
	v_lshlrev_b32_e32 v6, 24, v10
	v_lshlrev_b32_e32 v3, 20, v3
	v_and_b32_e32 v6, 0x80000000, v6
	v_lshl_add_u32 v5, v5, 23, v26
	v_or3_b32 v3, v6, v5, v3
.LBB6_1828:                             ;   in Loop: Header=BB6_1409 Depth=2
	s_or_b64 exec, exec, s[64:65]
.LBB6_1829:                             ;   in Loop: Header=BB6_1409 Depth=2
	s_or_b64 exec, exec, s[24:25]
.LBB6_1830:                             ;   in Loop: Header=BB6_1409 Depth=2
	s_or_b64 exec, exec, s[62:63]
	v_cmp_ne_u16_sdwa vcc, v2, v55 src0_sel:BYTE_0 src1_sel:DWORD
	s_and_saveexec_b64 s[24:25], vcc
	s_cbranch_execz .LBB6_1836
; %bb.1831:                             ;   in Loop: Header=BB6_1409 Depth=2
	v_cmp_ne_u16_sdwa vcc, v2, s75 src0_sel:BYTE_0 src1_sel:DWORD
	v_bfrev_b32_e32 v4, 1
	s_and_saveexec_b64 s[62:63], vcc
	s_cbranch_execz .LBB6_1835
; %bb.1832:                             ;   in Loop: Header=BB6_1409 Depth=2
	v_bfe_u32 v5, v12, 16, 7
	v_cmp_ne_u32_e32 vcc, s76, v5
	v_mov_b32_e32 v4, 0x7f800001
	s_and_saveexec_b64 s[64:65], vcc
	s_cbranch_execz .LBB6_1834
; %bb.1833:                             ;   in Loop: Header=BB6_1409 Depth=2
	v_and_b32_e32 v4, 7, v2
	v_ffbh_u32_e32 v6, v4
	v_min_u32_e32 v9, 32, v6
	v_subrev_u32_e32 v6, 28, v9
	v_lshlrev_b64 v[6:7], v6, v[2:3]
	v_lshrrev_b32_e32 v8, 3, v5
	v_sub_u32_e32 v7, 29, v9
	v_and_b32_e32 v6, 7, v6
	v_cmp_gt_u32_e32 vcc, 8, v5
	v_cndmask_b32_e32 v5, v8, v7, vcc
	v_cndmask_b32_e32 v4, v4, v6, vcc
	v_lshlrev_b32_e32 v2, 24, v2
	v_lshlrev_b32_e32 v4, 20, v4
	v_and_b32_e32 v2, 0x80000000, v2
	v_lshl_add_u32 v5, v5, 23, v26
	v_or3_b32 v4, v2, v5, v4
.LBB6_1834:                             ;   in Loop: Header=BB6_1409 Depth=2
	s_or_b64 exec, exec, s[64:65]
.LBB6_1835:                             ;   in Loop: Header=BB6_1409 Depth=2
	s_or_b64 exec, exec, s[62:63]
.LBB6_1836:                             ;   in Loop: Header=BB6_1409 Depth=2
	s_or_b64 exec, exec, s[24:25]
	v_max_f32_e32 v2, v4, v4
	v_max_f32_e32 v3, v3, v3
	v_min_f32_e32 v3, v3, v2
.LBB6_1837:                             ;   in Loop: Header=BB6_1409 Depth=2
	v_and_b32_sdwa v4, v3, s75 dst_sel:DWORD dst_unused:UNUSED_PAD src0_sel:BYTE_3 src1_sel:DWORD
	v_and_b32_e32 v6, 0x7f800000, v3
	v_mov_b32_e32 v7, v55
	v_and_b32_e32 v54, 0x7fffff, v3
	v_or_b32_e32 v49, 0x7e, v4
	v_cmp_ne_u64_e32 vcc, s[44:45], v[6:7]
	s_and_saveexec_b64 s[24:25], vcc
	s_xor_b64 s[62:63], exec, s[24:25]
	s_cbranch_execz .LBB6_1847
; %bb.1838:                             ;   in Loop: Header=BB6_1409 Depth=2
	v_and_b32_e32 v6, 0x7fffffff, v3
	v_mov_b32_e32 v7, v55
	v_cmp_gt_u64_e32 vcc, s[46:47], v[6:7]
	s_and_saveexec_b64 s[64:65], vcc
	s_cbranch_execz .LBB6_1846
; %bb.1839:                             ;   in Loop: Header=BB6_1409 Depth=2
	v_cmp_ne_u32_e32 vcc, 0, v3
	v_mov_b32_e32 v49, 0
	s_and_saveexec_b64 s[66:67], vcc
	s_cbranch_execz .LBB6_1845
; %bb.1840:                             ;   in Loop: Header=BB6_1409 Depth=2
	v_bfe_u32 v2, v3, 23, 8
	v_sub_u32_e32 v5, 0x79, v2
	v_cmp_gt_u32_e32 vcc, s78, v2
	v_cndmask_b32_e32 v5, 0, v5, vcc
	v_cmp_eq_u32_e32 vcc, 0, v2
	v_or_b32_e32 v6, 0x800000, v54
	v_cndmask_b32_e32 v5, v5, v32, vcc
	v_add_u32_e32 v3, 0xffffff81, v2
	v_cndmask_b32_e32 v54, v6, v54, vcc
	v_add_u32_e32 v2, 20, v5
	v_cndmask_b32_e32 v10, v3, v33, vcc
	v_lshlrev_b64 v[2:3], v2, -1
	v_lshrrev_b64 v[8:9], v5, v[54:55]
	v_not_b32_e32 v3, v3
	v_not_b32_e32 v2, v2
	v_add_u32_e32 v6, 19, v5
	v_lshrrev_b32_e32 v11, 23, v8
	v_and_b32_e32 v3, 0, v3
	v_and_b32_e32 v2, v54, v2
	v_lshlrev_b64 v[6:7], v6, 1
	v_add3_u32 v11, v5, v10, v11
	v_bfe_u32 v5, v8, 20, 1
	v_add_u32_e32 v5, -1, v5
	v_cmp_eq_u64_e32 vcc, v[2:3], v[6:7]
	v_cndmask_b32_e32 v2, 0, v5, vcc
	v_add_u32_e32 v2, v2, v8
	v_and_b32_e32 v2, 0xfffff, v2
	v_add_co_u32_e32 v2, vcc, v2, v8
	v_add_u32_e32 v10, 6, v11
	v_addc_co_u32_e32 v3, vcc, 0, v9, vcc
	v_cmp_ne_u32_e32 vcc, 0, v10
                                        ; implicit-def: $vgpr5
	s_and_saveexec_b64 s[24:25], vcc
	s_xor_b64 s[24:25], exec, s[24:25]
; %bb.1841:                             ;   in Loop: Header=BB6_1409 Depth=2
	v_cmp_lt_u64_e32 vcc, s[50:51], v[2:3]
	v_add_u32_e32 v5, 7, v11
	v_cndmask_b32_e64 v6, 0, 1, vcc
	v_cndmask_b32_e32 v5, v10, v5, vcc
	v_lshrrev_b64 v[2:3], v6, v[2:3]
; %bb.1842:                             ;   in Loop: Header=BB6_1409 Depth=2
	s_andn2_saveexec_b64 s[24:25], s[24:25]
; %bb.1843:                             ;   in Loop: Header=BB6_1409 Depth=2
	v_bfe_u32 v5, v2, 23, 1
; %bb.1844:                             ;   in Loop: Header=BB6_1409 Depth=2
	s_or_b64 exec, exec, s[24:25]
	v_lshrrev_b64 v[2:3], 20, v[2:3]
	v_cmp_gt_i32_e32 vcc, 16, v5
	v_cndmask_b32_e32 v3, 0, v3, vcc
	v_cndmask_b32_e32 v2, 7, v2, vcc
	v_cmp_eq_u64_e64 s[24:25], 0, v[2:3]
	v_min_i32_e32 v3, 15, v5
	v_cmp_eq_u32_e32 vcc, 0, v5
	v_lshlrev_b32_e32 v3, 3, v3
	v_and_or_b32 v2, v2, 7, v3
	s_and_b64 s[24:25], vcc, s[24:25]
	v_cndmask_b32_e64 v2, v2, 0, s[24:25]
	v_or_b32_e32 v49, v2, v4
.LBB6_1845:                             ;   in Loop: Header=BB6_1409 Depth=2
	s_or_b64 exec, exec, s[66:67]
.LBB6_1846:                             ;   in Loop: Header=BB6_1409 Depth=2
	s_or_b64 exec, exec, s[64:65]
                                        ; implicit-def: $vgpr3
.LBB6_1847:                             ;   in Loop: Header=BB6_1409 Depth=2
	s_andn2_saveexec_b64 s[24:25], s[62:63]
; %bb.1848:                             ;   in Loop: Header=BB6_1409 Depth=2
	v_or_b32_sdwa v2, v3, s76 dst_sel:DWORD dst_unused:UNUSED_PAD src0_sel:BYTE_3 src1_sel:DWORD
	v_cmp_eq_u64_e32 vcc, 0, v[54:55]
	v_cndmask_b32_e32 v49, v2, v49, vcc
; %bb.1849:                             ;   in Loop: Header=BB6_1409 Depth=2
	s_or_b64 exec, exec, s[24:25]
	v_lshrrev_b32_e32 v10, 24, v16
	v_lshrrev_b32_e32 v2, 24, v12
	v_cmp_lt_u32_e64 s[24:25], s49, v16
	s_and_b64 vcc, exec, s[60:61]
	s_cbranch_vccz .LBB6_1863
; %bb.1850:                             ;   in Loop: Header=BB6_1409 Depth=2
	v_mov_b32_e32 v4, 0
	v_mov_b32_e32 v3, 0
	s_and_saveexec_b64 s[62:63], s[24:25]
	s_cbranch_execz .LBB6_1856
; %bb.1851:                             ;   in Loop: Header=BB6_1409 Depth=2
	v_cmp_ne_u32_e32 vcc, s75, v10
	v_bfrev_b32_e32 v3, 1
	s_and_saveexec_b64 s[64:65], vcc
	s_cbranch_execz .LBB6_1855
; %bb.1852:                             ;   in Loop: Header=BB6_1409 Depth=2
	v_bfe_u32 v5, v16, 24, 7
	v_cmp_ne_u32_e32 vcc, s76, v5
	v_mov_b32_e32 v3, 0x7f800001
	s_and_saveexec_b64 s[66:67], vcc
	s_cbranch_execz .LBB6_1854
; %bb.1853:                             ;   in Loop: Header=BB6_1409 Depth=2
	v_and_b32_e32 v3, 7, v10
	v_ffbh_u32_e32 v6, v3
	v_min_u32_e32 v9, 32, v6
	v_subrev_u32_e32 v6, 28, v9
	v_lshlrev_b64 v[6:7], v6, v[10:11]
	v_lshrrev_b32_e32 v8, 3, v5
	v_sub_u32_e32 v7, 29, v9
	v_and_b32_e32 v6, 7, v6
	v_cmp_gt_u32_e32 vcc, 8, v5
	v_cndmask_b32_e32 v5, v8, v7, vcc
	v_cndmask_b32_e32 v3, v3, v6, vcc
	v_lshlrev_b32_e32 v6, 24, v10
	v_lshlrev_b32_e32 v3, 20, v3
	v_and_b32_e32 v6, 0x80000000, v6
	v_lshl_add_u32 v5, v5, 23, v26
	v_or3_b32 v3, v6, v5, v3
.LBB6_1854:                             ;   in Loop: Header=BB6_1409 Depth=2
	s_or_b64 exec, exec, s[66:67]
.LBB6_1855:                             ;   in Loop: Header=BB6_1409 Depth=2
	s_or_b64 exec, exec, s[64:65]
.LBB6_1856:                             ;   in Loop: Header=BB6_1409 Depth=2
	s_or_b64 exec, exec, s[62:63]
	v_cmp_lt_u32_e32 vcc, s49, v12
	s_and_saveexec_b64 s[62:63], vcc
	s_cbranch_execz .LBB6_1862
; %bb.1857:                             ;   in Loop: Header=BB6_1409 Depth=2
	v_cmp_ne_u32_e32 vcc, s75, v2
	v_bfrev_b32_e32 v4, 1
	s_and_saveexec_b64 s[64:65], vcc
	s_cbranch_execz .LBB6_1861
; %bb.1858:                             ;   in Loop: Header=BB6_1409 Depth=2
	v_bfe_u32 v5, v12, 24, 7
	v_cmp_ne_u32_e32 vcc, s76, v5
	v_mov_b32_e32 v4, 0x7f800001
	s_and_saveexec_b64 s[66:67], vcc
	s_cbranch_execz .LBB6_1860
; %bb.1859:                             ;   in Loop: Header=BB6_1409 Depth=2
	v_and_b32_e32 v4, 7, v2
	v_ffbh_u32_e32 v6, v4
	v_min_u32_e32 v9, 32, v6
	v_subrev_u32_e32 v6, 28, v9
	v_lshlrev_b64 v[6:7], v6, v[2:3]
	v_lshrrev_b32_e32 v8, 3, v5
	v_sub_u32_e32 v7, 29, v9
	v_and_b32_e32 v6, 7, v6
	v_cmp_gt_u32_e32 vcc, 8, v5
	v_cndmask_b32_e32 v5, v8, v7, vcc
	v_cndmask_b32_e32 v4, v4, v6, vcc
	v_lshlrev_b32_e32 v6, 24, v2
	v_lshlrev_b32_e32 v4, 20, v4
	v_and_b32_e32 v6, 0x80000000, v6
	v_lshl_add_u32 v5, v5, 23, v26
	v_or3_b32 v4, v6, v5, v4
.LBB6_1860:                             ;   in Loop: Header=BB6_1409 Depth=2
	s_or_b64 exec, exec, s[66:67]
.LBB6_1861:                             ;   in Loop: Header=BB6_1409 Depth=2
	s_or_b64 exec, exec, s[64:65]
.LBB6_1862:                             ;   in Loop: Header=BB6_1409 Depth=2
	s_or_b64 exec, exec, s[62:63]
	v_max_f32_e32 v4, v4, v4
	v_max_f32_e32 v3, v3, v3
	;; [unrolled: 1-line block ×3, first 2 shown]
	s_branch .LBB6_1877
.LBB6_1863:                             ;   in Loop: Header=BB6_1409 Depth=2
                                        ; implicit-def: $vgpr3
	s_cbranch_execz .LBB6_1877
; %bb.1864:                             ;   in Loop: Header=BB6_1409 Depth=2
	v_mov_b32_e32 v4, 0
	v_mov_b32_e32 v3, 0
	s_and_saveexec_b64 s[62:63], s[24:25]
	s_cbranch_execz .LBB6_1870
; %bb.1865:                             ;   in Loop: Header=BB6_1409 Depth=2
	v_cmp_ne_u32_e32 vcc, s75, v10
	v_bfrev_b32_e32 v3, 1
	s_and_saveexec_b64 s[24:25], vcc
	s_cbranch_execz .LBB6_1869
; %bb.1866:                             ;   in Loop: Header=BB6_1409 Depth=2
	v_bfe_u32 v5, v16, 24, 7
	v_cmp_ne_u32_e32 vcc, s76, v5
	v_mov_b32_e32 v3, 0x7f800001
	s_and_saveexec_b64 s[64:65], vcc
	s_cbranch_execz .LBB6_1868
; %bb.1867:                             ;   in Loop: Header=BB6_1409 Depth=2
	v_and_b32_e32 v3, 7, v10
	v_ffbh_u32_e32 v6, v3
	v_min_u32_e32 v9, 32, v6
	v_subrev_u32_e32 v6, 28, v9
	v_lshlrev_b64 v[6:7], v6, v[10:11]
	v_lshrrev_b32_e32 v8, 3, v5
	v_sub_u32_e32 v7, 29, v9
	v_and_b32_e32 v6, 7, v6
	v_cmp_gt_u32_e32 vcc, 8, v5
	v_cndmask_b32_e32 v5, v8, v7, vcc
	v_cndmask_b32_e32 v3, v3, v6, vcc
	v_lshlrev_b32_e32 v6, 24, v10
	v_lshlrev_b32_e32 v3, 20, v3
	v_and_b32_e32 v6, 0x80000000, v6
	v_lshl_add_u32 v5, v5, 23, v26
	v_or3_b32 v3, v6, v5, v3
.LBB6_1868:                             ;   in Loop: Header=BB6_1409 Depth=2
	s_or_b64 exec, exec, s[64:65]
.LBB6_1869:                             ;   in Loop: Header=BB6_1409 Depth=2
	s_or_b64 exec, exec, s[24:25]
.LBB6_1870:                             ;   in Loop: Header=BB6_1409 Depth=2
	s_or_b64 exec, exec, s[62:63]
	v_cmp_lt_u32_e32 vcc, s49, v12
	s_and_saveexec_b64 s[24:25], vcc
	s_cbranch_execz .LBB6_1876
; %bb.1871:                             ;   in Loop: Header=BB6_1409 Depth=2
	v_cmp_ne_u32_e32 vcc, s75, v2
	v_bfrev_b32_e32 v4, 1
	s_and_saveexec_b64 s[62:63], vcc
	s_cbranch_execz .LBB6_1875
; %bb.1872:                             ;   in Loop: Header=BB6_1409 Depth=2
	v_bfe_u32 v5, v12, 24, 7
	v_cmp_ne_u32_e32 vcc, s76, v5
	v_mov_b32_e32 v4, 0x7f800001
	s_and_saveexec_b64 s[64:65], vcc
	s_cbranch_execz .LBB6_1874
; %bb.1873:                             ;   in Loop: Header=BB6_1409 Depth=2
	v_and_b32_e32 v4, 7, v2
	v_ffbh_u32_e32 v6, v4
	v_min_u32_e32 v9, 32, v6
	v_subrev_u32_e32 v6, 28, v9
	v_lshlrev_b64 v[6:7], v6, v[2:3]
	v_lshrrev_b32_e32 v8, 3, v5
	v_sub_u32_e32 v7, 29, v9
	v_and_b32_e32 v6, 7, v6
	v_cmp_gt_u32_e32 vcc, 8, v5
	v_cndmask_b32_e32 v5, v8, v7, vcc
	v_cndmask_b32_e32 v4, v4, v6, vcc
	v_lshlrev_b32_e32 v2, 24, v2
	v_lshlrev_b32_e32 v4, 20, v4
	v_and_b32_e32 v2, 0x80000000, v2
	v_lshl_add_u32 v5, v5, 23, v26
	v_or3_b32 v4, v2, v5, v4
.LBB6_1874:                             ;   in Loop: Header=BB6_1409 Depth=2
	s_or_b64 exec, exec, s[64:65]
.LBB6_1875:                             ;   in Loop: Header=BB6_1409 Depth=2
	s_or_b64 exec, exec, s[62:63]
.LBB6_1876:                             ;   in Loop: Header=BB6_1409 Depth=2
	s_or_b64 exec, exec, s[24:25]
	v_max_f32_e32 v2, v4, v4
	v_max_f32_e32 v3, v3, v3
	v_min_f32_e32 v3, v3, v2
.LBB6_1877:                             ;   in Loop: Header=BB6_1409 Depth=2
	v_and_b32_sdwa v5, v3, s75 dst_sel:DWORD dst_unused:UNUSED_PAD src0_sel:BYTE_3 src1_sel:DWORD
	v_and_b32_e32 v6, 0x7f800000, v3
	v_mov_b32_e32 v7, v55
	v_and_b32_e32 v54, 0x7fffff, v3
	v_or_b32_e32 v4, 0x7e, v5
	v_cmp_ne_u64_e32 vcc, s[44:45], v[6:7]
	s_and_saveexec_b64 s[24:25], vcc
	s_xor_b64 s[62:63], exec, s[24:25]
	s_cbranch_execz .LBB6_1887
; %bb.1878:                             ;   in Loop: Header=BB6_1409 Depth=2
	v_and_b32_e32 v6, 0x7fffffff, v3
	v_mov_b32_e32 v7, v55
	v_cmp_gt_u64_e32 vcc, s[46:47], v[6:7]
	s_and_saveexec_b64 s[64:65], vcc
	s_cbranch_execz .LBB6_1886
; %bb.1879:                             ;   in Loop: Header=BB6_1409 Depth=2
	v_cmp_ne_u32_e32 vcc, 0, v3
	v_mov_b32_e32 v4, 0
	s_and_saveexec_b64 s[66:67], vcc
	s_cbranch_execz .LBB6_1885
; %bb.1880:                             ;   in Loop: Header=BB6_1409 Depth=2
	v_bfe_u32 v2, v3, 23, 8
	v_sub_u32_e32 v4, 0x79, v2
	v_cmp_gt_u32_e32 vcc, s78, v2
	v_cndmask_b32_e32 v4, 0, v4, vcc
	v_cmp_eq_u32_e32 vcc, 0, v2
	v_or_b32_e32 v6, 0x800000, v54
	v_cndmask_b32_e32 v4, v4, v32, vcc
	v_add_u32_e32 v3, 0xffffff81, v2
	v_cndmask_b32_e32 v54, v6, v54, vcc
	v_add_u32_e32 v2, 20, v4
	v_cndmask_b32_e32 v10, v3, v33, vcc
	v_lshlrev_b64 v[2:3], v2, -1
	v_lshrrev_b64 v[8:9], v4, v[54:55]
	v_not_b32_e32 v3, v3
	v_not_b32_e32 v2, v2
	v_add_u32_e32 v6, 19, v4
	v_lshrrev_b32_e32 v11, 23, v8
	v_and_b32_e32 v3, 0, v3
	v_and_b32_e32 v2, v54, v2
	v_lshlrev_b64 v[6:7], v6, 1
	v_add3_u32 v11, v4, v10, v11
	v_bfe_u32 v4, v8, 20, 1
	v_add_u32_e32 v4, -1, v4
	v_cmp_eq_u64_e32 vcc, v[2:3], v[6:7]
	v_cndmask_b32_e32 v2, 0, v4, vcc
	v_add_u32_e32 v2, v2, v8
	v_and_b32_e32 v2, 0xfffff, v2
	v_add_co_u32_e32 v2, vcc, v2, v8
	v_add_u32_e32 v10, 6, v11
	v_addc_co_u32_e32 v3, vcc, 0, v9, vcc
	v_cmp_ne_u32_e32 vcc, 0, v10
                                        ; implicit-def: $vgpr4
	s_and_saveexec_b64 s[24:25], vcc
	s_xor_b64 s[24:25], exec, s[24:25]
; %bb.1881:                             ;   in Loop: Header=BB6_1409 Depth=2
	v_cmp_lt_u64_e32 vcc, s[50:51], v[2:3]
	v_add_u32_e32 v4, 7, v11
	v_cndmask_b32_e64 v6, 0, 1, vcc
	v_cndmask_b32_e32 v4, v10, v4, vcc
	v_lshrrev_b64 v[2:3], v6, v[2:3]
; %bb.1882:                             ;   in Loop: Header=BB6_1409 Depth=2
	s_andn2_saveexec_b64 s[24:25], s[24:25]
; %bb.1883:                             ;   in Loop: Header=BB6_1409 Depth=2
	v_bfe_u32 v4, v2, 23, 1
; %bb.1884:                             ;   in Loop: Header=BB6_1409 Depth=2
	s_or_b64 exec, exec, s[24:25]
	v_lshrrev_b64 v[2:3], 20, v[2:3]
	v_cmp_gt_i32_e32 vcc, 16, v4
	v_cndmask_b32_e32 v3, 0, v3, vcc
	v_cndmask_b32_e32 v2, 7, v2, vcc
	v_cmp_eq_u64_e64 s[24:25], 0, v[2:3]
	v_min_i32_e32 v3, 15, v4
	v_cmp_eq_u32_e32 vcc, 0, v4
	v_lshlrev_b32_e32 v3, 3, v3
	v_and_or_b32 v2, v2, 7, v3
	s_and_b64 s[24:25], vcc, s[24:25]
	v_cndmask_b32_e64 v2, v2, 0, s[24:25]
	v_or_b32_e32 v4, v2, v5
.LBB6_1885:                             ;   in Loop: Header=BB6_1409 Depth=2
	s_or_b64 exec, exec, s[66:67]
.LBB6_1886:                             ;   in Loop: Header=BB6_1409 Depth=2
	s_or_b64 exec, exec, s[64:65]
                                        ; implicit-def: $vgpr3
.LBB6_1887:                             ;   in Loop: Header=BB6_1409 Depth=2
	s_andn2_saveexec_b64 s[24:25], s[62:63]
; %bb.1888:                             ;   in Loop: Header=BB6_1409 Depth=2
	v_or_b32_sdwa v2, v3, s76 dst_sel:DWORD dst_unused:UNUSED_PAD src0_sel:BYTE_3 src1_sel:DWORD
	v_cmp_eq_u64_e32 vcc, 0, v[54:55]
	v_cndmask_b32_e32 v4, v2, v4, vcc
; %bb.1889:                             ;   in Loop: Header=BB6_1409 Depth=2
	s_or_b64 exec, exec, s[24:25]
	v_mov_b32_e32 v54, v17
	v_mov_b32_e32 v10, v13
	;; [unrolled: 1-line block ×3, first 2 shown]
	v_cmp_ne_u16_sdwa s[24:25], v17, v55 src0_sel:BYTE_0 src1_sel:DWORD
	s_and_b64 vcc, exec, s[60:61]
	s_cbranch_vccz .LBB6_1903
; %bb.1890:                             ;   in Loop: Header=BB6_1409 Depth=2
	v_mov_b32_e32 v3, 0
	v_mov_b32_e32 v2, 0
	s_and_saveexec_b64 s[62:63], s[24:25]
	s_cbranch_execz .LBB6_1896
; %bb.1891:                             ;   in Loop: Header=BB6_1409 Depth=2
	v_cmp_ne_u16_sdwa vcc, v17, s75 src0_sel:BYTE_0 src1_sel:DWORD
	v_bfrev_b32_e32 v2, 1
	s_and_saveexec_b64 s[64:65], vcc
	s_cbranch_execz .LBB6_1895
; %bb.1892:                             ;   in Loop: Header=BB6_1409 Depth=2
	v_and_b32_e32 v5, 0x7f, v17
	v_cmp_ne_u32_e32 vcc, s76, v5
	v_mov_b32_e32 v2, 0x7f800001
	s_and_saveexec_b64 s[66:67], vcc
	s_cbranch_execz .LBB6_1894
; %bb.1893:                             ;   in Loop: Header=BB6_1409 Depth=2
	v_and_b32_e32 v2, 7, v17
	v_ffbh_u32_e32 v2, v2
	v_min_u32_e32 v2, 32, v2
	v_subrev_u32_e32 v7, 28, v2
	v_cmp_gt_u32_e32 vcc, 8, v5
	v_lshrrev_b32_e32 v6, 3, v5
	v_sub_u32_e32 v2, 29, v2
	v_cndmask_b32_e32 v5, 0, v7, vcc
	v_cndmask_b32_e32 v2, v6, v2, vcc
	v_lshlrev_b64 v[6:7], v5, v[54:55]
	v_lshlrev_b32_e32 v5, 20, v6
	v_lshlrev_b32_e32 v6, 24, v54
	v_and_b32_e32 v5, 0x700000, v5
	v_and_b32_e32 v6, 0x80000000, v6
	v_lshl_add_u32 v2, v2, 23, v26
	v_or3_b32 v2, v6, v2, v5
.LBB6_1894:                             ;   in Loop: Header=BB6_1409 Depth=2
	s_or_b64 exec, exec, s[66:67]
.LBB6_1895:                             ;   in Loop: Header=BB6_1409 Depth=2
	s_or_b64 exec, exec, s[64:65]
.LBB6_1896:                             ;   in Loop: Header=BB6_1409 Depth=2
	s_or_b64 exec, exec, s[62:63]
	v_cmp_ne_u16_sdwa vcc, v13, v55 src0_sel:BYTE_0 src1_sel:DWORD
	s_and_saveexec_b64 s[62:63], vcc
	s_cbranch_execz .LBB6_1902
; %bb.1897:                             ;   in Loop: Header=BB6_1409 Depth=2
	v_cmp_ne_u16_sdwa vcc, v13, s75 src0_sel:BYTE_0 src1_sel:DWORD
	v_bfrev_b32_e32 v3, 1
	s_and_saveexec_b64 s[64:65], vcc
	s_cbranch_execz .LBB6_1901
; %bb.1898:                             ;   in Loop: Header=BB6_1409 Depth=2
	v_and_b32_e32 v5, 0x7f, v13
	v_cmp_ne_u32_e32 vcc, s76, v5
	v_mov_b32_e32 v3, 0x7f800001
	s_and_saveexec_b64 s[66:67], vcc
	s_cbranch_execz .LBB6_1900
; %bb.1899:                             ;   in Loop: Header=BB6_1409 Depth=2
	v_and_b32_e32 v3, 7, v13
	v_ffbh_u32_e32 v3, v3
	v_min_u32_e32 v3, 32, v3
	v_subrev_u32_e32 v7, 28, v3
	v_cmp_gt_u32_e32 vcc, 8, v5
	v_lshrrev_b32_e32 v6, 3, v5
	v_sub_u32_e32 v3, 29, v3
	v_cndmask_b32_e32 v5, 0, v7, vcc
	v_cndmask_b32_e32 v3, v6, v3, vcc
	v_lshlrev_b64 v[6:7], v5, v[10:11]
	v_lshlrev_b32_e32 v5, 20, v6
	v_lshlrev_b32_e32 v6, 24, v10
	v_and_b32_e32 v5, 0x700000, v5
	v_and_b32_e32 v6, 0x80000000, v6
	v_lshl_add_u32 v3, v3, 23, v26
	v_or3_b32 v3, v6, v3, v5
.LBB6_1900:                             ;   in Loop: Header=BB6_1409 Depth=2
	s_or_b64 exec, exec, s[66:67]
.LBB6_1901:                             ;   in Loop: Header=BB6_1409 Depth=2
	s_or_b64 exec, exec, s[64:65]
.LBB6_1902:                             ;   in Loop: Header=BB6_1409 Depth=2
	s_or_b64 exec, exec, s[62:63]
	v_max_f32_e32 v3, v3, v3
	v_max_f32_e32 v2, v2, v2
	v_max_f32_e32 v14, v2, v3
	s_branch .LBB6_1917
.LBB6_1903:                             ;   in Loop: Header=BB6_1409 Depth=2
                                        ; implicit-def: $vgpr14
	s_cbranch_execz .LBB6_1917
; %bb.1904:                             ;   in Loop: Header=BB6_1409 Depth=2
	v_mov_b32_e32 v3, 0
	v_mov_b32_e32 v2, 0
	s_and_saveexec_b64 s[62:63], s[24:25]
	s_cbranch_execz .LBB6_1910
; %bb.1905:                             ;   in Loop: Header=BB6_1409 Depth=2
	v_cmp_ne_u16_sdwa vcc, v17, s75 src0_sel:BYTE_0 src1_sel:DWORD
	v_bfrev_b32_e32 v2, 1
	s_and_saveexec_b64 s[24:25], vcc
	s_cbranch_execz .LBB6_1909
; %bb.1906:                             ;   in Loop: Header=BB6_1409 Depth=2
	v_and_b32_e32 v5, 0x7f, v17
	v_cmp_ne_u32_e32 vcc, s76, v5
	v_mov_b32_e32 v2, 0x7f800001
	s_and_saveexec_b64 s[64:65], vcc
	s_cbranch_execz .LBB6_1908
; %bb.1907:                             ;   in Loop: Header=BB6_1409 Depth=2
	v_and_b32_e32 v2, 7, v17
	v_ffbh_u32_e32 v2, v2
	v_min_u32_e32 v2, 32, v2
	v_subrev_u32_e32 v7, 28, v2
	v_cmp_gt_u32_e32 vcc, 8, v5
	v_lshrrev_b32_e32 v6, 3, v5
	v_sub_u32_e32 v2, 29, v2
	v_cndmask_b32_e32 v5, 0, v7, vcc
	v_cndmask_b32_e32 v2, v6, v2, vcc
	v_lshlrev_b64 v[6:7], v5, v[54:55]
	v_lshlrev_b32_e32 v5, 20, v6
	v_lshlrev_b32_e32 v6, 24, v54
	v_and_b32_e32 v5, 0x700000, v5
	v_and_b32_e32 v6, 0x80000000, v6
	v_lshl_add_u32 v2, v2, 23, v26
	v_or3_b32 v2, v6, v2, v5
.LBB6_1908:                             ;   in Loop: Header=BB6_1409 Depth=2
	s_or_b64 exec, exec, s[64:65]
.LBB6_1909:                             ;   in Loop: Header=BB6_1409 Depth=2
	s_or_b64 exec, exec, s[24:25]
.LBB6_1910:                             ;   in Loop: Header=BB6_1409 Depth=2
	s_or_b64 exec, exec, s[62:63]
	v_cmp_ne_u16_sdwa vcc, v13, v55 src0_sel:BYTE_0 src1_sel:DWORD
	s_and_saveexec_b64 s[24:25], vcc
	s_cbranch_execz .LBB6_1916
; %bb.1911:                             ;   in Loop: Header=BB6_1409 Depth=2
	v_cmp_ne_u16_sdwa vcc, v13, s75 src0_sel:BYTE_0 src1_sel:DWORD
	v_bfrev_b32_e32 v3, 1
	s_and_saveexec_b64 s[62:63], vcc
	s_cbranch_execz .LBB6_1915
; %bb.1912:                             ;   in Loop: Header=BB6_1409 Depth=2
	v_and_b32_e32 v5, 0x7f, v13
	v_cmp_ne_u32_e32 vcc, s76, v5
	v_mov_b32_e32 v3, 0x7f800001
	s_and_saveexec_b64 s[64:65], vcc
	s_cbranch_execz .LBB6_1914
; %bb.1913:                             ;   in Loop: Header=BB6_1409 Depth=2
	v_and_b32_e32 v3, 7, v13
	v_ffbh_u32_e32 v3, v3
	v_min_u32_e32 v3, 32, v3
	v_subrev_u32_e32 v7, 28, v3
	v_cmp_gt_u32_e32 vcc, 8, v5
	v_lshrrev_b32_e32 v6, 3, v5
	v_sub_u32_e32 v3, 29, v3
	v_cndmask_b32_e32 v5, 0, v7, vcc
	v_cndmask_b32_e32 v3, v6, v3, vcc
	v_lshlrev_b64 v[6:7], v5, v[10:11]
	v_lshlrev_b32_e32 v5, 20, v6
	v_lshlrev_b32_e32 v6, 24, v10
	v_and_b32_e32 v5, 0x700000, v5
	v_and_b32_e32 v6, 0x80000000, v6
	v_lshl_add_u32 v3, v3, 23, v26
	v_or3_b32 v3, v6, v3, v5
.LBB6_1914:                             ;   in Loop: Header=BB6_1409 Depth=2
	s_or_b64 exec, exec, s[64:65]
.LBB6_1915:                             ;   in Loop: Header=BB6_1409 Depth=2
	s_or_b64 exec, exec, s[62:63]
.LBB6_1916:                             ;   in Loop: Header=BB6_1409 Depth=2
	s_or_b64 exec, exec, s[24:25]
	v_max_f32_e32 v3, v3, v3
	v_max_f32_e32 v2, v2, v2
	v_min_f32_e32 v14, v2, v3
.LBB6_1917:                             ;   in Loop: Header=BB6_1409 Depth=2
	v_and_b32_sdwa v11, v14, s75 dst_sel:DWORD dst_unused:UNUSED_PAD src0_sel:BYTE_3 src1_sel:DWORD
	v_and_b32_e32 v6, 0x7f800000, v14
	v_mov_b32_e32 v7, v55
	v_and_b32_e32 v2, 0x7fffff, v14
	v_mov_b32_e32 v3, v55
	v_or_b32_e32 v5, 0x7e, v11
	v_cmp_ne_u64_e32 vcc, s[44:45], v[6:7]
	s_and_saveexec_b64 s[24:25], vcc
	s_xor_b64 s[62:63], exec, s[24:25]
	s_cbranch_execz .LBB6_1927
; %bb.1918:                             ;   in Loop: Header=BB6_1409 Depth=2
	v_and_b32_e32 v6, 0x7fffffff, v14
	v_mov_b32_e32 v7, v55
	v_cmp_gt_u64_e32 vcc, s[46:47], v[6:7]
	s_and_saveexec_b64 s[64:65], vcc
	s_cbranch_execz .LBB6_1926
; %bb.1919:                             ;   in Loop: Header=BB6_1409 Depth=2
	v_cmp_ne_u32_e32 vcc, 0, v14
	v_mov_b32_e32 v5, 0
	s_and_saveexec_b64 s[66:67], vcc
	s_cbranch_execz .LBB6_1925
; %bb.1920:                             ;   in Loop: Header=BB6_1409 Depth=2
	v_bfe_u32 v5, v14, 23, 8
	v_sub_u32_e32 v7, 0x79, v5
	v_cmp_gt_u32_e32 vcc, s78, v5
	v_cndmask_b32_e32 v7, 0, v7, vcc
	v_cmp_eq_u32_e32 vcc, 0, v5
	v_add_u32_e32 v6, 0xffffff81, v5
	v_cndmask_b32_e32 v14, v7, v32, vcc
	v_cndmask_b32_e32 v5, v6, v33, vcc
	v_add_u32_e32 v6, 20, v14
	v_or_b32_e32 v8, 0x800000, v2
	v_lshlrev_b64 v[6:7], v6, -1
	v_cndmask_b32_e32 v2, v8, v2, vcc
	v_not_b32_e32 v6, v6
	v_and_b32_e32 v6, v2, v6
	v_lshrrev_b64 v[2:3], v14, v[2:3]
	v_not_b32_e32 v7, v7
	v_add_u32_e32 v8, 19, v14
	v_lshrrev_b32_e32 v32, 23, v2
	v_and_b32_e32 v7, 0, v7
	v_lshlrev_b64 v[8:9], v8, 1
	v_add3_u32 v38, v14, v5, v32
	v_bfe_u32 v5, v2, 20, 1
	v_add_u32_e32 v5, -1, v5
	v_cmp_eq_u64_e32 vcc, v[6:7], v[8:9]
	v_cndmask_b32_e32 v5, 0, v5, vcc
	v_add_u32_e32 v5, v5, v2
	v_and_b32_e32 v5, 0xfffff, v5
	v_add_co_u32_e32 v2, vcc, v5, v2
	v_add_u32_e32 v14, 6, v38
	v_addc_co_u32_e32 v3, vcc, 0, v3, vcc
	v_cmp_ne_u32_e32 vcc, 0, v14
                                        ; implicit-def: $vgpr5
	s_and_saveexec_b64 s[24:25], vcc
	s_xor_b64 s[24:25], exec, s[24:25]
; %bb.1921:                             ;   in Loop: Header=BB6_1409 Depth=2
	v_cmp_lt_u64_e32 vcc, s[50:51], v[2:3]
	v_add_u32_e32 v5, 7, v38
	v_cndmask_b32_e64 v6, 0, 1, vcc
	v_cndmask_b32_e32 v5, v14, v5, vcc
	v_lshrrev_b64 v[2:3], v6, v[2:3]
; %bb.1922:                             ;   in Loop: Header=BB6_1409 Depth=2
	s_andn2_saveexec_b64 s[24:25], s[24:25]
; %bb.1923:                             ;   in Loop: Header=BB6_1409 Depth=2
	v_bfe_u32 v5, v2, 23, 1
; %bb.1924:                             ;   in Loop: Header=BB6_1409 Depth=2
	s_or_b64 exec, exec, s[24:25]
	v_lshrrev_b64 v[2:3], 20, v[2:3]
	v_cmp_gt_i32_e32 vcc, 16, v5
	v_cndmask_b32_e32 v3, 0, v3, vcc
	v_cndmask_b32_e32 v2, 7, v2, vcc
	v_cmp_eq_u64_e64 s[24:25], 0, v[2:3]
	v_min_i32_e32 v3, 15, v5
	v_cmp_eq_u32_e32 vcc, 0, v5
	v_lshlrev_b32_e32 v3, 3, v3
	v_and_or_b32 v2, v2, 7, v3
	s_and_b64 s[24:25], vcc, s[24:25]
	v_cndmask_b32_e64 v2, v2, 0, s[24:25]
	v_or_b32_e32 v5, v2, v11
	v_mov_b32_e32 v32, 0x78
.LBB6_1925:                             ;   in Loop: Header=BB6_1409 Depth=2
	s_or_b64 exec, exec, s[66:67]
.LBB6_1926:                             ;   in Loop: Header=BB6_1409 Depth=2
	s_or_b64 exec, exec, s[64:65]
                                        ; implicit-def: $vgpr14
                                        ; implicit-def: $vgpr2_vgpr3
.LBB6_1927:                             ;   in Loop: Header=BB6_1409 Depth=2
	s_andn2_saveexec_b64 s[24:25], s[62:63]
; %bb.1928:                             ;   in Loop: Header=BB6_1409 Depth=2
	v_or_b32_sdwa v6, v14, s76 dst_sel:DWORD dst_unused:UNUSED_PAD src0_sel:BYTE_3 src1_sel:DWORD
	v_cmp_eq_u64_e32 vcc, 0, v[2:3]
	v_cndmask_b32_e32 v5, v6, v5, vcc
; %bb.1929:                             ;   in Loop: Header=BB6_1409 Depth=2
	s_or_b64 exec, exec, s[24:25]
	v_lshrrev_b16_e32 v14, 8, v54
	v_lshrrev_b16_e32 v2, 8, v10
	v_cmp_ne_u16_e64 s[24:25], 0, v14
	s_and_b64 vcc, exec, s[60:61]
	s_cbranch_vccz .LBB6_1943
; %bb.1930:                             ;   in Loop: Header=BB6_1409 Depth=2
	v_mov_b32_e32 v11, 0
	v_mov_b32_e32 v3, 0
	s_and_saveexec_b64 s[62:63], s[24:25]
	s_cbranch_execz .LBB6_1936
; %bb.1931:                             ;   in Loop: Header=BB6_1409 Depth=2
	v_cmp_ne_u16_e32 vcc, s75, v14
	v_bfrev_b32_e32 v3, 1
	s_and_saveexec_b64 s[64:65], vcc
	s_cbranch_execz .LBB6_1935
; %bb.1932:                             ;   in Loop: Header=BB6_1409 Depth=2
	v_and_b32_e32 v38, 0x7f, v14
	v_cmp_ne_u32_e32 vcc, s76, v38
	v_mov_b32_e32 v3, 0x7f800001
	s_and_saveexec_b64 s[66:67], vcc
	s_cbranch_execz .LBB6_1934
; %bb.1933:                             ;   in Loop: Header=BB6_1409 Depth=2
	v_and_b32_e32 v3, 7, v14
	v_ffbh_u32_e32 v6, v3
	v_min_u32_e32 v9, 32, v6
	v_subrev_u32_e32 v6, 28, v9
	v_lshlrev_b64 v[6:7], v6, v[14:15]
	v_lshrrev_b32_e32 v8, 3, v38
	v_sub_u32_e32 v7, 29, v9
	v_and_b32_e32 v6, 7, v6
	v_cmp_gt_u32_e32 vcc, 8, v38
	v_cndmask_b32_e32 v7, v8, v7, vcc
	v_cndmask_b32_e32 v3, v3, v6, vcc
	v_lshlrev_b32_e32 v6, 16, v54
	v_lshlrev_b32_e32 v3, 20, v3
	v_and_b32_e32 v6, 0x80000000, v6
	v_lshl_add_u32 v7, v7, 23, v26
	v_or3_b32 v3, v6, v7, v3
.LBB6_1934:                             ;   in Loop: Header=BB6_1409 Depth=2
	s_or_b64 exec, exec, s[66:67]
.LBB6_1935:                             ;   in Loop: Header=BB6_1409 Depth=2
	s_or_b64 exec, exec, s[64:65]
.LBB6_1936:                             ;   in Loop: Header=BB6_1409 Depth=2
	s_or_b64 exec, exec, s[62:63]
	v_cmp_ne_u16_e32 vcc, 0, v2
	s_and_saveexec_b64 s[62:63], vcc
	s_cbranch_execz .LBB6_1942
; %bb.1937:                             ;   in Loop: Header=BB6_1409 Depth=2
	v_cmp_ne_u16_e32 vcc, s75, v2
	v_bfrev_b32_e32 v11, 1
	s_and_saveexec_b64 s[64:65], vcc
	s_cbranch_execz .LBB6_1941
; %bb.1938:                             ;   in Loop: Header=BB6_1409 Depth=2
	v_and_b32_e32 v38, 0x7f, v2
	v_cmp_ne_u32_e32 vcc, s76, v38
	v_mov_b32_e32 v11, 0x7f800001
	s_and_saveexec_b64 s[66:67], vcc
	s_cbranch_execz .LBB6_1940
; %bb.1939:                             ;   in Loop: Header=BB6_1409 Depth=2
	v_and_b32_e32 v8, 7, v2
	v_ffbh_u32_e32 v6, v8
	v_min_u32_e32 v11, 32, v6
	v_subrev_u32_e32 v6, 28, v11
	v_lshlrev_b64 v[6:7], v6, v[2:3]
	v_lshrrev_b32_e32 v9, 3, v38
	v_sub_u32_e32 v7, 29, v11
	v_and_b32_e32 v6, 7, v6
	v_cmp_gt_u32_e32 vcc, 8, v38
	v_cndmask_b32_e32 v7, v9, v7, vcc
	v_cndmask_b32_e32 v6, v8, v6, vcc
	v_lshlrev_b32_e32 v8, 16, v10
	v_lshlrev_b32_e32 v6, 20, v6
	v_and_b32_e32 v8, 0x80000000, v8
	v_lshl_add_u32 v7, v7, 23, v26
	v_or3_b32 v11, v8, v7, v6
.LBB6_1940:                             ;   in Loop: Header=BB6_1409 Depth=2
	s_or_b64 exec, exec, s[66:67]
.LBB6_1941:                             ;   in Loop: Header=BB6_1409 Depth=2
	s_or_b64 exec, exec, s[64:65]
.LBB6_1942:                             ;   in Loop: Header=BB6_1409 Depth=2
	s_or_b64 exec, exec, s[62:63]
	v_max_f32_e32 v6, v11, v11
	v_max_f32_e32 v3, v3, v3
	;; [unrolled: 1-line block ×3, first 2 shown]
	s_branch .LBB6_1957
.LBB6_1943:                             ;   in Loop: Header=BB6_1409 Depth=2
                                        ; implicit-def: $vgpr3
	s_cbranch_execz .LBB6_1957
; %bb.1944:                             ;   in Loop: Header=BB6_1409 Depth=2
	v_mov_b32_e32 v11, 0
	v_mov_b32_e32 v3, 0
	s_and_saveexec_b64 s[62:63], s[24:25]
	s_cbranch_execz .LBB6_1950
; %bb.1945:                             ;   in Loop: Header=BB6_1409 Depth=2
	v_cmp_ne_u16_e32 vcc, s75, v14
	v_bfrev_b32_e32 v3, 1
	s_and_saveexec_b64 s[24:25], vcc
	s_cbranch_execz .LBB6_1949
; %bb.1946:                             ;   in Loop: Header=BB6_1409 Depth=2
	v_and_b32_e32 v38, 0x7f, v14
	v_cmp_ne_u32_e32 vcc, s76, v38
	v_mov_b32_e32 v3, 0x7f800001
	s_and_saveexec_b64 s[64:65], vcc
	s_cbranch_execz .LBB6_1948
; %bb.1947:                             ;   in Loop: Header=BB6_1409 Depth=2
	v_and_b32_e32 v3, 7, v14
	v_ffbh_u32_e32 v6, v3
	v_min_u32_e32 v9, 32, v6
	v_subrev_u32_e32 v6, 28, v9
	v_lshlrev_b64 v[6:7], v6, v[14:15]
	v_lshrrev_b32_e32 v8, 3, v38
	v_sub_u32_e32 v7, 29, v9
	v_and_b32_e32 v6, 7, v6
	v_cmp_gt_u32_e32 vcc, 8, v38
	v_cndmask_b32_e32 v7, v8, v7, vcc
	v_cndmask_b32_e32 v3, v3, v6, vcc
	v_lshlrev_b32_e32 v6, 16, v54
	v_lshlrev_b32_e32 v3, 20, v3
	v_and_b32_e32 v6, 0x80000000, v6
	v_lshl_add_u32 v7, v7, 23, v26
	v_or3_b32 v3, v6, v7, v3
.LBB6_1948:                             ;   in Loop: Header=BB6_1409 Depth=2
	s_or_b64 exec, exec, s[64:65]
.LBB6_1949:                             ;   in Loop: Header=BB6_1409 Depth=2
	s_or_b64 exec, exec, s[24:25]
.LBB6_1950:                             ;   in Loop: Header=BB6_1409 Depth=2
	s_or_b64 exec, exec, s[62:63]
	v_cmp_ne_u16_e32 vcc, 0, v2
	s_and_saveexec_b64 s[24:25], vcc
	s_cbranch_execz .LBB6_1956
; %bb.1951:                             ;   in Loop: Header=BB6_1409 Depth=2
	v_cmp_ne_u16_e32 vcc, s75, v2
	v_bfrev_b32_e32 v11, 1
	s_and_saveexec_b64 s[62:63], vcc
	s_cbranch_execz .LBB6_1955
; %bb.1952:                             ;   in Loop: Header=BB6_1409 Depth=2
	v_and_b32_e32 v14, 0x7f, v2
	v_cmp_ne_u32_e32 vcc, s76, v14
	v_mov_b32_e32 v11, 0x7f800001
	s_and_saveexec_b64 s[64:65], vcc
	s_cbranch_execz .LBB6_1954
; %bb.1953:                             ;   in Loop: Header=BB6_1409 Depth=2
	v_and_b32_e32 v8, 7, v2
	v_ffbh_u32_e32 v6, v8
	v_min_u32_e32 v11, 32, v6
	v_subrev_u32_e32 v6, 28, v11
	v_lshlrev_b64 v[6:7], v6, v[2:3]
	v_lshrrev_b32_e32 v9, 3, v14
	v_sub_u32_e32 v2, 29, v11
	v_and_b32_e32 v6, 7, v6
	v_cmp_gt_u32_e32 vcc, 8, v14
	v_cndmask_b32_e32 v2, v9, v2, vcc
	v_cndmask_b32_e32 v6, v8, v6, vcc
	v_lshlrev_b32_e32 v7, 16, v10
	v_lshlrev_b32_e32 v6, 20, v6
	v_and_b32_e32 v7, 0x80000000, v7
	v_lshl_add_u32 v2, v2, 23, v26
	v_or3_b32 v11, v7, v2, v6
.LBB6_1954:                             ;   in Loop: Header=BB6_1409 Depth=2
	s_or_b64 exec, exec, s[64:65]
.LBB6_1955:                             ;   in Loop: Header=BB6_1409 Depth=2
	s_or_b64 exec, exec, s[62:63]
.LBB6_1956:                             ;   in Loop: Header=BB6_1409 Depth=2
	s_or_b64 exec, exec, s[24:25]
	v_max_f32_e32 v2, v11, v11
	v_max_f32_e32 v3, v3, v3
	v_min_f32_e32 v3, v3, v2
.LBB6_1957:                             ;   in Loop: Header=BB6_1409 Depth=2
	v_and_b32_sdwa v10, v3, s75 dst_sel:DWORD dst_unused:UNUSED_PAD src0_sel:BYTE_3 src1_sel:DWORD
	v_and_b32_e32 v6, 0x7f800000, v3
	v_mov_b32_e32 v7, v55
	v_and_b32_e32 v54, 0x7fffff, v3
	v_or_b32_e32 v11, 0x7e, v10
	v_cmp_ne_u64_e32 vcc, s[44:45], v[6:7]
	s_and_saveexec_b64 s[24:25], vcc
	s_xor_b64 s[62:63], exec, s[24:25]
	s_cbranch_execz .LBB6_1967
; %bb.1958:                             ;   in Loop: Header=BB6_1409 Depth=2
	v_and_b32_e32 v6, 0x7fffffff, v3
	v_mov_b32_e32 v7, v55
	v_cmp_gt_u64_e32 vcc, s[46:47], v[6:7]
	s_and_saveexec_b64 s[64:65], vcc
	s_cbranch_execz .LBB6_1966
; %bb.1959:                             ;   in Loop: Header=BB6_1409 Depth=2
	v_cmp_ne_u32_e32 vcc, 0, v3
	v_mov_b32_e32 v11, 0
	s_and_saveexec_b64 s[66:67], vcc
	s_cbranch_execz .LBB6_1965
; %bb.1960:                             ;   in Loop: Header=BB6_1409 Depth=2
	v_bfe_u32 v2, v3, 23, 8
	v_sub_u32_e32 v6, 0x79, v2
	v_cmp_gt_u32_e32 vcc, s78, v2
	v_cndmask_b32_e32 v6, 0, v6, vcc
	v_cmp_eq_u32_e32 vcc, 0, v2
	v_or_b32_e32 v7, 0x800000, v54
	v_cndmask_b32_e32 v14, v6, v32, vcc
	v_add_u32_e32 v3, 0xffffff81, v2
	v_cndmask_b32_e32 v54, v7, v54, vcc
	v_add_u32_e32 v2, 20, v14
	v_cndmask_b32_e32 v11, v3, v33, vcc
	v_lshlrev_b64 v[2:3], v2, -1
	v_lshrrev_b64 v[8:9], v14, v[54:55]
	v_not_b32_e32 v3, v3
	v_not_b32_e32 v2, v2
	v_add_u32_e32 v6, 19, v14
	v_lshrrev_b32_e32 v32, 23, v8
	v_and_b32_e32 v3, 0, v3
	v_and_b32_e32 v2, v54, v2
	v_lshlrev_b64 v[6:7], v6, 1
	v_add3_u32 v38, v14, v11, v32
	v_bfe_u32 v11, v8, 20, 1
	v_add_u32_e32 v11, -1, v11
	v_cmp_eq_u64_e32 vcc, v[2:3], v[6:7]
	v_cndmask_b32_e32 v2, 0, v11, vcc
	v_add_u32_e32 v2, v2, v8
	v_and_b32_e32 v2, 0xfffff, v2
	v_add_co_u32_e32 v2, vcc, v2, v8
	v_add_u32_e32 v14, 6, v38
	v_addc_co_u32_e32 v3, vcc, 0, v9, vcc
	v_cmp_ne_u32_e32 vcc, 0, v14
                                        ; implicit-def: $vgpr11
	s_and_saveexec_b64 s[24:25], vcc
	s_xor_b64 s[24:25], exec, s[24:25]
; %bb.1961:                             ;   in Loop: Header=BB6_1409 Depth=2
	v_add_u32_e32 v6, 7, v38
	v_cmp_lt_u64_e32 vcc, s[50:51], v[2:3]
	v_cndmask_b32_e32 v11, v14, v6, vcc
	v_cndmask_b32_e64 v6, 0, 1, vcc
	v_lshrrev_b64 v[2:3], v6, v[2:3]
; %bb.1962:                             ;   in Loop: Header=BB6_1409 Depth=2
	s_andn2_saveexec_b64 s[24:25], s[24:25]
; %bb.1963:                             ;   in Loop: Header=BB6_1409 Depth=2
	v_bfe_u32 v11, v2, 23, 1
; %bb.1964:                             ;   in Loop: Header=BB6_1409 Depth=2
	s_or_b64 exec, exec, s[24:25]
	v_lshrrev_b64 v[2:3], 20, v[2:3]
	v_cmp_gt_i32_e32 vcc, 16, v11
	v_cndmask_b32_e32 v3, 0, v3, vcc
	v_cndmask_b32_e32 v2, 7, v2, vcc
	v_cmp_eq_u64_e64 s[24:25], 0, v[2:3]
	v_min_i32_e32 v3, 15, v11
	v_cmp_eq_u32_e32 vcc, 0, v11
	v_lshlrev_b32_e32 v3, 3, v3
	v_and_or_b32 v2, v2, 7, v3
	s_and_b64 s[24:25], vcc, s[24:25]
	v_cndmask_b32_e64 v2, v2, 0, s[24:25]
	v_or_b32_e32 v11, v2, v10
	v_mov_b32_e32 v32, 0x78
.LBB6_1965:                             ;   in Loop: Header=BB6_1409 Depth=2
	s_or_b64 exec, exec, s[66:67]
.LBB6_1966:                             ;   in Loop: Header=BB6_1409 Depth=2
	s_or_b64 exec, exec, s[64:65]
                                        ; implicit-def: $vgpr3
.LBB6_1967:                             ;   in Loop: Header=BB6_1409 Depth=2
	s_andn2_saveexec_b64 s[24:25], s[62:63]
; %bb.1968:                             ;   in Loop: Header=BB6_1409 Depth=2
	v_or_b32_sdwa v2, v3, s76 dst_sel:DWORD dst_unused:UNUSED_PAD src0_sel:BYTE_3 src1_sel:DWORD
	v_cmp_eq_u64_e32 vcc, 0, v[54:55]
	v_cndmask_b32_e32 v11, v2, v11, vcc
; %bb.1969:                             ;   in Loop: Header=BB6_1409 Depth=2
	s_or_b64 exec, exec, s[24:25]
	v_lshrrev_b32_e32 v10, 16, v17
	v_lshrrev_b32_e32 v2, 16, v13
	v_cmp_ne_u16_sdwa s[24:25], v10, v55 src0_sel:BYTE_0 src1_sel:DWORD
	s_and_b64 vcc, exec, s[60:61]
	s_cbranch_vccz .LBB6_1983
; %bb.1970:                             ;   in Loop: Header=BB6_1409 Depth=2
	v_mov_b32_e32 v14, 0
	v_mov_b32_e32 v3, 0
	s_and_saveexec_b64 s[62:63], s[24:25]
	s_cbranch_execz .LBB6_1976
; %bb.1971:                             ;   in Loop: Header=BB6_1409 Depth=2
	v_cmp_ne_u16_sdwa vcc, v10, s75 src0_sel:BYTE_0 src1_sel:DWORD
	v_bfrev_b32_e32 v3, 1
	s_and_saveexec_b64 s[64:65], vcc
	s_cbranch_execz .LBB6_1975
; %bb.1972:                             ;   in Loop: Header=BB6_1409 Depth=2
	v_bfe_u32 v38, v17, 16, 7
	v_cmp_ne_u32_e32 vcc, s76, v38
	v_mov_b32_e32 v3, 0x7f800001
	s_and_saveexec_b64 s[66:67], vcc
	s_cbranch_execz .LBB6_1974
; %bb.1973:                             ;   in Loop: Header=BB6_1409 Depth=2
	v_and_b32_e32 v3, 7, v10
	v_ffbh_u32_e32 v6, v3
	v_min_u32_e32 v9, 32, v6
	v_subrev_u32_e32 v6, 28, v9
	v_lshlrev_b64 v[6:7], v6, v[10:11]
	v_lshrrev_b32_e32 v8, 3, v38
	v_sub_u32_e32 v7, 29, v9
	v_and_b32_e32 v6, 7, v6
	v_cmp_gt_u32_e32 vcc, 8, v38
	v_cndmask_b32_e32 v7, v8, v7, vcc
	v_cndmask_b32_e32 v3, v3, v6, vcc
	v_lshlrev_b32_e32 v6, 24, v10
	v_lshlrev_b32_e32 v3, 20, v3
	v_and_b32_e32 v6, 0x80000000, v6
	v_lshl_add_u32 v7, v7, 23, v26
	v_or3_b32 v3, v6, v7, v3
.LBB6_1974:                             ;   in Loop: Header=BB6_1409 Depth=2
	s_or_b64 exec, exec, s[66:67]
.LBB6_1975:                             ;   in Loop: Header=BB6_1409 Depth=2
	s_or_b64 exec, exec, s[64:65]
.LBB6_1976:                             ;   in Loop: Header=BB6_1409 Depth=2
	s_or_b64 exec, exec, s[62:63]
	v_cmp_ne_u16_sdwa vcc, v2, v55 src0_sel:BYTE_0 src1_sel:DWORD
	s_and_saveexec_b64 s[62:63], vcc
	s_cbranch_execz .LBB6_1982
; %bb.1977:                             ;   in Loop: Header=BB6_1409 Depth=2
	v_cmp_ne_u16_sdwa vcc, v2, s75 src0_sel:BYTE_0 src1_sel:DWORD
	v_bfrev_b32_e32 v14, 1
	s_and_saveexec_b64 s[64:65], vcc
	s_cbranch_execz .LBB6_1981
; %bb.1978:                             ;   in Loop: Header=BB6_1409 Depth=2
	v_bfe_u32 v38, v13, 16, 7
	v_cmp_ne_u32_e32 vcc, s76, v38
	v_mov_b32_e32 v14, 0x7f800001
	s_and_saveexec_b64 s[66:67], vcc
	s_cbranch_execz .LBB6_1980
; %bb.1979:                             ;   in Loop: Header=BB6_1409 Depth=2
	v_and_b32_e32 v8, 7, v2
	v_ffbh_u32_e32 v6, v8
	v_min_u32_e32 v14, 32, v6
	v_subrev_u32_e32 v6, 28, v14
	v_lshlrev_b64 v[6:7], v6, v[2:3]
	v_lshrrev_b32_e32 v9, 3, v38
	v_sub_u32_e32 v7, 29, v14
	v_and_b32_e32 v6, 7, v6
	v_cmp_gt_u32_e32 vcc, 8, v38
	v_cndmask_b32_e32 v7, v9, v7, vcc
	v_cndmask_b32_e32 v6, v8, v6, vcc
	v_lshlrev_b32_e32 v8, 24, v2
	v_lshlrev_b32_e32 v6, 20, v6
	v_and_b32_e32 v8, 0x80000000, v8
	v_lshl_add_u32 v7, v7, 23, v26
	v_or3_b32 v14, v8, v7, v6
.LBB6_1980:                             ;   in Loop: Header=BB6_1409 Depth=2
	s_or_b64 exec, exec, s[66:67]
.LBB6_1981:                             ;   in Loop: Header=BB6_1409 Depth=2
	s_or_b64 exec, exec, s[64:65]
.LBB6_1982:                             ;   in Loop: Header=BB6_1409 Depth=2
	s_or_b64 exec, exec, s[62:63]
	v_max_f32_e32 v6, v14, v14
	v_max_f32_e32 v3, v3, v3
	;; [unrolled: 1-line block ×3, first 2 shown]
	s_branch .LBB6_1997
.LBB6_1983:                             ;   in Loop: Header=BB6_1409 Depth=2
                                        ; implicit-def: $vgpr3
	s_cbranch_execz .LBB6_1997
; %bb.1984:                             ;   in Loop: Header=BB6_1409 Depth=2
	v_mov_b32_e32 v14, 0
	v_mov_b32_e32 v3, 0
	s_and_saveexec_b64 s[62:63], s[24:25]
	s_cbranch_execz .LBB6_1990
; %bb.1985:                             ;   in Loop: Header=BB6_1409 Depth=2
	v_cmp_ne_u16_sdwa vcc, v10, s75 src0_sel:BYTE_0 src1_sel:DWORD
	v_bfrev_b32_e32 v3, 1
	s_and_saveexec_b64 s[24:25], vcc
	s_cbranch_execz .LBB6_1989
; %bb.1986:                             ;   in Loop: Header=BB6_1409 Depth=2
	v_bfe_u32 v38, v17, 16, 7
	v_cmp_ne_u32_e32 vcc, s76, v38
	v_mov_b32_e32 v3, 0x7f800001
	s_and_saveexec_b64 s[64:65], vcc
	s_cbranch_execz .LBB6_1988
; %bb.1987:                             ;   in Loop: Header=BB6_1409 Depth=2
	v_and_b32_e32 v3, 7, v10
	v_ffbh_u32_e32 v6, v3
	v_min_u32_e32 v9, 32, v6
	v_subrev_u32_e32 v6, 28, v9
	v_lshlrev_b64 v[6:7], v6, v[10:11]
	v_lshrrev_b32_e32 v8, 3, v38
	v_sub_u32_e32 v7, 29, v9
	v_and_b32_e32 v6, 7, v6
	v_cmp_gt_u32_e32 vcc, 8, v38
	v_cndmask_b32_e32 v7, v8, v7, vcc
	v_cndmask_b32_e32 v3, v3, v6, vcc
	v_lshlrev_b32_e32 v6, 24, v10
	v_lshlrev_b32_e32 v3, 20, v3
	v_and_b32_e32 v6, 0x80000000, v6
	v_lshl_add_u32 v7, v7, 23, v26
	v_or3_b32 v3, v6, v7, v3
.LBB6_1988:                             ;   in Loop: Header=BB6_1409 Depth=2
	s_or_b64 exec, exec, s[64:65]
.LBB6_1989:                             ;   in Loop: Header=BB6_1409 Depth=2
	s_or_b64 exec, exec, s[24:25]
.LBB6_1990:                             ;   in Loop: Header=BB6_1409 Depth=2
	s_or_b64 exec, exec, s[62:63]
	v_cmp_ne_u16_sdwa vcc, v2, v55 src0_sel:BYTE_0 src1_sel:DWORD
	s_and_saveexec_b64 s[24:25], vcc
	s_cbranch_execz .LBB6_1996
; %bb.1991:                             ;   in Loop: Header=BB6_1409 Depth=2
	v_cmp_ne_u16_sdwa vcc, v2, s75 src0_sel:BYTE_0 src1_sel:DWORD
	v_bfrev_b32_e32 v14, 1
	s_and_saveexec_b64 s[62:63], vcc
	s_cbranch_execz .LBB6_1995
; %bb.1992:                             ;   in Loop: Header=BB6_1409 Depth=2
	v_bfe_u32 v10, v13, 16, 7
	v_cmp_ne_u32_e32 vcc, s76, v10
	v_mov_b32_e32 v14, 0x7f800001
	s_and_saveexec_b64 s[64:65], vcc
	s_cbranch_execz .LBB6_1994
; %bb.1993:                             ;   in Loop: Header=BB6_1409 Depth=2
	v_and_b32_e32 v8, 7, v2
	v_ffbh_u32_e32 v6, v8
	v_min_u32_e32 v14, 32, v6
	v_subrev_u32_e32 v6, 28, v14
	v_lshlrev_b64 v[6:7], v6, v[2:3]
	v_lshrrev_b32_e32 v9, 3, v10
	v_sub_u32_e32 v7, 29, v14
	v_and_b32_e32 v6, 7, v6
	v_cmp_gt_u32_e32 vcc, 8, v10
	v_cndmask_b32_e32 v7, v9, v7, vcc
	v_cndmask_b32_e32 v6, v8, v6, vcc
	v_lshlrev_b32_e32 v2, 24, v2
	v_lshlrev_b32_e32 v6, 20, v6
	v_and_b32_e32 v2, 0x80000000, v2
	v_lshl_add_u32 v7, v7, 23, v26
	v_or3_b32 v14, v2, v7, v6
.LBB6_1994:                             ;   in Loop: Header=BB6_1409 Depth=2
	s_or_b64 exec, exec, s[64:65]
.LBB6_1995:                             ;   in Loop: Header=BB6_1409 Depth=2
	s_or_b64 exec, exec, s[62:63]
.LBB6_1996:                             ;   in Loop: Header=BB6_1409 Depth=2
	s_or_b64 exec, exec, s[24:25]
	v_max_f32_e32 v2, v14, v14
	v_max_f32_e32 v3, v3, v3
	v_min_f32_e32 v3, v3, v2
.LBB6_1997:                             ;   in Loop: Header=BB6_1409 Depth=2
	v_and_b32_sdwa v10, v3, s75 dst_sel:DWORD dst_unused:UNUSED_PAD src0_sel:BYTE_3 src1_sel:DWORD
	v_and_b32_e32 v6, 0x7f800000, v3
	v_mov_b32_e32 v7, v55
	v_and_b32_e32 v54, 0x7fffff, v3
	v_or_b32_e32 v14, 0x7e, v10
	v_cmp_ne_u64_e32 vcc, s[44:45], v[6:7]
	s_and_saveexec_b64 s[24:25], vcc
	s_xor_b64 s[62:63], exec, s[24:25]
	s_cbranch_execz .LBB6_2007
; %bb.1998:                             ;   in Loop: Header=BB6_1409 Depth=2
	v_and_b32_e32 v6, 0x7fffffff, v3
	v_mov_b32_e32 v7, v55
	v_cmp_gt_u64_e32 vcc, s[46:47], v[6:7]
	s_and_saveexec_b64 s[64:65], vcc
	s_cbranch_execz .LBB6_2006
; %bb.1999:                             ;   in Loop: Header=BB6_1409 Depth=2
	v_cmp_ne_u32_e32 vcc, 0, v3
	v_mov_b32_e32 v14, 0
	s_and_saveexec_b64 s[66:67], vcc
	s_cbranch_execz .LBB6_2005
; %bb.2000:                             ;   in Loop: Header=BB6_1409 Depth=2
	v_bfe_u32 v2, v3, 23, 8
	v_sub_u32_e32 v6, 0x79, v2
	v_cmp_gt_u32_e32 vcc, s78, v2
	v_add_u32_e32 v3, 0xffffff81, v2
	v_cndmask_b32_e32 v6, 0, v6, vcc
	v_cmp_eq_u32_e32 vcc, 0, v2
	v_mov_b32_e32 v2, 0x78
	v_or_b32_e32 v7, 0x800000, v54
	v_cndmask_b32_e32 v32, v6, v2, vcc
	v_cndmask_b32_e32 v54, v7, v54, vcc
	v_add_u32_e32 v2, 20, v32
	v_cndmask_b32_e32 v14, v3, v33, vcc
	v_lshlrev_b64 v[2:3], v2, -1
	v_lshrrev_b64 v[8:9], v32, v[54:55]
	v_not_b32_e32 v3, v3
	v_not_b32_e32 v2, v2
	v_add_u32_e32 v6, 19, v32
	v_lshrrev_b32_e32 v33, 23, v8
	v_and_b32_e32 v3, 0, v3
	v_and_b32_e32 v2, v54, v2
	v_lshlrev_b64 v[6:7], v6, 1
	v_add3_u32 v38, v32, v14, v33
	v_bfe_u32 v14, v8, 20, 1
	v_add_u32_e32 v14, -1, v14
	v_cmp_eq_u64_e32 vcc, v[2:3], v[6:7]
	v_cndmask_b32_e32 v2, 0, v14, vcc
	v_add_u32_e32 v2, v2, v8
	v_and_b32_e32 v2, 0xfffff, v2
	v_add_co_u32_e32 v2, vcc, v2, v8
	v_add_u32_e32 v53, 6, v38
	v_addc_co_u32_e32 v3, vcc, 0, v9, vcc
	v_cmp_ne_u32_e32 vcc, 0, v53
                                        ; implicit-def: $vgpr14
	s_and_saveexec_b64 s[24:25], vcc
	s_xor_b64 s[24:25], exec, s[24:25]
; %bb.2001:                             ;   in Loop: Header=BB6_1409 Depth=2
	v_add_u32_e32 v6, 7, v38
	v_cmp_lt_u64_e32 vcc, s[50:51], v[2:3]
	v_cndmask_b32_e32 v14, v53, v6, vcc
	v_cndmask_b32_e64 v6, 0, 1, vcc
	v_lshrrev_b64 v[2:3], v6, v[2:3]
; %bb.2002:                             ;   in Loop: Header=BB6_1409 Depth=2
	s_andn2_saveexec_b64 s[24:25], s[24:25]
; %bb.2003:                             ;   in Loop: Header=BB6_1409 Depth=2
	v_bfe_u32 v14, v2, 23, 1
; %bb.2004:                             ;   in Loop: Header=BB6_1409 Depth=2
	s_or_b64 exec, exec, s[24:25]
	v_lshrrev_b64 v[2:3], 20, v[2:3]
	v_cmp_gt_i32_e32 vcc, 16, v14
	v_cndmask_b32_e32 v3, 0, v3, vcc
	v_cndmask_b32_e32 v2, 7, v2, vcc
	v_cmp_eq_u64_e64 s[24:25], 0, v[2:3]
	v_min_i32_e32 v3, 15, v14
	v_lshlrev_b32_e32 v3, 3, v3
	v_cmp_eq_u32_e32 vcc, 0, v14
	v_and_b32_e32 v3, 0xf8, v3
	v_and_or_b32 v2, v2, 7, v3
	s_and_b64 s[24:25], vcc, s[24:25]
	v_cndmask_b32_e64 v2, v2, 0, s[24:25]
	v_or_b32_e32 v14, v2, v10
	v_mov_b32_e32 v33, 0xffffff82
	v_mov_b32_e32 v32, 0x78
.LBB6_2005:                             ;   in Loop: Header=BB6_1409 Depth=2
	s_or_b64 exec, exec, s[66:67]
.LBB6_2006:                             ;   in Loop: Header=BB6_1409 Depth=2
	s_or_b64 exec, exec, s[64:65]
                                        ; implicit-def: $vgpr3
.LBB6_2007:                             ;   in Loop: Header=BB6_1409 Depth=2
	s_andn2_saveexec_b64 s[24:25], s[62:63]
; %bb.2008:                             ;   in Loop: Header=BB6_1409 Depth=2
	v_or_b32_sdwa v2, v3, s76 dst_sel:DWORD dst_unused:UNUSED_PAD src0_sel:BYTE_3 src1_sel:DWORD
	v_cmp_eq_u64_e32 vcc, 0, v[54:55]
	v_cndmask_b32_e32 v14, v2, v14, vcc
; %bb.2009:                             ;   in Loop: Header=BB6_1409 Depth=2
	s_or_b64 exec, exec, s[24:25]
	v_lshrrev_b32_e32 v10, 24, v17
	v_lshrrev_b32_e32 v2, 24, v13
	v_cmp_lt_u64_e64 s[24:25], s[48:49], v[16:17]
	s_and_b64 vcc, exec, s[60:61]
	s_cbranch_vccz .LBB6_2023
; %bb.2010:                             ;   in Loop: Header=BB6_1409 Depth=2
	v_mov_b32_e32 v16, 0
	v_mov_b32_e32 v3, 0
	s_and_saveexec_b64 s[62:63], s[24:25]
	s_cbranch_execz .LBB6_2016
; %bb.2011:                             ;   in Loop: Header=BB6_1409 Depth=2
	v_cmp_ne_u32_e32 vcc, s75, v10
	v_bfrev_b32_e32 v3, 1
	s_and_saveexec_b64 s[64:65], vcc
	s_cbranch_execz .LBB6_2015
; %bb.2012:                             ;   in Loop: Header=BB6_1409 Depth=2
	v_bfe_u32 v38, v17, 24, 7
	v_cmp_ne_u32_e32 vcc, s76, v38
	v_mov_b32_e32 v3, 0x7f800001
	s_and_saveexec_b64 s[66:67], vcc
	s_cbranch_execz .LBB6_2014
; %bb.2013:                             ;   in Loop: Header=BB6_1409 Depth=2
	v_and_b32_e32 v3, 7, v10
	v_ffbh_u32_e32 v6, v3
	v_min_u32_e32 v9, 32, v6
	v_subrev_u32_e32 v6, 28, v9
	v_lshlrev_b64 v[6:7], v6, v[10:11]
	v_lshrrev_b32_e32 v8, 3, v38
	v_sub_u32_e32 v7, 29, v9
	v_and_b32_e32 v6, 7, v6
	v_cmp_gt_u32_e32 vcc, 8, v38
	v_cndmask_b32_e32 v7, v8, v7, vcc
	v_cndmask_b32_e32 v3, v3, v6, vcc
	v_lshlrev_b32_e32 v6, 24, v10
	v_lshlrev_b32_e32 v3, 20, v3
	v_and_b32_e32 v6, 0x80000000, v6
	v_lshl_add_u32 v7, v7, 23, v26
	v_or3_b32 v3, v6, v7, v3
.LBB6_2014:                             ;   in Loop: Header=BB6_1409 Depth=2
	s_or_b64 exec, exec, s[66:67]
.LBB6_2015:                             ;   in Loop: Header=BB6_1409 Depth=2
	s_or_b64 exec, exec, s[64:65]
.LBB6_2016:                             ;   in Loop: Header=BB6_1409 Depth=2
	s_or_b64 exec, exec, s[62:63]
	v_cmp_lt_u64_e32 vcc, s[48:49], v[12:13]
	s_and_saveexec_b64 s[62:63], vcc
	s_cbranch_execz .LBB6_2022
; %bb.2017:                             ;   in Loop: Header=BB6_1409 Depth=2
	v_cmp_ne_u32_e32 vcc, s75, v2
	v_bfrev_b32_e32 v16, 1
	s_and_saveexec_b64 s[64:65], vcc
	s_cbranch_execz .LBB6_2021
; %bb.2018:                             ;   in Loop: Header=BB6_1409 Depth=2
	v_bfe_u32 v38, v13, 24, 7
	v_cmp_ne_u32_e32 vcc, s76, v38
	v_mov_b32_e32 v16, 0x7f800001
	s_and_saveexec_b64 s[66:67], vcc
	s_cbranch_execz .LBB6_2020
; %bb.2019:                             ;   in Loop: Header=BB6_1409 Depth=2
	v_and_b32_e32 v8, 7, v2
	v_ffbh_u32_e32 v6, v8
	v_min_u32_e32 v16, 32, v6
	v_subrev_u32_e32 v6, 28, v16
	v_lshlrev_b64 v[6:7], v6, v[2:3]
	v_lshrrev_b32_e32 v9, 3, v38
	v_sub_u32_e32 v7, 29, v16
	v_and_b32_e32 v6, 7, v6
	v_cmp_gt_u32_e32 vcc, 8, v38
	v_cndmask_b32_e32 v7, v9, v7, vcc
	v_cndmask_b32_e32 v6, v8, v6, vcc
	v_lshlrev_b32_e32 v8, 24, v2
	v_lshlrev_b32_e32 v6, 20, v6
	v_and_b32_e32 v8, 0x80000000, v8
	v_lshl_add_u32 v7, v7, 23, v26
	v_or3_b32 v16, v8, v7, v6
.LBB6_2020:                             ;   in Loop: Header=BB6_1409 Depth=2
	s_or_b64 exec, exec, s[66:67]
.LBB6_2021:                             ;   in Loop: Header=BB6_1409 Depth=2
	s_or_b64 exec, exec, s[64:65]
.LBB6_2022:                             ;   in Loop: Header=BB6_1409 Depth=2
	s_or_b64 exec, exec, s[62:63]
	v_max_f32_e32 v6, v16, v16
	v_max_f32_e32 v3, v3, v3
	;; [unrolled: 1-line block ×3, first 2 shown]
	s_branch .LBB6_2037
.LBB6_2023:                             ;   in Loop: Header=BB6_1409 Depth=2
                                        ; implicit-def: $vgpr3
	s_cbranch_execz .LBB6_2037
; %bb.2024:                             ;   in Loop: Header=BB6_1409 Depth=2
	v_mov_b32_e32 v16, 0
	v_mov_b32_e32 v3, 0
	s_and_saveexec_b64 s[62:63], s[24:25]
	s_cbranch_execz .LBB6_2030
; %bb.2025:                             ;   in Loop: Header=BB6_1409 Depth=2
	v_cmp_ne_u32_e32 vcc, s75, v10
	v_bfrev_b32_e32 v3, 1
	s_and_saveexec_b64 s[24:25], vcc
	s_cbranch_execz .LBB6_2029
; %bb.2026:                             ;   in Loop: Header=BB6_1409 Depth=2
	v_bfe_u32 v17, v17, 24, 7
	v_cmp_ne_u32_e32 vcc, s76, v17
	v_mov_b32_e32 v3, 0x7f800001
	s_and_saveexec_b64 s[64:65], vcc
	s_cbranch_execz .LBB6_2028
; %bb.2027:                             ;   in Loop: Header=BB6_1409 Depth=2
	v_and_b32_e32 v3, 7, v10
	v_ffbh_u32_e32 v6, v3
	v_min_u32_e32 v9, 32, v6
	v_subrev_u32_e32 v6, 28, v9
	v_lshlrev_b64 v[6:7], v6, v[10:11]
	v_lshrrev_b32_e32 v8, 3, v17
	v_sub_u32_e32 v7, 29, v9
	v_and_b32_e32 v6, 7, v6
	v_cmp_gt_u32_e32 vcc, 8, v17
	v_cndmask_b32_e32 v7, v8, v7, vcc
	v_cndmask_b32_e32 v3, v3, v6, vcc
	v_lshlrev_b32_e32 v6, 24, v10
	v_lshlrev_b32_e32 v3, 20, v3
	v_and_b32_e32 v6, 0x80000000, v6
	v_lshl_add_u32 v7, v7, 23, v26
	v_or3_b32 v3, v6, v7, v3
.LBB6_2028:                             ;   in Loop: Header=BB6_1409 Depth=2
	s_or_b64 exec, exec, s[64:65]
.LBB6_2029:                             ;   in Loop: Header=BB6_1409 Depth=2
	s_or_b64 exec, exec, s[24:25]
.LBB6_2030:                             ;   in Loop: Header=BB6_1409 Depth=2
	s_or_b64 exec, exec, s[62:63]
	v_cmp_lt_u64_e32 vcc, s[48:49], v[12:13]
	s_and_saveexec_b64 s[24:25], vcc
	s_cbranch_execz .LBB6_2036
; %bb.2031:                             ;   in Loop: Header=BB6_1409 Depth=2
	v_cmp_ne_u32_e32 vcc, s75, v2
	v_bfrev_b32_e32 v16, 1
	s_and_saveexec_b64 s[62:63], vcc
	s_cbranch_execz .LBB6_2035
; %bb.2032:                             ;   in Loop: Header=BB6_1409 Depth=2
	v_bfe_u32 v10, v13, 24, 7
	v_cmp_ne_u32_e32 vcc, s76, v10
	v_mov_b32_e32 v16, 0x7f800001
	s_and_saveexec_b64 s[64:65], vcc
	s_cbranch_execz .LBB6_2034
; %bb.2033:                             ;   in Loop: Header=BB6_1409 Depth=2
	v_and_b32_e32 v8, 7, v2
	v_ffbh_u32_e32 v6, v8
	v_min_u32_e32 v12, 32, v6
	v_subrev_u32_e32 v6, 28, v12
	v_lshlrev_b64 v[6:7], v6, v[2:3]
	v_lshrrev_b32_e32 v9, 3, v10
	v_sub_u32_e32 v7, 29, v12
	v_and_b32_e32 v6, 7, v6
	v_cmp_gt_u32_e32 vcc, 8, v10
	v_cndmask_b32_e32 v7, v9, v7, vcc
	v_cndmask_b32_e32 v6, v8, v6, vcc
	v_lshlrev_b32_e32 v2, 24, v2
	v_lshlrev_b32_e32 v6, 20, v6
	v_and_b32_e32 v2, 0x80000000, v2
	v_lshl_add_u32 v7, v7, 23, v26
	v_or3_b32 v16, v2, v7, v6
.LBB6_2034:                             ;   in Loop: Header=BB6_1409 Depth=2
	s_or_b64 exec, exec, s[64:65]
.LBB6_2035:                             ;   in Loop: Header=BB6_1409 Depth=2
	s_or_b64 exec, exec, s[62:63]
.LBB6_2036:                             ;   in Loop: Header=BB6_1409 Depth=2
	s_or_b64 exec, exec, s[24:25]
	v_max_f32_e32 v2, v16, v16
	v_max_f32_e32 v3, v3, v3
	v_min_f32_e32 v3, v3, v2
.LBB6_2037:                             ;   in Loop: Header=BB6_1409 Depth=2
	v_and_b32_sdwa v10, v3, s75 dst_sel:DWORD dst_unused:UNUSED_PAD src0_sel:BYTE_3 src1_sel:DWORD
	v_and_b32_e32 v6, 0x7f800000, v3
	v_mov_b32_e32 v7, v55
	v_and_b32_e32 v54, 0x7fffff, v3
	v_or_b32_e32 v2, 0x7e, v10
	v_cmp_ne_u64_e32 vcc, s[44:45], v[6:7]
	s_and_saveexec_b64 s[24:25], vcc
	s_xor_b64 s[62:63], exec, s[24:25]
	s_cbranch_execz .LBB6_2047
; %bb.2038:                             ;   in Loop: Header=BB6_1409 Depth=2
	v_and_b32_e32 v6, 0x7fffffff, v3
	v_mov_b32_e32 v7, v55
	v_cmp_gt_u64_e32 vcc, s[46:47], v[6:7]
	s_and_saveexec_b64 s[64:65], vcc
	s_cbranch_execz .LBB6_2046
; %bb.2039:                             ;   in Loop: Header=BB6_1409 Depth=2
	v_cmp_ne_u32_e32 vcc, 0, v3
	v_mov_b32_e32 v2, 0
	s_and_saveexec_b64 s[66:67], vcc
	s_cbranch_execz .LBB6_2045
; %bb.2040:                             ;   in Loop: Header=BB6_1409 Depth=2
	v_bfe_u32 v2, v3, 23, 8
	v_sub_u32_e32 v6, 0x79, v2
	v_cmp_gt_u32_e32 vcc, s78, v2
	v_cndmask_b32_e32 v6, 0, v6, vcc
	v_cmp_eq_u32_e32 vcc, 0, v2
	v_or_b32_e32 v7, 0x800000, v54
	v_cndmask_b32_e32 v13, v6, v32, vcc
	v_add_u32_e32 v3, 0xffffff81, v2
	v_cndmask_b32_e32 v54, v7, v54, vcc
	v_add_u32_e32 v2, 20, v13
	v_cndmask_b32_e32 v12, v3, v33, vcc
	v_lshlrev_b64 v[2:3], v2, -1
	v_lshrrev_b64 v[8:9], v13, v[54:55]
	v_not_b32_e32 v3, v3
	v_not_b32_e32 v2, v2
	v_add_u32_e32 v6, 19, v13
	v_lshrrev_b32_e32 v16, 23, v8
	v_and_b32_e32 v3, 0, v3
	v_and_b32_e32 v2, v54, v2
	v_lshlrev_b64 v[6:7], v6, 1
	v_add3_u32 v16, v13, v12, v16
	v_bfe_u32 v12, v8, 20, 1
	v_add_u32_e32 v12, -1, v12
	v_cmp_eq_u64_e32 vcc, v[2:3], v[6:7]
	v_cndmask_b32_e32 v2, 0, v12, vcc
	v_add_u32_e32 v2, v2, v8
	v_and_b32_e32 v2, 0xfffff, v2
	v_add_co_u32_e32 v2, vcc, v2, v8
	v_add_u32_e32 v13, 6, v16
	v_addc_co_u32_e32 v3, vcc, 0, v9, vcc
	v_cmp_ne_u32_e32 vcc, 0, v13
                                        ; implicit-def: $vgpr12
	s_and_saveexec_b64 s[24:25], vcc
	s_xor_b64 s[24:25], exec, s[24:25]
; %bb.2041:                             ;   in Loop: Header=BB6_1409 Depth=2
	v_add_u32_e32 v6, 7, v16
	v_cmp_lt_u64_e32 vcc, s[50:51], v[2:3]
	v_cndmask_b32_e32 v12, v13, v6, vcc
	v_cndmask_b32_e64 v6, 0, 1, vcc
	v_lshrrev_b64 v[2:3], v6, v[2:3]
; %bb.2042:                             ;   in Loop: Header=BB6_1409 Depth=2
	s_andn2_saveexec_b64 s[24:25], s[24:25]
; %bb.2043:                             ;   in Loop: Header=BB6_1409 Depth=2
	v_bfe_u32 v12, v2, 23, 1
; %bb.2044:                             ;   in Loop: Header=BB6_1409 Depth=2
	s_or_b64 exec, exec, s[24:25]
	v_lshrrev_b64 v[2:3], 20, v[2:3]
	v_cmp_gt_i32_e32 vcc, 16, v12
	v_cndmask_b32_e32 v3, 0, v3, vcc
	v_cndmask_b32_e32 v2, 7, v2, vcc
	v_cmp_eq_u64_e64 s[24:25], 0, v[2:3]
	v_min_i32_e32 v3, 15, v12
	v_lshlrev_b32_e32 v3, 3, v3
	v_cmp_eq_u32_e32 vcc, 0, v12
	v_and_b32_e32 v3, 0xf8, v3
	v_and_or_b32 v2, v2, 7, v3
	s_and_b64 s[24:25], vcc, s[24:25]
	v_cndmask_b32_e64 v2, v2, 0, s[24:25]
	v_or_b32_e32 v2, v2, v10
.LBB6_2045:                             ;   in Loop: Header=BB6_1409 Depth=2
	s_or_b64 exec, exec, s[66:67]
.LBB6_2046:                             ;   in Loop: Header=BB6_1409 Depth=2
	s_or_b64 exec, exec, s[64:65]
                                        ; implicit-def: $vgpr3
.LBB6_2047:                             ;   in Loop: Header=BB6_1409 Depth=2
	s_andn2_saveexec_b64 s[24:25], s[62:63]
	s_cbranch_execz .LBB6_1408
; %bb.2048:                             ;   in Loop: Header=BB6_1409 Depth=2
	v_or_b32_sdwa v3, v3, s76 dst_sel:DWORD dst_unused:UNUSED_PAD src0_sel:BYTE_3 src1_sel:DWORD
	v_cmp_eq_u64_e32 vcc, 0, v[54:55]
	v_cndmask_b32_e32 v2, v3, v2, vcc
	s_branch .LBB6_1408
.LBB6_2049:                             ;   in Loop: Header=BB6_49 Depth=1
	s_or_b64 exec, exec, s[58:59]
.LBB6_2050:                             ;   in Loop: Header=BB6_49 Depth=1
	s_or_b64 exec, exec, s[56:57]
	v_and_b32_e32 v2, 15, v42
	v_cndmask_b32_e64 v17, v34, v2, s[22:23]
	v_cmp_ne_u32_e32 vcc, 0, v17
	s_mov_b64 s[24:25], 0
	v_mov_b32_e32 v1, 0
                                        ; implicit-def: $vgpr18
                                        ; implicit-def: $vgpr0
	s_and_saveexec_b64 s[56:57], vcc
	s_cbranch_execz .LBB6_2052
; %bb.2051:                             ;   in Loop: Header=BB6_49 Depth=1
	v_sub_u32_e32 v1, v34, v2
	v_and_b32_e32 v0, 0x3ffffc00, v42
	v_cndmask_b32_e64 v1, 0, v1, s[22:23]
	v_add_u32_e32 v1, v1, v0
	v_cmp_lt_i32_e32 vcc, 0, v39
	v_accvgpr_read_b32 v0, a8
	v_cndmask_b32_e32 v0, 0, v0, vcc
	v_sub_u32_e32 v0, v0, v39
	v_lshl_add_u32 v18, v0, 6, v30
	v_ashrrev_i32_e32 v0, 31, v18
	v_lshrrev_b32_e32 v0, 26, v0
	v_add_u32_e32 v0, v18, v0
	s_mov_b64 s[24:25], exec
	v_ashrrev_i32_e32 v0, 6, v0
.LBB6_2052:                             ;   in Loop: Header=BB6_49 Depth=1
	s_or_b64 exec, exec, s[56:57]
	s_and_b64 s[22:23], s[24:25], exec
.LBB6_2053:                             ;   in Loop: Header=BB6_49 Depth=1
	s_or_b64 exec, exec, s[26:27]
	v_mov_b32_e32 v20, 1
	v_accvgpr_read_b32 v22, a37
	s_and_saveexec_b64 s[56:57], s[22:23]
	s_cbranch_execz .LBB6_2810
.LBB6_2054:                             ;   in Loop: Header=BB6_49 Depth=1
	v_ashrrev_i32_e32 v2, 31, v17
	v_lshrrev_b32_e32 v2, 22, v2
	v_add_u32_e32 v2, v17, v2
	v_ashrrev_i32_e32 v21, 10, v2
	v_sub_u32_e32 v19, v21, v0
	v_ashrrev_i32_e32 v2, 31, v18
	v_cmp_lt_i32_e32 vcc, 0, v19
	v_lshrrev_b32_e32 v2, 26, v2
	s_and_saveexec_b64 s[26:27], vcc
	s_cbranch_execz .LBB6_2762
; %bb.2055:                             ;   in Loop: Header=BB6_49 Depth=1
	v_accvgpr_write_b32 a39, v2
	v_add_u32_e32 v2, v18, v2
	v_and_b32_e32 v2, 0xffffffc0, v2
	v_lshlrev_b32_e32 v0, 10, v0
	s_trap 2
	v_sub_u32_e32 v6, v18, v2
	ds_read_b128 v[2:5], v0
	v_add3_u32 v0, v1, v6, v0
	ds_read_b64 v[6:7], v0
	v_ashrrev_i32_e32 v8, 31, v0
	s_bitcmp1_b32 s68, 0
	s_waitcnt lgkmcnt(0)
	v_add_co_u32_e32 v10, vcc, v2, v0
	v_addc_co_u32_e32 v11, vcc, v3, v8, vcc
	v_add_co_u32_e32 v12, vcc, v4, v0
	v_addc_co_u32_e32 v13, vcc, v5, v8, vcc
	;; [unrolled: 2-line block ×3, first 2 shown]
	v_add_co_u32_e32 v14, vcc, v2, v0
	v_accvgpr_write_b32 a37, v22
	v_accvgpr_write_b32 a3, v59
	;; [unrolled: 1-line block ×3, first 2 shown]
	v_mov_b32_e32 v39, v46
	s_cselect_b64 s[58:59], -1, 0
	v_addc_co_u32_e32 v15, vcc, v3, v8, vcc
	s_mov_b64 s[60:61], 0
	s_branch .LBB6_2057
.LBB6_2056:                             ;   in Loop: Header=BB6_2057 Depth=2
	s_or_b64 exec, exec, s[22:23]
	v_add_co_u32_e32 v6, vcc, 0xfffffc40, v14
	v_addc_co_u32_e32 v7, vcc, -1, v15, vcc
	flat_store_byte v[6:7], v24 glc slc
	v_add_co_u32_e32 v6, vcc, 0xfffffc80, v14
	v_addc_co_u32_e32 v7, vcc, -1, v15, vcc
	flat_store_byte v[6:7], v30 glc slc
	;; [unrolled: 3-line block ×13, first 2 shown]
	v_add_co_u32_e32 v6, vcc, 0xffffff80, v14
	v_addc_co_u32_e32 v7, vcc, -1, v15, vcc
	v_add_co_u32_e32 v4, vcc, s72, v14
	flat_store_byte v[6:7], v5 glc slc
	v_addc_co_u32_e32 v5, vcc, -1, v15, vcc
	v_add_co_u32_e32 v10, vcc, v10, v50
	v_addc_co_u32_e32 v11, vcc, v11, v51, vcc
	v_add_co_u32_e32 v12, vcc, v12, v50
	v_accvgpr_read_b32 v0, a8
	v_addc_co_u32_e32 v13, vcc, v13, v51, vcc
	v_sub_u32_e32 v19, v19, v0
	v_cmp_gt_i32_e32 vcc, 1, v19
	flat_store_byte v[4:5], v20 glc slc
	flat_store_byte v[14:15], v3 glc slc
	s_or_b64 s[60:61], vcc, s[60:61]
	v_add_co_u32_e32 v14, vcc, v14, v50
	v_addc_co_u32_e32 v15, vcc, v15, v51, vcc
	s_andn2_b64 exec, exec, s[60:61]
	s_cbranch_execz .LBB6_2761
.LBB6_2057:                             ;   Parent Loop BB6_49 Depth=1
                                        ; =>  This Inner Loop Header: Depth=2
	flat_load_ubyte v16, v[10:11] glc slc
	flat_load_ubyte v20, v[10:11] offset:64 glc slc
	flat_load_ubyte v40, v[10:11] offset:128 glc slc
	;; [unrolled: 1-line block ×15, first 2 shown]
	flat_load_ubyte v3, v[12:13] glc slc
	flat_load_ubyte v30, v[12:13] offset:64 glc slc
	flat_load_ubyte v35, v[12:13] offset:128 glc slc
	;; [unrolled: 1-line block ×15, first 2 shown]
	s_and_b64 vcc, exec, s[58:59]
	s_waitcnt vmcnt(0) lgkmcnt(0)
	v_cmp_ne_u16_e64 s[22:23], 0, v16
	s_cbranch_vccz .LBB6_2071
; %bb.2058:                             ;   in Loop: Header=BB6_2057 Depth=2
	v_mov_b32_e32 v24, 0
	v_mov_b32_e32 v54, 0
	s_and_saveexec_b64 s[24:25], s[22:23]
	s_cbranch_execz .LBB6_2064
; %bb.2059:                             ;   in Loop: Header=BB6_2057 Depth=2
	v_cmp_ne_u16_e32 vcc, s75, v16
	v_bfrev_b32_e32 v54, 1
	s_and_saveexec_b64 s[62:63], vcc
	s_cbranch_execz .LBB6_2063
; %bb.2060:                             ;   in Loop: Header=BB6_2057 Depth=2
	v_and_b32_e32 v2, 0xffff, v16
	v_and_b32_e32 v38, 0x7f, v2
	v_cmp_ne_u32_e32 vcc, s76, v38
	v_mov_b32_e32 v54, 0x7f800001
	s_and_saveexec_b64 s[64:65], vcc
	s_cbranch_execz .LBB6_2062
; %bb.2061:                             ;   in Loop: Header=BB6_2057 Depth=2
	v_and_b32_e32 v8, 7, v2
	v_ffbh_u32_e32 v6, v8
	v_min_u32_e32 v32, 32, v6
	v_subrev_u32_e32 v6, 28, v32
	v_lshlrev_b64 v[6:7], v6, v[2:3]
	v_lshrrev_b32_e32 v9, 3, v38
	v_sub_u32_e32 v2, 29, v32
	v_and_b32_e32 v6, 7, v6
	v_cmp_gt_u32_e32 vcc, 8, v38
	v_cndmask_b32_e32 v2, v9, v2, vcc
	v_cndmask_b32_e32 v6, v8, v6, vcc
	v_lshlrev_b32_e32 v7, 24, v16
	v_lshlrev_b32_e32 v6, 20, v6
	v_and_b32_e32 v7, 0x80000000, v7
	v_lshl_add_u32 v2, v2, 23, v26
	v_mov_b32_e32 v32, 0x78
	v_or3_b32 v54, v7, v2, v6
.LBB6_2062:                             ;   in Loop: Header=BB6_2057 Depth=2
	s_or_b64 exec, exec, s[64:65]
.LBB6_2063:                             ;   in Loop: Header=BB6_2057 Depth=2
	s_or_b64 exec, exec, s[62:63]
.LBB6_2064:                             ;   in Loop: Header=BB6_2057 Depth=2
	s_or_b64 exec, exec, s[24:25]
	v_and_b32_e32 v2, 0xff, v3
	v_cmp_ne_u16_e32 vcc, 0, v2
	s_and_saveexec_b64 s[24:25], vcc
	s_cbranch_execz .LBB6_2070
; %bb.2065:                             ;   in Loop: Header=BB6_2057 Depth=2
	v_cmp_ne_u16_e32 vcc, s75, v2
	v_bfrev_b32_e32 v24, 1
	s_and_saveexec_b64 s[62:63], vcc
	s_cbranch_execz .LBB6_2069
; %bb.2066:                             ;   in Loop: Header=BB6_2057 Depth=2
	v_and_b32_e32 v38, 0x7f, v3
	v_cmp_ne_u32_e32 vcc, s76, v38
	v_mov_b32_e32 v24, 0x7f800001
	s_and_saveexec_b64 s[64:65], vcc
	s_cbranch_execz .LBB6_2068
; %bb.2067:                             ;   in Loop: Header=BB6_2057 Depth=2
	v_and_b32_e32 v8, 7, v2
	v_ffbh_u32_e32 v6, v8
	v_min_u32_e32 v24, 32, v6
	v_subrev_u32_e32 v6, 28, v24
	v_lshlrev_b64 v[6:7], v6, v[2:3]
	v_lshrrev_b32_e32 v9, 3, v38
	v_sub_u32_e32 v2, 29, v24
	v_and_b32_e32 v6, 7, v6
	v_cmp_gt_u32_e32 vcc, 8, v38
	v_cndmask_b32_e32 v2, v9, v2, vcc
	v_cndmask_b32_e32 v6, v8, v6, vcc
	v_lshlrev_b32_e32 v7, 24, v3
	v_lshlrev_b32_e32 v6, 20, v6
	v_and_b32_e32 v7, 0x80000000, v7
	v_lshl_add_u32 v2, v2, 23, v26
	v_or3_b32 v24, v7, v2, v6
.LBB6_2068:                             ;   in Loop: Header=BB6_2057 Depth=2
	s_or_b64 exec, exec, s[64:65]
.LBB6_2069:                             ;   in Loop: Header=BB6_2057 Depth=2
	s_or_b64 exec, exec, s[62:63]
.LBB6_2070:                             ;   in Loop: Header=BB6_2057 Depth=2
	s_or_b64 exec, exec, s[24:25]
	v_max_f32_e32 v2, v24, v24
	v_max_f32_e32 v6, v54, v54
	;; [unrolled: 1-line block ×3, first 2 shown]
	s_branch .LBB6_2085
.LBB6_2071:                             ;   in Loop: Header=BB6_2057 Depth=2
                                        ; implicit-def: $vgpr2
	s_cbranch_execz .LBB6_2085
; %bb.2072:                             ;   in Loop: Header=BB6_2057 Depth=2
	v_mov_b32_e32 v24, 0
	v_mov_b32_e32 v54, 0
	s_and_saveexec_b64 s[24:25], s[22:23]
	s_cbranch_execz .LBB6_2078
; %bb.2073:                             ;   in Loop: Header=BB6_2057 Depth=2
	v_cmp_ne_u16_e32 vcc, s75, v16
	v_bfrev_b32_e32 v54, 1
	s_and_saveexec_b64 s[22:23], vcc
	s_cbranch_execz .LBB6_2077
; %bb.2074:                             ;   in Loop: Header=BB6_2057 Depth=2
	v_and_b32_e32 v2, 0xffff, v16
	v_and_b32_e32 v38, 0x7f, v2
	v_cmp_ne_u32_e32 vcc, s76, v38
	v_mov_b32_e32 v54, 0x7f800001
	s_and_saveexec_b64 s[62:63], vcc
	s_cbranch_execz .LBB6_2076
; %bb.2075:                             ;   in Loop: Header=BB6_2057 Depth=2
	v_and_b32_e32 v8, 7, v2
	v_ffbh_u32_e32 v6, v8
	v_min_u32_e32 v32, 32, v6
	v_subrev_u32_e32 v6, 28, v32
	v_lshlrev_b64 v[6:7], v6, v[2:3]
	v_lshrrev_b32_e32 v9, 3, v38
	v_sub_u32_e32 v2, 29, v32
	v_and_b32_e32 v6, 7, v6
	v_cmp_gt_u32_e32 vcc, 8, v38
	v_cndmask_b32_e32 v2, v9, v2, vcc
	v_cndmask_b32_e32 v6, v8, v6, vcc
	v_lshlrev_b32_e32 v7, 24, v16
	v_lshlrev_b32_e32 v6, 20, v6
	v_and_b32_e32 v7, 0x80000000, v7
	v_lshl_add_u32 v2, v2, 23, v26
	v_mov_b32_e32 v32, 0x78
	v_or3_b32 v54, v7, v2, v6
.LBB6_2076:                             ;   in Loop: Header=BB6_2057 Depth=2
	s_or_b64 exec, exec, s[62:63]
.LBB6_2077:                             ;   in Loop: Header=BB6_2057 Depth=2
	s_or_b64 exec, exec, s[22:23]
.LBB6_2078:                             ;   in Loop: Header=BB6_2057 Depth=2
	s_or_b64 exec, exec, s[24:25]
	v_and_b32_e32 v2, 0xff, v3
	v_cmp_ne_u16_e32 vcc, 0, v2
	s_and_saveexec_b64 s[22:23], vcc
	s_cbranch_execz .LBB6_2084
; %bb.2079:                             ;   in Loop: Header=BB6_2057 Depth=2
	v_cmp_ne_u16_e32 vcc, s75, v2
	v_bfrev_b32_e32 v24, 1
	s_and_saveexec_b64 s[24:25], vcc
	s_cbranch_execz .LBB6_2083
; %bb.2080:                             ;   in Loop: Header=BB6_2057 Depth=2
	v_and_b32_e32 v16, 0x7f, v3
	v_cmp_ne_u32_e32 vcc, s76, v16
	v_mov_b32_e32 v24, 0x7f800001
	s_and_saveexec_b64 s[62:63], vcc
	s_cbranch_execz .LBB6_2082
; %bb.2081:                             ;   in Loop: Header=BB6_2057 Depth=2
	v_and_b32_e32 v8, 7, v2
	v_ffbh_u32_e32 v6, v8
	v_min_u32_e32 v24, 32, v6
	v_subrev_u32_e32 v6, 28, v24
	v_lshlrev_b64 v[6:7], v6, v[2:3]
	v_lshrrev_b32_e32 v9, 3, v16
	v_sub_u32_e32 v2, 29, v24
	v_and_b32_e32 v6, 7, v6
	v_cmp_gt_u32_e32 vcc, 8, v16
	v_cndmask_b32_e32 v2, v9, v2, vcc
	v_cndmask_b32_e32 v6, v8, v6, vcc
	v_lshlrev_b32_e32 v3, 24, v3
	v_lshlrev_b32_e32 v6, 20, v6
	v_and_b32_e32 v3, 0x80000000, v3
	v_lshl_add_u32 v2, v2, 23, v26
	v_or3_b32 v24, v3, v2, v6
.LBB6_2082:                             ;   in Loop: Header=BB6_2057 Depth=2
	s_or_b64 exec, exec, s[62:63]
.LBB6_2083:                             ;   in Loop: Header=BB6_2057 Depth=2
	s_or_b64 exec, exec, s[24:25]
.LBB6_2084:                             ;   in Loop: Header=BB6_2057 Depth=2
	s_or_b64 exec, exec, s[22:23]
	v_max_f32_e32 v2, v24, v24
	v_max_f32_e32 v3, v54, v54
	v_min_f32_e32 v2, v3, v2
.LBB6_2085:                             ;   in Loop: Header=BB6_2057 Depth=2
	v_and_b32_sdwa v16, v2, s75 dst_sel:DWORD dst_unused:UNUSED_PAD src0_sel:BYTE_3 src1_sel:DWORD
	v_and_b32_e32 v6, 0x7f800000, v2
	v_mov_b32_e32 v7, v55
	v_and_b32_e32 v54, 0x7fffff, v2
	v_or_b32_e32 v24, 0x7e, v16
	v_cmp_ne_u64_e32 vcc, s[44:45], v[6:7]
	s_and_saveexec_b64 s[22:23], vcc
	s_xor_b64 s[24:25], exec, s[22:23]
	s_cbranch_execz .LBB6_2099
; %bb.2086:                             ;   in Loop: Header=BB6_2057 Depth=2
	v_and_b32_e32 v6, 0x7fffffff, v2
	v_mov_b32_e32 v7, v55
	v_cmp_gt_u64_e32 vcc, s[46:47], v[6:7]
	s_and_saveexec_b64 s[22:23], vcc
	s_xor_b64 s[62:63], exec, s[22:23]
	s_cbranch_execz .LBB6_2098
; %bb.2087:                             ;   in Loop: Header=BB6_2057 Depth=2
	v_cmp_ne_u32_e32 vcc, 0, v2
	v_mov_b32_e32 v24, 0
	s_and_saveexec_b64 s[64:65], vcc
	s_cbranch_execz .LBB6_2097
; %bb.2088:                             ;   in Loop: Header=BB6_2057 Depth=2
	v_bfe_u32 v2, v2, 23, 8
	v_sub_u32_e32 v6, 0x79, v2
	v_cmp_gt_u32_e32 vcc, s78, v2
	v_add_u32_e32 v3, 0xffffff81, v2
	v_cndmask_b32_e32 v6, 0, v6, vcc
	v_cmp_eq_u32_e32 vcc, 0, v2
	v_mov_b32_e32 v2, 0x78
	v_or_b32_e32 v7, 0x800000, v54
	v_cndmask_b32_e32 v32, v6, v2, vcc
	v_cndmask_b32_e32 v54, v7, v54, vcc
	v_add_u32_e32 v2, 20, v32
	v_cndmask_b32_e32 v24, v3, v33, vcc
	v_lshlrev_b64 v[2:3], v2, -1
	v_lshrrev_b64 v[8:9], v32, v[54:55]
	v_not_b32_e32 v3, v3
	v_not_b32_e32 v2, v2
	v_add_u32_e32 v6, 19, v32
	v_lshrrev_b32_e32 v33, 23, v8
	v_and_b32_e32 v3, 0, v3
	v_and_b32_e32 v2, v54, v2
	v_lshlrev_b64 v[6:7], v6, 1
	v_add3_u32 v38, v32, v24, v33
	v_bfe_u32 v32, v8, 20, 1
	v_add_u32_e32 v32, -1, v32
	v_cmp_eq_u64_e32 vcc, v[2:3], v[6:7]
	v_cndmask_b32_e32 v2, 0, v32, vcc
	v_add_u32_e32 v2, v2, v8
	v_and_b32_e32 v2, 0xfffff, v2
	v_add_co_u32_e32 v2, vcc, v2, v8
	v_add_u32_e32 v24, 6, v38
	v_addc_co_u32_e32 v3, vcc, 0, v9, vcc
	v_cmp_ne_u32_e32 vcc, 0, v24
                                        ; implicit-def: $vgpr54
	s_and_saveexec_b64 s[22:23], vcc
	s_xor_b64 s[22:23], exec, s[22:23]
; %bb.2089:                             ;   in Loop: Header=BB6_2057 Depth=2
	v_add_u32_e32 v6, 7, v38
	v_cmp_lt_u64_e32 vcc, s[50:51], v[2:3]
	v_cndmask_b32_e32 v54, v24, v6, vcc
	v_cndmask_b32_e64 v6, 0, 1, vcc
	v_lshrrev_b64 v[2:3], v6, v[2:3]
; %bb.2090:                             ;   in Loop: Header=BB6_2057 Depth=2
	s_andn2_saveexec_b64 s[22:23], s[22:23]
; %bb.2091:                             ;   in Loop: Header=BB6_2057 Depth=2
	v_bfe_u32 v54, v2, 23, 1
; %bb.2092:                             ;   in Loop: Header=BB6_2057 Depth=2
	s_or_b64 exec, exec, s[22:23]
	v_lshrrev_b64 v[2:3], 20, v[2:3]
	v_cmp_gt_i32_e32 vcc, 16, v54
	v_cndmask_b32_e32 v3, 0, v3, vcc
	v_cndmask_b32_e32 v2, 7, v2, vcc
	v_cmp_ne_u32_e32 vcc, 0, v54
	v_cmp_ne_u64_e64 s[22:23], 0, v[2:3]
	s_or_b64 s[22:23], vcc, s[22:23]
                                        ; implicit-def: $vgpr24
	s_mov_b64 vcc, exec
	s_and_b64 s[66:67], vcc, s[22:23]
	s_xor_b64 s[22:23], s[66:67], vcc
	v_mov_b32_e32 v33, 0xffffff82
	v_mov_b32_e32 v32, 0x78
	s_mov_b64 exec, s[66:67]
; %bb.2093:                             ;   in Loop: Header=BB6_2057 Depth=2
	v_min_i32_e32 v3, 15, v54
	v_lshl_or_b32 v3, v3, 3, v16
	v_and_or_b32 v24, v2, 7, v3
                                        ; implicit-def: $vgpr16
; %bb.2094:                             ;   in Loop: Header=BB6_2057 Depth=2
	s_andn2_saveexec_b64 s[22:23], s[22:23]
; %bb.2095:                             ;   in Loop: Header=BB6_2057 Depth=2
	v_mov_b32_e32 v24, v16
; %bb.2096:                             ;   in Loop: Header=BB6_2057 Depth=2
	s_or_b64 exec, exec, s[22:23]
.LBB6_2097:                             ;   in Loop: Header=BB6_2057 Depth=2
	s_or_b64 exec, exec, s[64:65]
.LBB6_2098:                             ;   in Loop: Header=BB6_2057 Depth=2
	s_andn2_saveexec_b64 s[22:23], s[62:63]
	s_or_b64 exec, exec, s[22:23]
                                        ; implicit-def: $vgpr2
.LBB6_2099:                             ;   in Loop: Header=BB6_2057 Depth=2
	s_andn2_saveexec_b64 s[22:23], s[24:25]
; %bb.2100:                             ;   in Loop: Header=BB6_2057 Depth=2
	v_or_b32_sdwa v2, v2, s76 dst_sel:DWORD dst_unused:UNUSED_PAD src0_sel:BYTE_3 src1_sel:DWORD
	v_cmp_eq_u64_e32 vcc, 0, v[54:55]
	v_cndmask_b32_e32 v24, v2, v24, vcc
; %bb.2101:                             ;   in Loop: Header=BB6_2057 Depth=2
	s_or_b64 exec, exec, s[22:23]
	v_and_b32_e32 v2, 0xff, v20
	v_cndmask_b32_e64 v3, 0, 1, s[58:59]
	v_cmp_ne_u32_e64 s[22:23], 1, v3
	s_andn2_b64 vcc, exec, s[58:59]
	v_cmp_ne_u16_e64 s[24:25], 0, v2
	s_cbranch_vccnz .LBB6_2115
; %bb.2102:                             ;   in Loop: Header=BB6_2057 Depth=2
	v_mov_b32_e32 v54, 0
	v_mov_b32_e32 v3, 0
	s_and_saveexec_b64 s[62:63], s[24:25]
	s_cbranch_execz .LBB6_2108
; %bb.2103:                             ;   in Loop: Header=BB6_2057 Depth=2
	v_cmp_ne_u16_e32 vcc, s75, v2
	v_bfrev_b32_e32 v3, 1
	s_and_saveexec_b64 s[64:65], vcc
	s_cbranch_execz .LBB6_2107
; %bb.2104:                             ;   in Loop: Header=BB6_2057 Depth=2
	v_and_b32_e32 v16, 0x7f, v20
	v_cmp_ne_u32_e32 vcc, s76, v16
	v_mov_b32_e32 v3, 0x7f800001
	s_and_saveexec_b64 s[66:67], vcc
	s_cbranch_execz .LBB6_2106
; %bb.2105:                             ;   in Loop: Header=BB6_2057 Depth=2
	v_and_b32_e32 v3, 7, v2
	v_ffbh_u32_e32 v6, v3
	v_min_u32_e32 v9, 32, v6
	v_subrev_u32_e32 v6, 28, v9
	v_lshlrev_b64 v[6:7], v6, v[2:3]
	v_lshrrev_b32_e32 v8, 3, v16
	v_sub_u32_e32 v7, 29, v9
	v_and_b32_e32 v6, 7, v6
	v_cmp_gt_u32_e32 vcc, 8, v16
	v_cndmask_b32_e32 v7, v8, v7, vcc
	v_cndmask_b32_e32 v3, v3, v6, vcc
	v_lshlrev_b32_e32 v6, 24, v20
	v_lshlrev_b32_e32 v3, 20, v3
	v_and_b32_e32 v6, 0x80000000, v6
	v_lshl_add_u32 v7, v7, 23, v26
	v_or3_b32 v3, v6, v7, v3
.LBB6_2106:                             ;   in Loop: Header=BB6_2057 Depth=2
	s_or_b64 exec, exec, s[66:67]
.LBB6_2107:                             ;   in Loop: Header=BB6_2057 Depth=2
	s_or_b64 exec, exec, s[64:65]
.LBB6_2108:                             ;   in Loop: Header=BB6_2057 Depth=2
	s_or_b64 exec, exec, s[62:63]
	v_and_b32_e32 v16, 0xff, v30
	v_cmp_ne_u16_e32 vcc, 0, v16
	s_and_saveexec_b64 s[62:63], vcc
	s_cbranch_execz .LBB6_2114
; %bb.2109:                             ;   in Loop: Header=BB6_2057 Depth=2
	v_cmp_ne_u16_e32 vcc, s75, v16
	v_bfrev_b32_e32 v54, 1
	s_and_saveexec_b64 s[64:65], vcc
	s_cbranch_execz .LBB6_2113
; %bb.2110:                             ;   in Loop: Header=BB6_2057 Depth=2
	v_and_b32_e32 v38, 0x7f, v30
	v_cmp_ne_u32_e32 vcc, s76, v38
	v_mov_b32_e32 v54, 0x7f800001
	s_and_saveexec_b64 s[66:67], vcc
	s_cbranch_execz .LBB6_2112
; %bb.2111:                             ;   in Loop: Header=BB6_2057 Depth=2
	v_and_b32_e32 v8, 7, v16
	v_ffbh_u32_e32 v6, v8
	v_min_u32_e32 v32, 32, v6
	v_subrev_u32_e32 v6, 28, v32
	v_lshlrev_b64 v[6:7], v6, v[16:17]
	v_lshrrev_b32_e32 v9, 3, v38
	v_sub_u32_e32 v7, 29, v32
	v_and_b32_e32 v6, 7, v6
	v_cmp_gt_u32_e32 vcc, 8, v38
	v_cndmask_b32_e32 v7, v9, v7, vcc
	v_cndmask_b32_e32 v6, v8, v6, vcc
	v_lshlrev_b32_e32 v8, 24, v30
	v_lshlrev_b32_e32 v6, 20, v6
	v_and_b32_e32 v8, 0x80000000, v8
	v_lshl_add_u32 v7, v7, 23, v26
	v_mov_b32_e32 v32, 0x78
	v_or3_b32 v54, v8, v7, v6
.LBB6_2112:                             ;   in Loop: Header=BB6_2057 Depth=2
	s_or_b64 exec, exec, s[66:67]
.LBB6_2113:                             ;   in Loop: Header=BB6_2057 Depth=2
	s_or_b64 exec, exec, s[64:65]
.LBB6_2114:                             ;   in Loop: Header=BB6_2057 Depth=2
	s_or_b64 exec, exec, s[62:63]
	v_max_f32_e32 v6, v54, v54
	v_max_f32_e32 v3, v3, v3
	;; [unrolled: 1-line block ×3, first 2 shown]
	s_branch .LBB6_2129
.LBB6_2115:                             ;   in Loop: Header=BB6_2057 Depth=2
                                        ; implicit-def: $vgpr3
	s_cbranch_execz .LBB6_2129
; %bb.2116:                             ;   in Loop: Header=BB6_2057 Depth=2
	v_mov_b32_e32 v16, 0
	v_mov_b32_e32 v3, 0
	s_and_saveexec_b64 s[62:63], s[24:25]
	s_cbranch_execz .LBB6_2122
; %bb.2117:                             ;   in Loop: Header=BB6_2057 Depth=2
	v_cmp_ne_u16_e32 vcc, s75, v2
	v_bfrev_b32_e32 v3, 1
	s_and_saveexec_b64 s[24:25], vcc
	s_cbranch_execz .LBB6_2121
; %bb.2118:                             ;   in Loop: Header=BB6_2057 Depth=2
	v_and_b32_e32 v38, 0x7f, v20
	v_cmp_ne_u32_e32 vcc, s76, v38
	v_mov_b32_e32 v3, 0x7f800001
	s_and_saveexec_b64 s[64:65], vcc
	s_cbranch_execz .LBB6_2120
; %bb.2119:                             ;   in Loop: Header=BB6_2057 Depth=2
	v_and_b32_e32 v6, 7, v2
	v_ffbh_u32_e32 v3, v6
	v_min_u32_e32 v8, 32, v3
	v_subrev_u32_e32 v3, 28, v8
	v_lshlrev_b64 v[2:3], v3, v[2:3]
	v_lshrrev_b32_e32 v7, 3, v38
	v_sub_u32_e32 v3, 29, v8
	v_and_b32_e32 v2, 7, v2
	v_cmp_gt_u32_e32 vcc, 8, v38
	v_cndmask_b32_e32 v3, v7, v3, vcc
	v_cndmask_b32_e32 v2, v6, v2, vcc
	v_lshlrev_b32_e32 v6, 24, v20
	v_lshlrev_b32_e32 v2, 20, v2
	v_and_b32_e32 v6, 0x80000000, v6
	v_lshl_add_u32 v3, v3, 23, v26
	v_or3_b32 v3, v6, v3, v2
.LBB6_2120:                             ;   in Loop: Header=BB6_2057 Depth=2
	s_or_b64 exec, exec, s[64:65]
.LBB6_2121:                             ;   in Loop: Header=BB6_2057 Depth=2
	s_or_b64 exec, exec, s[24:25]
.LBB6_2122:                             ;   in Loop: Header=BB6_2057 Depth=2
	s_or_b64 exec, exec, s[62:63]
	v_and_b32_e32 v2, 0xff, v30
	v_cmp_ne_u16_e32 vcc, 0, v2
	s_and_saveexec_b64 s[24:25], vcc
	s_cbranch_execz .LBB6_2128
; %bb.2123:                             ;   in Loop: Header=BB6_2057 Depth=2
	v_cmp_ne_u16_e32 vcc, s75, v2
	v_bfrev_b32_e32 v16, 1
	s_and_saveexec_b64 s[62:63], vcc
	s_cbranch_execz .LBB6_2127
; %bb.2124:                             ;   in Loop: Header=BB6_2057 Depth=2
	v_and_b32_e32 v20, 0x7f, v30
	v_cmp_ne_u32_e32 vcc, s76, v20
	v_mov_b32_e32 v16, 0x7f800001
	s_and_saveexec_b64 s[64:65], vcc
	s_cbranch_execz .LBB6_2126
; %bb.2125:                             ;   in Loop: Header=BB6_2057 Depth=2
	v_and_b32_e32 v8, 7, v2
	v_ffbh_u32_e32 v6, v8
	v_min_u32_e32 v16, 32, v6
	v_subrev_u32_e32 v6, 28, v16
	v_lshlrev_b64 v[6:7], v6, v[2:3]
	v_lshrrev_b32_e32 v9, 3, v20
	v_sub_u32_e32 v2, 29, v16
	v_and_b32_e32 v6, 7, v6
	v_cmp_gt_u32_e32 vcc, 8, v20
	v_cndmask_b32_e32 v2, v9, v2, vcc
	v_cndmask_b32_e32 v6, v8, v6, vcc
	v_lshlrev_b32_e32 v7, 24, v30
	v_lshlrev_b32_e32 v6, 20, v6
	v_and_b32_e32 v7, 0x80000000, v7
	v_lshl_add_u32 v2, v2, 23, v26
	v_or3_b32 v16, v7, v2, v6
.LBB6_2126:                             ;   in Loop: Header=BB6_2057 Depth=2
	s_or_b64 exec, exec, s[64:65]
.LBB6_2127:                             ;   in Loop: Header=BB6_2057 Depth=2
	s_or_b64 exec, exec, s[62:63]
.LBB6_2128:                             ;   in Loop: Header=BB6_2057 Depth=2
	s_or_b64 exec, exec, s[24:25]
	v_max_f32_e32 v2, v16, v16
	v_max_f32_e32 v3, v3, v3
	v_min_f32_e32 v3, v3, v2
.LBB6_2129:                             ;   in Loop: Header=BB6_2057 Depth=2
	v_and_b32_sdwa v16, v3, s75 dst_sel:DWORD dst_unused:UNUSED_PAD src0_sel:BYTE_3 src1_sel:DWORD
	v_and_b32_e32 v6, 0x7f800000, v3
	v_mov_b32_e32 v7, v55
	v_and_b32_e32 v54, 0x7fffff, v3
	v_or_b32_e32 v30, 0x7e, v16
	v_cmp_ne_u64_e32 vcc, s[44:45], v[6:7]
	s_and_saveexec_b64 s[24:25], vcc
	s_xor_b64 s[62:63], exec, s[24:25]
	s_cbranch_execz .LBB6_2143
; %bb.2130:                             ;   in Loop: Header=BB6_2057 Depth=2
	v_and_b32_e32 v6, 0x7fffffff, v3
	v_mov_b32_e32 v7, v55
	v_cmp_gt_u64_e32 vcc, s[46:47], v[6:7]
	s_and_saveexec_b64 s[24:25], vcc
	s_xor_b64 s[64:65], exec, s[24:25]
	s_cbranch_execz .LBB6_2142
; %bb.2131:                             ;   in Loop: Header=BB6_2057 Depth=2
	v_cmp_ne_u32_e32 vcc, 0, v3
	v_mov_b32_e32 v30, 0
	s_and_saveexec_b64 s[66:67], vcc
	s_cbranch_execz .LBB6_2141
; %bb.2132:                             ;   in Loop: Header=BB6_2057 Depth=2
	v_bfe_u32 v2, v3, 23, 8
	v_sub_u32_e32 v6, 0x79, v2
	v_cmp_gt_u32_e32 vcc, s78, v2
	v_cndmask_b32_e32 v6, 0, v6, vcc
	v_cmp_eq_u32_e32 vcc, 0, v2
	v_or_b32_e32 v7, 0x800000, v54
	v_cndmask_b32_e32 v30, v6, v32, vcc
	v_add_u32_e32 v3, 0xffffff81, v2
	v_cndmask_b32_e32 v54, v7, v54, vcc
	v_add_u32_e32 v2, 20, v30
	v_cndmask_b32_e32 v20, v3, v33, vcc
	v_lshlrev_b64 v[2:3], v2, -1
	v_lshrrev_b64 v[8:9], v30, v[54:55]
	v_not_b32_e32 v3, v3
	v_not_b32_e32 v2, v2
	v_add_u32_e32 v6, 19, v30
	v_lshrrev_b32_e32 v32, 23, v8
	v_and_b32_e32 v3, 0, v3
	v_and_b32_e32 v2, v54, v2
	v_lshlrev_b64 v[6:7], v6, 1
	v_add3_u32 v38, v30, v20, v32
	v_bfe_u32 v20, v8, 20, 1
	v_add_u32_e32 v20, -1, v20
	v_cmp_eq_u64_e32 vcc, v[2:3], v[6:7]
	v_cndmask_b32_e32 v2, 0, v20, vcc
	v_add_u32_e32 v2, v2, v8
	v_and_b32_e32 v2, 0xfffff, v2
	v_add_co_u32_e32 v2, vcc, v2, v8
	v_add_u32_e32 v30, 6, v38
	v_addc_co_u32_e32 v3, vcc, 0, v9, vcc
	v_cmp_ne_u32_e32 vcc, 0, v30
                                        ; implicit-def: $vgpr20
	s_and_saveexec_b64 s[24:25], vcc
	s_xor_b64 s[24:25], exec, s[24:25]
; %bb.2133:                             ;   in Loop: Header=BB6_2057 Depth=2
	v_add_u32_e32 v6, 7, v38
	v_cmp_lt_u64_e32 vcc, s[50:51], v[2:3]
	v_cndmask_b32_e32 v20, v30, v6, vcc
	v_cndmask_b32_e64 v6, 0, 1, vcc
	v_lshrrev_b64 v[2:3], v6, v[2:3]
; %bb.2134:                             ;   in Loop: Header=BB6_2057 Depth=2
	s_andn2_saveexec_b64 s[24:25], s[24:25]
; %bb.2135:                             ;   in Loop: Header=BB6_2057 Depth=2
	v_bfe_u32 v20, v2, 23, 1
; %bb.2136:                             ;   in Loop: Header=BB6_2057 Depth=2
	s_or_b64 exec, exec, s[24:25]
	v_lshrrev_b64 v[2:3], 20, v[2:3]
	v_cmp_gt_i32_e32 vcc, 16, v20
	v_cndmask_b32_e32 v3, 0, v3, vcc
	v_cndmask_b32_e32 v2, 7, v2, vcc
	v_cmp_ne_u32_e32 vcc, 0, v20
	v_cmp_ne_u64_e64 s[24:25], 0, v[2:3]
	s_or_b64 s[24:25], vcc, s[24:25]
                                        ; implicit-def: $vgpr30
	s_mov_b64 vcc, exec
	s_and_b64 s[80:81], vcc, s[24:25]
	s_xor_b64 s[24:25], s[80:81], vcc
	v_mov_b32_e32 v32, 0x78
	s_mov_b64 exec, s[80:81]
; %bb.2137:                             ;   in Loop: Header=BB6_2057 Depth=2
	v_min_i32_e32 v3, 15, v20
	v_lshl_or_b32 v3, v3, 3, v16
	v_and_or_b32 v30, v2, 7, v3
                                        ; implicit-def: $vgpr16
; %bb.2138:                             ;   in Loop: Header=BB6_2057 Depth=2
	s_andn2_saveexec_b64 s[24:25], s[24:25]
; %bb.2139:                             ;   in Loop: Header=BB6_2057 Depth=2
	v_mov_b32_e32 v30, v16
; %bb.2140:                             ;   in Loop: Header=BB6_2057 Depth=2
	s_or_b64 exec, exec, s[24:25]
.LBB6_2141:                             ;   in Loop: Header=BB6_2057 Depth=2
	s_or_b64 exec, exec, s[66:67]
.LBB6_2142:                             ;   in Loop: Header=BB6_2057 Depth=2
	s_andn2_saveexec_b64 s[24:25], s[64:65]
	s_or_b64 exec, exec, s[24:25]
                                        ; implicit-def: $vgpr3
.LBB6_2143:                             ;   in Loop: Header=BB6_2057 Depth=2
	s_andn2_saveexec_b64 s[24:25], s[62:63]
; %bb.2144:                             ;   in Loop: Header=BB6_2057 Depth=2
	v_or_b32_sdwa v2, v3, s76 dst_sel:DWORD dst_unused:UNUSED_PAD src0_sel:BYTE_3 src1_sel:DWORD
	v_cmp_eq_u64_e32 vcc, 0, v[54:55]
	v_cndmask_b32_e32 v30, v2, v30, vcc
; %bb.2145:                             ;   in Loop: Header=BB6_2057 Depth=2
	s_or_b64 exec, exec, s[24:25]
	v_and_b32_e32 v2, 0xff, v40
	s_and_b64 vcc, exec, s[22:23]
	v_cmp_ne_u16_e64 s[24:25], 0, v2
	s_cbranch_vccnz .LBB6_2159
; %bb.2146:                             ;   in Loop: Header=BB6_2057 Depth=2
	v_mov_b32_e32 v20, 0
	v_mov_b32_e32 v3, 0
	s_and_saveexec_b64 s[62:63], s[24:25]
	s_cbranch_execz .LBB6_2152
; %bb.2147:                             ;   in Loop: Header=BB6_2057 Depth=2
	v_cmp_ne_u16_e32 vcc, s75, v2
	v_bfrev_b32_e32 v3, 1
	s_and_saveexec_b64 s[64:65], vcc
	s_cbranch_execz .LBB6_2151
; %bb.2148:                             ;   in Loop: Header=BB6_2057 Depth=2
	v_and_b32_e32 v16, 0x7f, v40
	v_cmp_ne_u32_e32 vcc, s76, v16
	v_mov_b32_e32 v3, 0x7f800001
	s_and_saveexec_b64 s[66:67], vcc
	s_cbranch_execz .LBB6_2150
; %bb.2149:                             ;   in Loop: Header=BB6_2057 Depth=2
	v_and_b32_e32 v3, 7, v2
	v_ffbh_u32_e32 v6, v3
	v_min_u32_e32 v9, 32, v6
	v_subrev_u32_e32 v6, 28, v9
	v_lshlrev_b64 v[6:7], v6, v[2:3]
	v_lshrrev_b32_e32 v8, 3, v16
	v_sub_u32_e32 v7, 29, v9
	v_and_b32_e32 v6, 7, v6
	v_cmp_gt_u32_e32 vcc, 8, v16
	v_cndmask_b32_e32 v7, v8, v7, vcc
	v_cndmask_b32_e32 v3, v3, v6, vcc
	v_lshlrev_b32_e32 v6, 24, v40
	v_lshlrev_b32_e32 v3, 20, v3
	v_and_b32_e32 v6, 0x80000000, v6
	v_lshl_add_u32 v7, v7, 23, v26
	v_or3_b32 v3, v6, v7, v3
.LBB6_2150:                             ;   in Loop: Header=BB6_2057 Depth=2
	s_or_b64 exec, exec, s[66:67]
.LBB6_2151:                             ;   in Loop: Header=BB6_2057 Depth=2
	s_or_b64 exec, exec, s[64:65]
.LBB6_2152:                             ;   in Loop: Header=BB6_2057 Depth=2
	s_or_b64 exec, exec, s[62:63]
	v_and_b32_e32 v16, 0xff, v35
	v_cmp_ne_u16_e32 vcc, 0, v16
	s_and_saveexec_b64 s[62:63], vcc
	s_cbranch_execz .LBB6_2158
; %bb.2153:                             ;   in Loop: Header=BB6_2057 Depth=2
	v_cmp_ne_u16_e32 vcc, s75, v16
	v_bfrev_b32_e32 v20, 1
	s_and_saveexec_b64 s[64:65], vcc
	s_cbranch_execz .LBB6_2157
; %bb.2154:                             ;   in Loop: Header=BB6_2057 Depth=2
	v_and_b32_e32 v38, 0x7f, v35
	v_cmp_ne_u32_e32 vcc, s76, v38
	v_mov_b32_e32 v20, 0x7f800001
	s_and_saveexec_b64 s[66:67], vcc
	s_cbranch_execz .LBB6_2156
; %bb.2155:                             ;   in Loop: Header=BB6_2057 Depth=2
	v_and_b32_e32 v8, 7, v16
	v_ffbh_u32_e32 v6, v8
	v_min_u32_e32 v20, 32, v6
	v_subrev_u32_e32 v6, 28, v20
	v_lshlrev_b64 v[6:7], v6, v[16:17]
	v_lshrrev_b32_e32 v9, 3, v38
	v_sub_u32_e32 v7, 29, v20
	v_and_b32_e32 v6, 7, v6
	v_cmp_gt_u32_e32 vcc, 8, v38
	v_cndmask_b32_e32 v7, v9, v7, vcc
	v_cndmask_b32_e32 v6, v8, v6, vcc
	v_lshlrev_b32_e32 v8, 24, v35
	v_lshlrev_b32_e32 v6, 20, v6
	v_and_b32_e32 v8, 0x80000000, v8
	v_lshl_add_u32 v7, v7, 23, v26
	v_or3_b32 v20, v8, v7, v6
.LBB6_2156:                             ;   in Loop: Header=BB6_2057 Depth=2
	s_or_b64 exec, exec, s[66:67]
.LBB6_2157:                             ;   in Loop: Header=BB6_2057 Depth=2
	s_or_b64 exec, exec, s[64:65]
.LBB6_2158:                             ;   in Loop: Header=BB6_2057 Depth=2
	s_or_b64 exec, exec, s[62:63]
	v_max_f32_e32 v6, v20, v20
	v_max_f32_e32 v3, v3, v3
	;; [unrolled: 1-line block ×3, first 2 shown]
	s_branch .LBB6_2173
.LBB6_2159:                             ;   in Loop: Header=BB6_2057 Depth=2
                                        ; implicit-def: $vgpr3
	s_cbranch_execz .LBB6_2173
; %bb.2160:                             ;   in Loop: Header=BB6_2057 Depth=2
	v_mov_b32_e32 v16, 0
	v_mov_b32_e32 v3, 0
	s_and_saveexec_b64 s[62:63], s[24:25]
	s_cbranch_execz .LBB6_2166
; %bb.2161:                             ;   in Loop: Header=BB6_2057 Depth=2
	v_cmp_ne_u16_e32 vcc, s75, v2
	v_bfrev_b32_e32 v3, 1
	s_and_saveexec_b64 s[24:25], vcc
	s_cbranch_execz .LBB6_2165
; %bb.2162:                             ;   in Loop: Header=BB6_2057 Depth=2
	v_and_b32_e32 v20, 0x7f, v40
	v_cmp_ne_u32_e32 vcc, s76, v20
	v_mov_b32_e32 v3, 0x7f800001
	s_and_saveexec_b64 s[64:65], vcc
	s_cbranch_execz .LBB6_2164
; %bb.2163:                             ;   in Loop: Header=BB6_2057 Depth=2
	v_and_b32_e32 v6, 7, v2
	v_ffbh_u32_e32 v3, v6
	v_min_u32_e32 v8, 32, v3
	v_subrev_u32_e32 v3, 28, v8
	v_lshlrev_b64 v[2:3], v3, v[2:3]
	v_lshrrev_b32_e32 v7, 3, v20
	v_sub_u32_e32 v3, 29, v8
	v_and_b32_e32 v2, 7, v2
	v_cmp_gt_u32_e32 vcc, 8, v20
	v_cndmask_b32_e32 v3, v7, v3, vcc
	v_cndmask_b32_e32 v2, v6, v2, vcc
	v_lshlrev_b32_e32 v6, 24, v40
	v_lshlrev_b32_e32 v2, 20, v2
	v_and_b32_e32 v6, 0x80000000, v6
	v_lshl_add_u32 v3, v3, 23, v26
	v_or3_b32 v3, v6, v3, v2
.LBB6_2164:                             ;   in Loop: Header=BB6_2057 Depth=2
	s_or_b64 exec, exec, s[64:65]
.LBB6_2165:                             ;   in Loop: Header=BB6_2057 Depth=2
	s_or_b64 exec, exec, s[24:25]
.LBB6_2166:                             ;   in Loop: Header=BB6_2057 Depth=2
	s_or_b64 exec, exec, s[62:63]
	v_and_b32_e32 v2, 0xff, v35
	v_cmp_ne_u16_e32 vcc, 0, v2
	s_and_saveexec_b64 s[24:25], vcc
	s_cbranch_execz .LBB6_2172
; %bb.2167:                             ;   in Loop: Header=BB6_2057 Depth=2
	v_cmp_ne_u16_e32 vcc, s75, v2
	v_bfrev_b32_e32 v16, 1
	s_and_saveexec_b64 s[62:63], vcc
	s_cbranch_execz .LBB6_2171
; %bb.2168:                             ;   in Loop: Header=BB6_2057 Depth=2
	v_and_b32_e32 v20, 0x7f, v35
	v_cmp_ne_u32_e32 vcc, s76, v20
	v_mov_b32_e32 v16, 0x7f800001
	s_and_saveexec_b64 s[64:65], vcc
	s_cbranch_execz .LBB6_2170
; %bb.2169:                             ;   in Loop: Header=BB6_2057 Depth=2
	v_and_b32_e32 v8, 7, v2
	v_ffbh_u32_e32 v6, v8
	v_min_u32_e32 v16, 32, v6
	v_subrev_u32_e32 v6, 28, v16
	v_lshlrev_b64 v[6:7], v6, v[2:3]
	v_lshrrev_b32_e32 v9, 3, v20
	v_sub_u32_e32 v2, 29, v16
	v_and_b32_e32 v6, 7, v6
	v_cmp_gt_u32_e32 vcc, 8, v20
	v_cndmask_b32_e32 v2, v9, v2, vcc
	v_cndmask_b32_e32 v6, v8, v6, vcc
	v_lshlrev_b32_e32 v7, 24, v35
	v_lshlrev_b32_e32 v6, 20, v6
	v_and_b32_e32 v7, 0x80000000, v7
	v_lshl_add_u32 v2, v2, 23, v26
	v_or3_b32 v16, v7, v2, v6
.LBB6_2170:                             ;   in Loop: Header=BB6_2057 Depth=2
	s_or_b64 exec, exec, s[64:65]
.LBB6_2171:                             ;   in Loop: Header=BB6_2057 Depth=2
	s_or_b64 exec, exec, s[62:63]
.LBB6_2172:                             ;   in Loop: Header=BB6_2057 Depth=2
	s_or_b64 exec, exec, s[24:25]
	v_max_f32_e32 v2, v16, v16
	v_max_f32_e32 v3, v3, v3
	v_min_f32_e32 v3, v3, v2
.LBB6_2173:                             ;   in Loop: Header=BB6_2057 Depth=2
	v_and_b32_sdwa v16, v3, s75 dst_sel:DWORD dst_unused:UNUSED_PAD src0_sel:BYTE_3 src1_sel:DWORD
	v_and_b32_e32 v6, 0x7f800000, v3
	v_mov_b32_e32 v7, v55
	v_and_b32_e32 v54, 0x7fffff, v3
	v_or_b32_e32 v35, 0x7e, v16
	v_cmp_ne_u64_e32 vcc, s[44:45], v[6:7]
	s_and_saveexec_b64 s[24:25], vcc
	s_xor_b64 s[62:63], exec, s[24:25]
	s_cbranch_execz .LBB6_2187
; %bb.2174:                             ;   in Loop: Header=BB6_2057 Depth=2
	v_and_b32_e32 v6, 0x7fffffff, v3
	v_mov_b32_e32 v7, v55
	v_cmp_gt_u64_e32 vcc, s[46:47], v[6:7]
	s_and_saveexec_b64 s[24:25], vcc
	s_xor_b64 s[64:65], exec, s[24:25]
	s_cbranch_execz .LBB6_2186
; %bb.2175:                             ;   in Loop: Header=BB6_2057 Depth=2
	v_cmp_ne_u32_e32 vcc, 0, v3
	v_mov_b32_e32 v35, 0
	s_and_saveexec_b64 s[66:67], vcc
	s_cbranch_execz .LBB6_2185
; %bb.2176:                             ;   in Loop: Header=BB6_2057 Depth=2
	v_bfe_u32 v2, v3, 23, 8
	v_sub_u32_e32 v6, 0x79, v2
	v_cmp_gt_u32_e32 vcc, s78, v2
	v_add_u32_e32 v3, 0xffffff81, v2
	v_cndmask_b32_e32 v6, 0, v6, vcc
	v_cmp_eq_u32_e32 vcc, 0, v2
	v_mov_b32_e32 v2, 0x78
	v_or_b32_e32 v7, 0x800000, v54
	v_cndmask_b32_e32 v32, v6, v2, vcc
	v_cndmask_b32_e32 v54, v7, v54, vcc
	v_add_u32_e32 v2, 20, v32
	v_cndmask_b32_e32 v20, v3, v33, vcc
	v_lshlrev_b64 v[2:3], v2, -1
	v_lshrrev_b64 v[8:9], v32, v[54:55]
	v_not_b32_e32 v3, v3
	v_not_b32_e32 v2, v2
	v_add_u32_e32 v6, 19, v32
	v_lshrrev_b32_e32 v33, 23, v8
	v_and_b32_e32 v3, 0, v3
	v_and_b32_e32 v2, v54, v2
	v_lshlrev_b64 v[6:7], v6, 1
	v_add3_u32 v38, v32, v20, v33
	v_bfe_u32 v20, v8, 20, 1
	v_add_u32_e32 v20, -1, v20
	v_cmp_eq_u64_e32 vcc, v[2:3], v[6:7]
	v_cndmask_b32_e32 v2, 0, v20, vcc
	v_add_u32_e32 v2, v2, v8
	v_and_b32_e32 v2, 0xfffff, v2
	v_add_co_u32_e32 v2, vcc, v2, v8
	v_add_u32_e32 v35, 6, v38
	v_addc_co_u32_e32 v3, vcc, 0, v9, vcc
	v_cmp_ne_u32_e32 vcc, 0, v35
                                        ; implicit-def: $vgpr20
	s_and_saveexec_b64 s[24:25], vcc
	s_xor_b64 s[24:25], exec, s[24:25]
; %bb.2177:                             ;   in Loop: Header=BB6_2057 Depth=2
	v_add_u32_e32 v6, 7, v38
	v_cmp_lt_u64_e32 vcc, s[50:51], v[2:3]
	v_cndmask_b32_e32 v20, v35, v6, vcc
	v_cndmask_b32_e64 v6, 0, 1, vcc
	v_lshrrev_b64 v[2:3], v6, v[2:3]
; %bb.2178:                             ;   in Loop: Header=BB6_2057 Depth=2
	s_andn2_saveexec_b64 s[24:25], s[24:25]
; %bb.2179:                             ;   in Loop: Header=BB6_2057 Depth=2
	v_bfe_u32 v20, v2, 23, 1
; %bb.2180:                             ;   in Loop: Header=BB6_2057 Depth=2
	s_or_b64 exec, exec, s[24:25]
	v_lshrrev_b64 v[2:3], 20, v[2:3]
	v_cmp_gt_i32_e32 vcc, 16, v20
	v_cndmask_b32_e32 v3, 0, v3, vcc
	v_cndmask_b32_e32 v2, 7, v2, vcc
	v_cmp_ne_u32_e32 vcc, 0, v20
	v_cmp_ne_u64_e64 s[24:25], 0, v[2:3]
	s_or_b64 s[24:25], vcc, s[24:25]
                                        ; implicit-def: $vgpr35
	s_mov_b64 vcc, exec
	s_and_b64 s[80:81], vcc, s[24:25]
	s_xor_b64 s[24:25], s[80:81], vcc
	v_mov_b32_e32 v33, 0xffffff82
	v_mov_b32_e32 v32, 0x78
	s_mov_b64 exec, s[80:81]
; %bb.2181:                             ;   in Loop: Header=BB6_2057 Depth=2
	v_min_i32_e32 v3, 15, v20
	v_lshl_or_b32 v3, v3, 3, v16
	v_and_or_b32 v35, v2, 7, v3
                                        ; implicit-def: $vgpr16
; %bb.2182:                             ;   in Loop: Header=BB6_2057 Depth=2
	s_andn2_saveexec_b64 s[24:25], s[24:25]
; %bb.2183:                             ;   in Loop: Header=BB6_2057 Depth=2
	v_mov_b32_e32 v35, v16
; %bb.2184:                             ;   in Loop: Header=BB6_2057 Depth=2
	s_or_b64 exec, exec, s[24:25]
.LBB6_2185:                             ;   in Loop: Header=BB6_2057 Depth=2
	s_or_b64 exec, exec, s[66:67]
.LBB6_2186:                             ;   in Loop: Header=BB6_2057 Depth=2
	s_andn2_saveexec_b64 s[24:25], s[64:65]
	s_or_b64 exec, exec, s[24:25]
                                        ; implicit-def: $vgpr3
.LBB6_2187:                             ;   in Loop: Header=BB6_2057 Depth=2
	s_andn2_saveexec_b64 s[24:25], s[62:63]
; %bb.2188:                             ;   in Loop: Header=BB6_2057 Depth=2
	v_or_b32_sdwa v2, v3, s76 dst_sel:DWORD dst_unused:UNUSED_PAD src0_sel:BYTE_3 src1_sel:DWORD
	v_cmp_eq_u64_e32 vcc, 0, v[54:55]
	v_cndmask_b32_e32 v35, v2, v35, vcc
; %bb.2189:                             ;   in Loop: Header=BB6_2057 Depth=2
	s_or_b64 exec, exec, s[24:25]
	v_and_b32_e32 v2, 0xff, v5
	s_and_b64 vcc, exec, s[22:23]
	v_cmp_ne_u16_e64 s[24:25], 0, v2
	s_cbranch_vccnz .LBB6_2203
; %bb.2190:                             ;   in Loop: Header=BB6_2057 Depth=2
	v_mov_b32_e32 v20, 0
	v_mov_b32_e32 v3, 0
	s_and_saveexec_b64 s[62:63], s[24:25]
	s_cbranch_execz .LBB6_2196
; %bb.2191:                             ;   in Loop: Header=BB6_2057 Depth=2
	v_cmp_ne_u16_e32 vcc, s75, v2
	v_bfrev_b32_e32 v3, 1
	s_and_saveexec_b64 s[64:65], vcc
	s_cbranch_execz .LBB6_2195
; %bb.2192:                             ;   in Loop: Header=BB6_2057 Depth=2
	v_and_b32_e32 v16, 0x7f, v5
	v_cmp_ne_u32_e32 vcc, s76, v16
	v_mov_b32_e32 v3, 0x7f800001
	s_and_saveexec_b64 s[66:67], vcc
	s_cbranch_execz .LBB6_2194
; %bb.2193:                             ;   in Loop: Header=BB6_2057 Depth=2
	v_and_b32_e32 v3, 7, v2
	v_ffbh_u32_e32 v6, v3
	v_min_u32_e32 v9, 32, v6
	v_subrev_u32_e32 v6, 28, v9
	v_lshlrev_b64 v[6:7], v6, v[2:3]
	v_lshrrev_b32_e32 v8, 3, v16
	v_sub_u32_e32 v7, 29, v9
	v_and_b32_e32 v6, 7, v6
	v_cmp_gt_u32_e32 vcc, 8, v16
	v_cndmask_b32_e32 v7, v8, v7, vcc
	v_cndmask_b32_e32 v3, v3, v6, vcc
	v_lshlrev_b32_e32 v6, 24, v5
	v_lshlrev_b32_e32 v3, 20, v3
	v_and_b32_e32 v6, 0x80000000, v6
	v_lshl_add_u32 v7, v7, 23, v26
	v_or3_b32 v3, v6, v7, v3
.LBB6_2194:                             ;   in Loop: Header=BB6_2057 Depth=2
	s_or_b64 exec, exec, s[66:67]
.LBB6_2195:                             ;   in Loop: Header=BB6_2057 Depth=2
	s_or_b64 exec, exec, s[64:65]
.LBB6_2196:                             ;   in Loop: Header=BB6_2057 Depth=2
	s_or_b64 exec, exec, s[62:63]
	v_and_b32_e32 v16, 0xff, v4
	v_cmp_ne_u16_e32 vcc, 0, v16
	s_and_saveexec_b64 s[62:63], vcc
	s_cbranch_execz .LBB6_2202
; %bb.2197:                             ;   in Loop: Header=BB6_2057 Depth=2
	v_cmp_ne_u16_e32 vcc, s75, v16
	v_bfrev_b32_e32 v20, 1
	s_and_saveexec_b64 s[64:65], vcc
	s_cbranch_execz .LBB6_2201
; %bb.2198:                             ;   in Loop: Header=BB6_2057 Depth=2
	v_and_b32_e32 v38, 0x7f, v4
	v_cmp_ne_u32_e32 vcc, s76, v38
	v_mov_b32_e32 v20, 0x7f800001
	s_and_saveexec_b64 s[66:67], vcc
	s_cbranch_execz .LBB6_2200
; %bb.2199:                             ;   in Loop: Header=BB6_2057 Depth=2
	v_and_b32_e32 v8, 7, v16
	v_ffbh_u32_e32 v6, v8
	v_min_u32_e32 v20, 32, v6
	v_subrev_u32_e32 v6, 28, v20
	v_lshlrev_b64 v[6:7], v6, v[16:17]
	v_lshrrev_b32_e32 v9, 3, v38
	v_sub_u32_e32 v7, 29, v20
	v_and_b32_e32 v6, 7, v6
	v_cmp_gt_u32_e32 vcc, 8, v38
	v_cndmask_b32_e32 v7, v9, v7, vcc
	v_cndmask_b32_e32 v6, v8, v6, vcc
	v_lshlrev_b32_e32 v8, 24, v4
	v_lshlrev_b32_e32 v6, 20, v6
	v_and_b32_e32 v8, 0x80000000, v8
	v_lshl_add_u32 v7, v7, 23, v26
	v_or3_b32 v20, v8, v7, v6
.LBB6_2200:                             ;   in Loop: Header=BB6_2057 Depth=2
	s_or_b64 exec, exec, s[66:67]
.LBB6_2201:                             ;   in Loop: Header=BB6_2057 Depth=2
	s_or_b64 exec, exec, s[64:65]
.LBB6_2202:                             ;   in Loop: Header=BB6_2057 Depth=2
	s_or_b64 exec, exec, s[62:63]
	v_max_f32_e32 v6, v20, v20
	v_max_f32_e32 v3, v3, v3
	;; [unrolled: 1-line block ×3, first 2 shown]
	s_branch .LBB6_2217
.LBB6_2203:                             ;   in Loop: Header=BB6_2057 Depth=2
                                        ; implicit-def: $vgpr3
	s_cbranch_execz .LBB6_2217
; %bb.2204:                             ;   in Loop: Header=BB6_2057 Depth=2
	v_mov_b32_e32 v16, 0
	v_mov_b32_e32 v3, 0
	s_and_saveexec_b64 s[62:63], s[24:25]
	s_cbranch_execz .LBB6_2210
; %bb.2205:                             ;   in Loop: Header=BB6_2057 Depth=2
	v_cmp_ne_u16_e32 vcc, s75, v2
	v_bfrev_b32_e32 v3, 1
	s_and_saveexec_b64 s[24:25], vcc
	s_cbranch_execz .LBB6_2209
; %bb.2206:                             ;   in Loop: Header=BB6_2057 Depth=2
	v_and_b32_e32 v20, 0x7f, v5
	v_cmp_ne_u32_e32 vcc, s76, v20
	v_mov_b32_e32 v3, 0x7f800001
	s_and_saveexec_b64 s[64:65], vcc
	s_cbranch_execz .LBB6_2208
; %bb.2207:                             ;   in Loop: Header=BB6_2057 Depth=2
	v_and_b32_e32 v6, 7, v2
	v_ffbh_u32_e32 v3, v6
	v_min_u32_e32 v8, 32, v3
	v_subrev_u32_e32 v3, 28, v8
	v_lshlrev_b64 v[2:3], v3, v[2:3]
	v_lshrrev_b32_e32 v7, 3, v20
	v_sub_u32_e32 v3, 29, v8
	v_and_b32_e32 v2, 7, v2
	v_cmp_gt_u32_e32 vcc, 8, v20
	v_cndmask_b32_e32 v3, v7, v3, vcc
	v_cndmask_b32_e32 v2, v6, v2, vcc
	v_lshlrev_b32_e32 v5, 24, v5
	v_lshlrev_b32_e32 v2, 20, v2
	v_and_b32_e32 v5, 0x80000000, v5
	v_lshl_add_u32 v3, v3, 23, v26
	v_or3_b32 v3, v5, v3, v2
.LBB6_2208:                             ;   in Loop: Header=BB6_2057 Depth=2
	s_or_b64 exec, exec, s[64:65]
.LBB6_2209:                             ;   in Loop: Header=BB6_2057 Depth=2
	s_or_b64 exec, exec, s[24:25]
.LBB6_2210:                             ;   in Loop: Header=BB6_2057 Depth=2
	s_or_b64 exec, exec, s[62:63]
	v_and_b32_e32 v2, 0xff, v4
	v_cmp_ne_u16_e32 vcc, 0, v2
	s_and_saveexec_b64 s[24:25], vcc
	s_cbranch_execz .LBB6_2216
; %bb.2211:                             ;   in Loop: Header=BB6_2057 Depth=2
	v_cmp_ne_u16_e32 vcc, s75, v2
	v_bfrev_b32_e32 v16, 1
	s_and_saveexec_b64 s[62:63], vcc
	s_cbranch_execz .LBB6_2215
; %bb.2212:                             ;   in Loop: Header=BB6_2057 Depth=2
	v_and_b32_e32 v5, 0x7f, v4
	v_cmp_ne_u32_e32 vcc, s76, v5
	v_mov_b32_e32 v16, 0x7f800001
	s_and_saveexec_b64 s[64:65], vcc
	s_cbranch_execz .LBB6_2214
; %bb.2213:                             ;   in Loop: Header=BB6_2057 Depth=2
	v_and_b32_e32 v8, 7, v2
	v_ffbh_u32_e32 v6, v8
	v_min_u32_e32 v16, 32, v6
	v_subrev_u32_e32 v6, 28, v16
	v_lshlrev_b64 v[6:7], v6, v[2:3]
	v_lshrrev_b32_e32 v9, 3, v5
	v_sub_u32_e32 v2, 29, v16
	v_and_b32_e32 v6, 7, v6
	v_cmp_gt_u32_e32 vcc, 8, v5
	v_cndmask_b32_e32 v2, v9, v2, vcc
	v_cndmask_b32_e32 v5, v8, v6, vcc
	v_lshlrev_b32_e32 v4, 24, v4
	v_lshlrev_b32_e32 v5, 20, v5
	v_and_b32_e32 v4, 0x80000000, v4
	v_lshl_add_u32 v2, v2, 23, v26
	v_or3_b32 v16, v4, v2, v5
.LBB6_2214:                             ;   in Loop: Header=BB6_2057 Depth=2
	s_or_b64 exec, exec, s[64:65]
.LBB6_2215:                             ;   in Loop: Header=BB6_2057 Depth=2
	s_or_b64 exec, exec, s[62:63]
.LBB6_2216:                             ;   in Loop: Header=BB6_2057 Depth=2
	s_or_b64 exec, exec, s[24:25]
	v_max_f32_e32 v2, v16, v16
	v_max_f32_e32 v3, v3, v3
	v_min_f32_e32 v3, v3, v2
.LBB6_2217:                             ;   in Loop: Header=BB6_2057 Depth=2
	v_and_b32_sdwa v4, v3, s75 dst_sel:DWORD dst_unused:UNUSED_PAD src0_sel:BYTE_3 src1_sel:DWORD
	v_and_b32_e32 v6, 0x7f800000, v3
	v_mov_b32_e32 v7, v55
	v_and_b32_e32 v54, 0x7fffff, v3
	v_or_b32_e32 v40, 0x7e, v4
	v_cmp_ne_u64_e32 vcc, s[44:45], v[6:7]
	s_and_saveexec_b64 s[24:25], vcc
	s_xor_b64 s[62:63], exec, s[24:25]
	s_cbranch_execz .LBB6_2231
; %bb.2218:                             ;   in Loop: Header=BB6_2057 Depth=2
	v_and_b32_e32 v6, 0x7fffffff, v3
	v_mov_b32_e32 v7, v55
	v_cmp_gt_u64_e32 vcc, s[46:47], v[6:7]
	s_and_saveexec_b64 s[24:25], vcc
	s_xor_b64 s[64:65], exec, s[24:25]
	s_cbranch_execz .LBB6_2230
; %bb.2219:                             ;   in Loop: Header=BB6_2057 Depth=2
	v_cmp_ne_u32_e32 vcc, 0, v3
	v_mov_b32_e32 v40, 0
	s_and_saveexec_b64 s[66:67], vcc
	s_cbranch_execz .LBB6_2229
; %bb.2220:                             ;   in Loop: Header=BB6_2057 Depth=2
	v_bfe_u32 v2, v3, 23, 8
	v_sub_u32_e32 v5, 0x79, v2
	v_cmp_gt_u32_e32 vcc, s78, v2
	v_cndmask_b32_e32 v5, 0, v5, vcc
	v_cmp_eq_u32_e32 vcc, 0, v2
	v_or_b32_e32 v6, 0x800000, v54
	v_cndmask_b32_e32 v5, v5, v32, vcc
	v_add_u32_e32 v3, 0xffffff81, v2
	v_cndmask_b32_e32 v54, v6, v54, vcc
	v_add_u32_e32 v2, 20, v5
	v_cndmask_b32_e32 v16, v3, v33, vcc
	v_lshlrev_b64 v[2:3], v2, -1
	v_lshrrev_b64 v[8:9], v5, v[54:55]
	v_not_b32_e32 v3, v3
	v_not_b32_e32 v2, v2
	v_add_u32_e32 v6, 19, v5
	v_lshrrev_b32_e32 v20, 23, v8
	v_and_b32_e32 v3, 0, v3
	v_and_b32_e32 v2, v54, v2
	v_lshlrev_b64 v[6:7], v6, 1
	v_add3_u32 v20, v5, v16, v20
	v_bfe_u32 v5, v8, 20, 1
	v_add_u32_e32 v5, -1, v5
	v_cmp_eq_u64_e32 vcc, v[2:3], v[6:7]
	v_cndmask_b32_e32 v2, 0, v5, vcc
	v_add_u32_e32 v2, v2, v8
	v_and_b32_e32 v2, 0xfffff, v2
	v_add_co_u32_e32 v2, vcc, v2, v8
	v_add_u32_e32 v16, 6, v20
	v_addc_co_u32_e32 v3, vcc, 0, v9, vcc
	v_cmp_ne_u32_e32 vcc, 0, v16
                                        ; implicit-def: $vgpr5
	s_and_saveexec_b64 s[24:25], vcc
	s_xor_b64 s[24:25], exec, s[24:25]
; %bb.2221:                             ;   in Loop: Header=BB6_2057 Depth=2
	v_cmp_lt_u64_e32 vcc, s[50:51], v[2:3]
	v_add_u32_e32 v5, 7, v20
	v_cndmask_b32_e64 v6, 0, 1, vcc
	v_cndmask_b32_e32 v5, v16, v5, vcc
	v_lshrrev_b64 v[2:3], v6, v[2:3]
; %bb.2222:                             ;   in Loop: Header=BB6_2057 Depth=2
	s_andn2_saveexec_b64 s[24:25], s[24:25]
; %bb.2223:                             ;   in Loop: Header=BB6_2057 Depth=2
	v_bfe_u32 v5, v2, 23, 1
; %bb.2224:                             ;   in Loop: Header=BB6_2057 Depth=2
	s_or_b64 exec, exec, s[24:25]
	v_lshrrev_b64 v[2:3], 20, v[2:3]
	v_cmp_gt_i32_e32 vcc, 16, v5
	v_cndmask_b32_e32 v3, 0, v3, vcc
	v_cndmask_b32_e32 v2, 7, v2, vcc
	v_cmp_ne_u32_e32 vcc, 0, v5
	v_cmp_ne_u64_e64 s[24:25], 0, v[2:3]
	s_or_b64 s[24:25], vcc, s[24:25]
                                        ; implicit-def: $vgpr40
	s_and_saveexec_b64 vcc, s[24:25]
	s_xor_b64 s[24:25], exec, vcc
; %bb.2225:                             ;   in Loop: Header=BB6_2057 Depth=2
	v_min_i32_e32 v3, 15, v5
	v_lshl_or_b32 v3, v3, 3, v4
	v_and_or_b32 v40, v2, 7, v3
                                        ; implicit-def: $vgpr4
; %bb.2226:                             ;   in Loop: Header=BB6_2057 Depth=2
	s_andn2_saveexec_b64 s[24:25], s[24:25]
; %bb.2227:                             ;   in Loop: Header=BB6_2057 Depth=2
	v_mov_b32_e32 v40, v4
; %bb.2228:                             ;   in Loop: Header=BB6_2057 Depth=2
	s_or_b64 exec, exec, s[24:25]
.LBB6_2229:                             ;   in Loop: Header=BB6_2057 Depth=2
	s_or_b64 exec, exec, s[66:67]
.LBB6_2230:                             ;   in Loop: Header=BB6_2057 Depth=2
	s_andn2_saveexec_b64 s[24:25], s[64:65]
	s_or_b64 exec, exec, s[24:25]
                                        ; implicit-def: $vgpr3
.LBB6_2231:                             ;   in Loop: Header=BB6_2057 Depth=2
	s_andn2_saveexec_b64 s[24:25], s[62:63]
; %bb.2232:                             ;   in Loop: Header=BB6_2057 Depth=2
	v_or_b32_sdwa v2, v3, s76 dst_sel:DWORD dst_unused:UNUSED_PAD src0_sel:BYTE_3 src1_sel:DWORD
	v_cmp_eq_u64_e32 vcc, 0, v[54:55]
	v_cndmask_b32_e32 v40, v2, v40, vcc
; %bb.2233:                             ;   in Loop: Header=BB6_2057 Depth=2
	s_or_b64 exec, exec, s[24:25]
	v_and_b32_e32 v2, 0xff, v46
	s_and_b64 vcc, exec, s[22:23]
	v_cmp_ne_u16_e64 s[24:25], 0, v2
	s_cbranch_vccnz .LBB6_2247
; %bb.2234:                             ;   in Loop: Header=BB6_2057 Depth=2
	v_mov_b32_e32 v4, 0
	v_mov_b32_e32 v3, 0
	s_and_saveexec_b64 s[62:63], s[24:25]
	s_cbranch_execz .LBB6_2240
; %bb.2235:                             ;   in Loop: Header=BB6_2057 Depth=2
	v_cmp_ne_u16_e32 vcc, s75, v2
	v_bfrev_b32_e32 v3, 1
	s_and_saveexec_b64 s[64:65], vcc
	s_cbranch_execz .LBB6_2239
; %bb.2236:                             ;   in Loop: Header=BB6_2057 Depth=2
	v_and_b32_e32 v5, 0x7f, v46
	v_cmp_ne_u32_e32 vcc, s76, v5
	v_mov_b32_e32 v3, 0x7f800001
	s_and_saveexec_b64 s[66:67], vcc
	s_cbranch_execz .LBB6_2238
; %bb.2237:                             ;   in Loop: Header=BB6_2057 Depth=2
	v_and_b32_e32 v3, 7, v2
	v_ffbh_u32_e32 v6, v3
	v_min_u32_e32 v9, 32, v6
	v_subrev_u32_e32 v6, 28, v9
	v_lshlrev_b64 v[6:7], v6, v[2:3]
	v_lshrrev_b32_e32 v8, 3, v5
	v_sub_u32_e32 v7, 29, v9
	v_and_b32_e32 v6, 7, v6
	v_cmp_gt_u32_e32 vcc, 8, v5
	v_cndmask_b32_e32 v5, v8, v7, vcc
	v_cndmask_b32_e32 v3, v3, v6, vcc
	v_lshlrev_b32_e32 v6, 24, v46
	v_lshlrev_b32_e32 v3, 20, v3
	v_and_b32_e32 v6, 0x80000000, v6
	v_lshl_add_u32 v5, v5, 23, v26
	v_or3_b32 v3, v6, v5, v3
.LBB6_2238:                             ;   in Loop: Header=BB6_2057 Depth=2
	s_or_b64 exec, exec, s[66:67]
.LBB6_2239:                             ;   in Loop: Header=BB6_2057 Depth=2
	s_or_b64 exec, exec, s[64:65]
.LBB6_2240:                             ;   in Loop: Header=BB6_2057 Depth=2
	s_or_b64 exec, exec, s[62:63]
	v_and_b32_e32 v16, 0xff, v42
	v_cmp_ne_u16_e32 vcc, 0, v16
	s_and_saveexec_b64 s[62:63], vcc
	s_cbranch_execz .LBB6_2246
; %bb.2241:                             ;   in Loop: Header=BB6_2057 Depth=2
	v_cmp_ne_u16_e32 vcc, s75, v16
	v_bfrev_b32_e32 v4, 1
	s_and_saveexec_b64 s[64:65], vcc
	s_cbranch_execz .LBB6_2245
; %bb.2242:                             ;   in Loop: Header=BB6_2057 Depth=2
	v_and_b32_e32 v5, 0x7f, v42
	v_cmp_ne_u32_e32 vcc, s76, v5
	v_mov_b32_e32 v4, 0x7f800001
	s_and_saveexec_b64 s[66:67], vcc
	s_cbranch_execz .LBB6_2244
; %bb.2243:                             ;   in Loop: Header=BB6_2057 Depth=2
	v_and_b32_e32 v4, 7, v16
	v_ffbh_u32_e32 v6, v4
	v_min_u32_e32 v9, 32, v6
	v_subrev_u32_e32 v6, 28, v9
	v_lshlrev_b64 v[6:7], v6, v[16:17]
	v_lshrrev_b32_e32 v8, 3, v5
	v_sub_u32_e32 v7, 29, v9
	v_and_b32_e32 v6, 7, v6
	v_cmp_gt_u32_e32 vcc, 8, v5
	v_cndmask_b32_e32 v5, v8, v7, vcc
	v_cndmask_b32_e32 v4, v4, v6, vcc
	v_lshlrev_b32_e32 v6, 24, v42
	v_lshlrev_b32_e32 v4, 20, v4
	v_and_b32_e32 v6, 0x80000000, v6
	v_lshl_add_u32 v5, v5, 23, v26
	v_or3_b32 v4, v6, v5, v4
.LBB6_2244:                             ;   in Loop: Header=BB6_2057 Depth=2
	s_or_b64 exec, exec, s[66:67]
.LBB6_2245:                             ;   in Loop: Header=BB6_2057 Depth=2
	s_or_b64 exec, exec, s[64:65]
.LBB6_2246:                             ;   in Loop: Header=BB6_2057 Depth=2
	s_or_b64 exec, exec, s[62:63]
	v_max_f32_e32 v4, v4, v4
	v_max_f32_e32 v3, v3, v3
	;; [unrolled: 1-line block ×3, first 2 shown]
	s_branch .LBB6_2261
.LBB6_2247:                             ;   in Loop: Header=BB6_2057 Depth=2
                                        ; implicit-def: $vgpr3
	s_cbranch_execz .LBB6_2261
; %bb.2248:                             ;   in Loop: Header=BB6_2057 Depth=2
	v_mov_b32_e32 v4, 0
	v_mov_b32_e32 v3, 0
	s_and_saveexec_b64 s[62:63], s[24:25]
	s_cbranch_execz .LBB6_2254
; %bb.2249:                             ;   in Loop: Header=BB6_2057 Depth=2
	v_cmp_ne_u16_e32 vcc, s75, v2
	v_bfrev_b32_e32 v3, 1
	s_and_saveexec_b64 s[24:25], vcc
	s_cbranch_execz .LBB6_2253
; %bb.2250:                             ;   in Loop: Header=BB6_2057 Depth=2
	v_and_b32_e32 v5, 0x7f, v46
	v_cmp_ne_u32_e32 vcc, s76, v5
	v_mov_b32_e32 v3, 0x7f800001
	s_and_saveexec_b64 s[64:65], vcc
	s_cbranch_execz .LBB6_2252
; %bb.2251:                             ;   in Loop: Header=BB6_2057 Depth=2
	v_and_b32_e32 v6, 7, v2
	v_ffbh_u32_e32 v3, v6
	v_min_u32_e32 v8, 32, v3
	v_subrev_u32_e32 v3, 28, v8
	v_lshlrev_b64 v[2:3], v3, v[2:3]
	v_lshrrev_b32_e32 v7, 3, v5
	v_sub_u32_e32 v3, 29, v8
	v_and_b32_e32 v2, 7, v2
	v_cmp_gt_u32_e32 vcc, 8, v5
	v_cndmask_b32_e32 v3, v7, v3, vcc
	v_cndmask_b32_e32 v2, v6, v2, vcc
	v_lshlrev_b32_e32 v5, 24, v46
	v_lshlrev_b32_e32 v2, 20, v2
	v_and_b32_e32 v5, 0x80000000, v5
	v_lshl_add_u32 v3, v3, 23, v26
	v_or3_b32 v3, v5, v3, v2
.LBB6_2252:                             ;   in Loop: Header=BB6_2057 Depth=2
	s_or_b64 exec, exec, s[64:65]
.LBB6_2253:                             ;   in Loop: Header=BB6_2057 Depth=2
	s_or_b64 exec, exec, s[24:25]
.LBB6_2254:                             ;   in Loop: Header=BB6_2057 Depth=2
	s_or_b64 exec, exec, s[62:63]
	v_and_b32_e32 v2, 0xff, v42
	v_cmp_ne_u16_e32 vcc, 0, v2
	s_and_saveexec_b64 s[24:25], vcc
	s_cbranch_execz .LBB6_2260
; %bb.2255:                             ;   in Loop: Header=BB6_2057 Depth=2
	v_cmp_ne_u16_e32 vcc, s75, v2
	v_bfrev_b32_e32 v4, 1
	s_and_saveexec_b64 s[62:63], vcc
	s_cbranch_execz .LBB6_2259
; %bb.2256:                             ;   in Loop: Header=BB6_2057 Depth=2
	v_and_b32_e32 v5, 0x7f, v42
	v_cmp_ne_u32_e32 vcc, s76, v5
	v_mov_b32_e32 v4, 0x7f800001
	s_and_saveexec_b64 s[64:65], vcc
	s_cbranch_execz .LBB6_2258
; %bb.2257:                             ;   in Loop: Header=BB6_2057 Depth=2
	v_and_b32_e32 v4, 7, v2
	v_ffbh_u32_e32 v6, v4
	v_min_u32_e32 v9, 32, v6
	v_subrev_u32_e32 v6, 28, v9
	v_lshlrev_b64 v[6:7], v6, v[2:3]
	v_lshrrev_b32_e32 v8, 3, v5
	v_sub_u32_e32 v2, 29, v9
	v_and_b32_e32 v6, 7, v6
	v_cmp_gt_u32_e32 vcc, 8, v5
	v_cndmask_b32_e32 v2, v8, v2, vcc
	v_cndmask_b32_e32 v4, v4, v6, vcc
	v_lshlrev_b32_e32 v5, 24, v42
	v_lshlrev_b32_e32 v4, 20, v4
	v_and_b32_e32 v5, 0x80000000, v5
	v_lshl_add_u32 v2, v2, 23, v26
	v_or3_b32 v4, v5, v2, v4
.LBB6_2258:                             ;   in Loop: Header=BB6_2057 Depth=2
	s_or_b64 exec, exec, s[64:65]
.LBB6_2259:                             ;   in Loop: Header=BB6_2057 Depth=2
	s_or_b64 exec, exec, s[62:63]
.LBB6_2260:                             ;   in Loop: Header=BB6_2057 Depth=2
	s_or_b64 exec, exec, s[24:25]
	v_max_f32_e32 v2, v4, v4
	v_max_f32_e32 v3, v3, v3
	v_min_f32_e32 v3, v3, v2
.LBB6_2261:                             ;   in Loop: Header=BB6_2057 Depth=2
	v_and_b32_sdwa v4, v3, s75 dst_sel:DWORD dst_unused:UNUSED_PAD src0_sel:BYTE_3 src1_sel:DWORD
	v_and_b32_e32 v6, 0x7f800000, v3
	v_mov_b32_e32 v7, v55
	v_and_b32_e32 v54, 0x7fffff, v3
	v_or_b32_e32 v42, 0x7e, v4
	v_cmp_ne_u64_e32 vcc, s[44:45], v[6:7]
	s_and_saveexec_b64 s[24:25], vcc
	s_xor_b64 s[62:63], exec, s[24:25]
	s_cbranch_execz .LBB6_2275
; %bb.2262:                             ;   in Loop: Header=BB6_2057 Depth=2
	v_and_b32_e32 v6, 0x7fffffff, v3
	v_mov_b32_e32 v7, v55
	v_cmp_gt_u64_e32 vcc, s[46:47], v[6:7]
	s_and_saveexec_b64 s[24:25], vcc
	s_xor_b64 s[64:65], exec, s[24:25]
	s_cbranch_execz .LBB6_2274
; %bb.2263:                             ;   in Loop: Header=BB6_2057 Depth=2
	v_cmp_ne_u32_e32 vcc, 0, v3
	v_mov_b32_e32 v42, 0
	s_and_saveexec_b64 s[66:67], vcc
	s_cbranch_execz .LBB6_2273
; %bb.2264:                             ;   in Loop: Header=BB6_2057 Depth=2
	v_bfe_u32 v2, v3, 23, 8
	v_sub_u32_e32 v5, 0x79, v2
	v_cmp_gt_u32_e32 vcc, s78, v2
	v_cndmask_b32_e32 v5, 0, v5, vcc
	v_cmp_eq_u32_e32 vcc, 0, v2
	v_or_b32_e32 v6, 0x800000, v54
	v_cndmask_b32_e32 v5, v5, v32, vcc
	v_add_u32_e32 v3, 0xffffff81, v2
	v_cndmask_b32_e32 v54, v6, v54, vcc
	v_add_u32_e32 v2, 20, v5
	v_cndmask_b32_e32 v16, v3, v33, vcc
	v_lshlrev_b64 v[2:3], v2, -1
	v_lshrrev_b64 v[8:9], v5, v[54:55]
	v_not_b32_e32 v3, v3
	v_not_b32_e32 v2, v2
	v_add_u32_e32 v6, 19, v5
	v_lshrrev_b32_e32 v20, 23, v8
	v_and_b32_e32 v3, 0, v3
	v_and_b32_e32 v2, v54, v2
	v_lshlrev_b64 v[6:7], v6, 1
	v_add3_u32 v20, v5, v16, v20
	v_bfe_u32 v5, v8, 20, 1
	v_add_u32_e32 v5, -1, v5
	v_cmp_eq_u64_e32 vcc, v[2:3], v[6:7]
	v_cndmask_b32_e32 v2, 0, v5, vcc
	v_add_u32_e32 v2, v2, v8
	v_and_b32_e32 v2, 0xfffff, v2
	v_add_co_u32_e32 v2, vcc, v2, v8
	v_add_u32_e32 v16, 6, v20
	v_addc_co_u32_e32 v3, vcc, 0, v9, vcc
	v_cmp_ne_u32_e32 vcc, 0, v16
                                        ; implicit-def: $vgpr5
	s_and_saveexec_b64 s[24:25], vcc
	s_xor_b64 s[24:25], exec, s[24:25]
; %bb.2265:                             ;   in Loop: Header=BB6_2057 Depth=2
	v_cmp_lt_u64_e32 vcc, s[50:51], v[2:3]
	v_add_u32_e32 v5, 7, v20
	v_cndmask_b32_e64 v6, 0, 1, vcc
	v_cndmask_b32_e32 v5, v16, v5, vcc
	v_lshrrev_b64 v[2:3], v6, v[2:3]
; %bb.2266:                             ;   in Loop: Header=BB6_2057 Depth=2
	s_andn2_saveexec_b64 s[24:25], s[24:25]
; %bb.2267:                             ;   in Loop: Header=BB6_2057 Depth=2
	v_bfe_u32 v5, v2, 23, 1
; %bb.2268:                             ;   in Loop: Header=BB6_2057 Depth=2
	s_or_b64 exec, exec, s[24:25]
	v_lshrrev_b64 v[2:3], 20, v[2:3]
	v_cmp_gt_i32_e32 vcc, 16, v5
	v_cndmask_b32_e32 v3, 0, v3, vcc
	v_cndmask_b32_e32 v2, 7, v2, vcc
	v_cmp_ne_u32_e32 vcc, 0, v5
	v_cmp_ne_u64_e64 s[24:25], 0, v[2:3]
	s_or_b64 s[24:25], vcc, s[24:25]
                                        ; implicit-def: $vgpr42
	s_and_saveexec_b64 vcc, s[24:25]
	s_xor_b64 s[24:25], exec, vcc
; %bb.2269:                             ;   in Loop: Header=BB6_2057 Depth=2
	v_min_i32_e32 v3, 15, v5
	v_lshl_or_b32 v3, v3, 3, v4
	v_and_or_b32 v42, v2, 7, v3
                                        ; implicit-def: $vgpr4
; %bb.2270:                             ;   in Loop: Header=BB6_2057 Depth=2
	s_andn2_saveexec_b64 s[24:25], s[24:25]
; %bb.2271:                             ;   in Loop: Header=BB6_2057 Depth=2
	v_mov_b32_e32 v42, v4
; %bb.2272:                             ;   in Loop: Header=BB6_2057 Depth=2
	s_or_b64 exec, exec, s[24:25]
.LBB6_2273:                             ;   in Loop: Header=BB6_2057 Depth=2
	s_or_b64 exec, exec, s[66:67]
.LBB6_2274:                             ;   in Loop: Header=BB6_2057 Depth=2
	s_andn2_saveexec_b64 s[24:25], s[64:65]
	s_or_b64 exec, exec, s[24:25]
                                        ; implicit-def: $vgpr3
.LBB6_2275:                             ;   in Loop: Header=BB6_2057 Depth=2
	s_andn2_saveexec_b64 s[24:25], s[62:63]
; %bb.2276:                             ;   in Loop: Header=BB6_2057 Depth=2
	v_or_b32_sdwa v2, v3, s76 dst_sel:DWORD dst_unused:UNUSED_PAD src0_sel:BYTE_3 src1_sel:DWORD
	v_cmp_eq_u64_e32 vcc, 0, v[54:55]
	v_cndmask_b32_e32 v42, v2, v42, vcc
; %bb.2277:                             ;   in Loop: Header=BB6_2057 Depth=2
	s_or_b64 exec, exec, s[24:25]
	v_and_b32_e32 v2, 0xff, v49
	s_and_b64 vcc, exec, s[22:23]
	v_cmp_ne_u16_e64 s[24:25], 0, v2
	s_cbranch_vccnz .LBB6_2291
; %bb.2278:                             ;   in Loop: Header=BB6_2057 Depth=2
	v_mov_b32_e32 v4, 0
	v_mov_b32_e32 v3, 0
	s_and_saveexec_b64 s[62:63], s[24:25]
	s_cbranch_execz .LBB6_2284
; %bb.2279:                             ;   in Loop: Header=BB6_2057 Depth=2
	v_cmp_ne_u16_e32 vcc, s75, v2
	v_bfrev_b32_e32 v3, 1
	s_and_saveexec_b64 s[64:65], vcc
	s_cbranch_execz .LBB6_2283
; %bb.2280:                             ;   in Loop: Header=BB6_2057 Depth=2
	v_and_b32_e32 v5, 0x7f, v49
	v_cmp_ne_u32_e32 vcc, s76, v5
	v_mov_b32_e32 v3, 0x7f800001
	s_and_saveexec_b64 s[66:67], vcc
	s_cbranch_execz .LBB6_2282
; %bb.2281:                             ;   in Loop: Header=BB6_2057 Depth=2
	v_and_b32_e32 v3, 7, v2
	v_ffbh_u32_e32 v6, v3
	v_min_u32_e32 v9, 32, v6
	v_subrev_u32_e32 v6, 28, v9
	v_lshlrev_b64 v[6:7], v6, v[2:3]
	v_lshrrev_b32_e32 v8, 3, v5
	v_sub_u32_e32 v7, 29, v9
	v_and_b32_e32 v6, 7, v6
	v_cmp_gt_u32_e32 vcc, 8, v5
	v_cndmask_b32_e32 v5, v8, v7, vcc
	v_cndmask_b32_e32 v3, v3, v6, vcc
	v_lshlrev_b32_e32 v6, 24, v49
	v_lshlrev_b32_e32 v3, 20, v3
	v_and_b32_e32 v6, 0x80000000, v6
	v_lshl_add_u32 v5, v5, 23, v26
	v_or3_b32 v3, v6, v5, v3
.LBB6_2282:                             ;   in Loop: Header=BB6_2057 Depth=2
	s_or_b64 exec, exec, s[66:67]
.LBB6_2283:                             ;   in Loop: Header=BB6_2057 Depth=2
	s_or_b64 exec, exec, s[64:65]
.LBB6_2284:                             ;   in Loop: Header=BB6_2057 Depth=2
	s_or_b64 exec, exec, s[62:63]
	v_and_b32_e32 v16, 0xff, v48
	v_cmp_ne_u16_e32 vcc, 0, v16
	s_and_saveexec_b64 s[62:63], vcc
	s_cbranch_execz .LBB6_2290
; %bb.2285:                             ;   in Loop: Header=BB6_2057 Depth=2
	v_cmp_ne_u16_e32 vcc, s75, v16
	v_bfrev_b32_e32 v4, 1
	s_and_saveexec_b64 s[64:65], vcc
	s_cbranch_execz .LBB6_2289
; %bb.2286:                             ;   in Loop: Header=BB6_2057 Depth=2
	v_and_b32_e32 v5, 0x7f, v48
	v_cmp_ne_u32_e32 vcc, s76, v5
	v_mov_b32_e32 v4, 0x7f800001
	s_and_saveexec_b64 s[66:67], vcc
	s_cbranch_execz .LBB6_2288
; %bb.2287:                             ;   in Loop: Header=BB6_2057 Depth=2
	v_and_b32_e32 v4, 7, v16
	v_ffbh_u32_e32 v6, v4
	v_min_u32_e32 v9, 32, v6
	v_subrev_u32_e32 v6, 28, v9
	v_lshlrev_b64 v[6:7], v6, v[16:17]
	v_lshrrev_b32_e32 v8, 3, v5
	v_sub_u32_e32 v7, 29, v9
	v_and_b32_e32 v6, 7, v6
	v_cmp_gt_u32_e32 vcc, 8, v5
	v_cndmask_b32_e32 v5, v8, v7, vcc
	v_cndmask_b32_e32 v4, v4, v6, vcc
	v_lshlrev_b32_e32 v6, 24, v48
	v_lshlrev_b32_e32 v4, 20, v4
	v_and_b32_e32 v6, 0x80000000, v6
	v_lshl_add_u32 v5, v5, 23, v26
	v_or3_b32 v4, v6, v5, v4
.LBB6_2288:                             ;   in Loop: Header=BB6_2057 Depth=2
	s_or_b64 exec, exec, s[66:67]
.LBB6_2289:                             ;   in Loop: Header=BB6_2057 Depth=2
	s_or_b64 exec, exec, s[64:65]
.LBB6_2290:                             ;   in Loop: Header=BB6_2057 Depth=2
	s_or_b64 exec, exec, s[62:63]
	v_max_f32_e32 v4, v4, v4
	v_max_f32_e32 v3, v3, v3
	;; [unrolled: 1-line block ×3, first 2 shown]
	s_branch .LBB6_2305
.LBB6_2291:                             ;   in Loop: Header=BB6_2057 Depth=2
                                        ; implicit-def: $vgpr3
	s_cbranch_execz .LBB6_2305
; %bb.2292:                             ;   in Loop: Header=BB6_2057 Depth=2
	v_mov_b32_e32 v4, 0
	v_mov_b32_e32 v3, 0
	s_and_saveexec_b64 s[62:63], s[24:25]
	s_cbranch_execz .LBB6_2298
; %bb.2293:                             ;   in Loop: Header=BB6_2057 Depth=2
	v_cmp_ne_u16_e32 vcc, s75, v2
	v_bfrev_b32_e32 v3, 1
	s_and_saveexec_b64 s[24:25], vcc
	s_cbranch_execz .LBB6_2297
; %bb.2294:                             ;   in Loop: Header=BB6_2057 Depth=2
	v_and_b32_e32 v5, 0x7f, v49
	v_cmp_ne_u32_e32 vcc, s76, v5
	v_mov_b32_e32 v3, 0x7f800001
	s_and_saveexec_b64 s[64:65], vcc
	s_cbranch_execz .LBB6_2296
; %bb.2295:                             ;   in Loop: Header=BB6_2057 Depth=2
	v_and_b32_e32 v6, 7, v2
	v_ffbh_u32_e32 v3, v6
	v_min_u32_e32 v8, 32, v3
	v_subrev_u32_e32 v3, 28, v8
	v_lshlrev_b64 v[2:3], v3, v[2:3]
	v_lshrrev_b32_e32 v7, 3, v5
	v_sub_u32_e32 v3, 29, v8
	v_and_b32_e32 v2, 7, v2
	v_cmp_gt_u32_e32 vcc, 8, v5
	v_cndmask_b32_e32 v3, v7, v3, vcc
	v_cndmask_b32_e32 v2, v6, v2, vcc
	v_lshlrev_b32_e32 v5, 24, v49
	v_lshlrev_b32_e32 v2, 20, v2
	v_and_b32_e32 v5, 0x80000000, v5
	v_lshl_add_u32 v3, v3, 23, v26
	v_or3_b32 v3, v5, v3, v2
.LBB6_2296:                             ;   in Loop: Header=BB6_2057 Depth=2
	s_or_b64 exec, exec, s[64:65]
.LBB6_2297:                             ;   in Loop: Header=BB6_2057 Depth=2
	s_or_b64 exec, exec, s[24:25]
.LBB6_2298:                             ;   in Loop: Header=BB6_2057 Depth=2
	s_or_b64 exec, exec, s[62:63]
	v_and_b32_e32 v2, 0xff, v48
	v_cmp_ne_u16_e32 vcc, 0, v2
	s_and_saveexec_b64 s[24:25], vcc
	s_cbranch_execz .LBB6_2304
; %bb.2299:                             ;   in Loop: Header=BB6_2057 Depth=2
	v_cmp_ne_u16_e32 vcc, s75, v2
	v_bfrev_b32_e32 v4, 1
	s_and_saveexec_b64 s[62:63], vcc
	s_cbranch_execz .LBB6_2303
; %bb.2300:                             ;   in Loop: Header=BB6_2057 Depth=2
	v_and_b32_e32 v5, 0x7f, v48
	v_cmp_ne_u32_e32 vcc, s76, v5
	v_mov_b32_e32 v4, 0x7f800001
	s_and_saveexec_b64 s[64:65], vcc
	s_cbranch_execz .LBB6_2302
; %bb.2301:                             ;   in Loop: Header=BB6_2057 Depth=2
	v_and_b32_e32 v4, 7, v2
	v_ffbh_u32_e32 v6, v4
	v_min_u32_e32 v9, 32, v6
	v_subrev_u32_e32 v6, 28, v9
	v_lshlrev_b64 v[6:7], v6, v[2:3]
	v_lshrrev_b32_e32 v8, 3, v5
	v_sub_u32_e32 v2, 29, v9
	v_and_b32_e32 v6, 7, v6
	v_cmp_gt_u32_e32 vcc, 8, v5
	v_cndmask_b32_e32 v2, v8, v2, vcc
	v_cndmask_b32_e32 v4, v4, v6, vcc
	v_lshlrev_b32_e32 v5, 24, v48
	v_lshlrev_b32_e32 v4, 20, v4
	v_and_b32_e32 v5, 0x80000000, v5
	v_lshl_add_u32 v2, v2, 23, v26
	v_or3_b32 v4, v5, v2, v4
.LBB6_2302:                             ;   in Loop: Header=BB6_2057 Depth=2
	s_or_b64 exec, exec, s[64:65]
.LBB6_2303:                             ;   in Loop: Header=BB6_2057 Depth=2
	s_or_b64 exec, exec, s[62:63]
.LBB6_2304:                             ;   in Loop: Header=BB6_2057 Depth=2
	s_or_b64 exec, exec, s[24:25]
	v_max_f32_e32 v2, v4, v4
	v_max_f32_e32 v3, v3, v3
	v_min_f32_e32 v3, v3, v2
.LBB6_2305:                             ;   in Loop: Header=BB6_2057 Depth=2
	v_and_b32_sdwa v4, v3, s75 dst_sel:DWORD dst_unused:UNUSED_PAD src0_sel:BYTE_3 src1_sel:DWORD
	v_and_b32_e32 v6, 0x7f800000, v3
	v_mov_b32_e32 v7, v55
	v_and_b32_e32 v54, 0x7fffff, v3
	v_or_b32_e32 v46, 0x7e, v4
	v_cmp_ne_u64_e32 vcc, s[44:45], v[6:7]
	s_and_saveexec_b64 s[24:25], vcc
	s_xor_b64 s[62:63], exec, s[24:25]
	s_cbranch_execz .LBB6_2319
; %bb.2306:                             ;   in Loop: Header=BB6_2057 Depth=2
	v_and_b32_e32 v6, 0x7fffffff, v3
	v_mov_b32_e32 v7, v55
	v_cmp_gt_u64_e32 vcc, s[46:47], v[6:7]
	s_and_saveexec_b64 s[24:25], vcc
	s_xor_b64 s[64:65], exec, s[24:25]
	s_cbranch_execz .LBB6_2318
; %bb.2307:                             ;   in Loop: Header=BB6_2057 Depth=2
	v_cmp_ne_u32_e32 vcc, 0, v3
	v_mov_b32_e32 v46, 0
	s_and_saveexec_b64 s[66:67], vcc
	s_cbranch_execz .LBB6_2317
; %bb.2308:                             ;   in Loop: Header=BB6_2057 Depth=2
	v_bfe_u32 v2, v3, 23, 8
	v_sub_u32_e32 v5, 0x79, v2
	v_cmp_gt_u32_e32 vcc, s78, v2
	v_cndmask_b32_e32 v5, 0, v5, vcc
	v_cmp_eq_u32_e32 vcc, 0, v2
	v_or_b32_e32 v6, 0x800000, v54
	v_cndmask_b32_e32 v5, v5, v32, vcc
	v_add_u32_e32 v3, 0xffffff81, v2
	v_cndmask_b32_e32 v54, v6, v54, vcc
	v_add_u32_e32 v2, 20, v5
	v_cndmask_b32_e32 v16, v3, v33, vcc
	v_lshlrev_b64 v[2:3], v2, -1
	v_lshrrev_b64 v[8:9], v5, v[54:55]
	v_not_b32_e32 v3, v3
	v_not_b32_e32 v2, v2
	v_add_u32_e32 v6, 19, v5
	v_lshrrev_b32_e32 v20, 23, v8
	v_and_b32_e32 v3, 0, v3
	v_and_b32_e32 v2, v54, v2
	v_lshlrev_b64 v[6:7], v6, 1
	v_add3_u32 v20, v5, v16, v20
	v_bfe_u32 v5, v8, 20, 1
	v_add_u32_e32 v5, -1, v5
	v_cmp_eq_u64_e32 vcc, v[2:3], v[6:7]
	v_cndmask_b32_e32 v2, 0, v5, vcc
	v_add_u32_e32 v2, v2, v8
	v_and_b32_e32 v2, 0xfffff, v2
	v_add_co_u32_e32 v2, vcc, v2, v8
	v_add_u32_e32 v16, 6, v20
	v_addc_co_u32_e32 v3, vcc, 0, v9, vcc
	v_cmp_ne_u32_e32 vcc, 0, v16
                                        ; implicit-def: $vgpr5
	s_and_saveexec_b64 s[24:25], vcc
	s_xor_b64 s[24:25], exec, s[24:25]
; %bb.2309:                             ;   in Loop: Header=BB6_2057 Depth=2
	v_cmp_lt_u64_e32 vcc, s[50:51], v[2:3]
	v_add_u32_e32 v5, 7, v20
	v_cndmask_b32_e64 v6, 0, 1, vcc
	v_cndmask_b32_e32 v5, v16, v5, vcc
	v_lshrrev_b64 v[2:3], v6, v[2:3]
; %bb.2310:                             ;   in Loop: Header=BB6_2057 Depth=2
	s_andn2_saveexec_b64 s[24:25], s[24:25]
; %bb.2311:                             ;   in Loop: Header=BB6_2057 Depth=2
	v_bfe_u32 v5, v2, 23, 1
; %bb.2312:                             ;   in Loop: Header=BB6_2057 Depth=2
	s_or_b64 exec, exec, s[24:25]
	v_lshrrev_b64 v[2:3], 20, v[2:3]
	v_cmp_gt_i32_e32 vcc, 16, v5
	v_cndmask_b32_e32 v3, 0, v3, vcc
	v_cndmask_b32_e32 v2, 7, v2, vcc
	v_cmp_ne_u32_e32 vcc, 0, v5
	v_cmp_ne_u64_e64 s[24:25], 0, v[2:3]
	s_or_b64 s[24:25], vcc, s[24:25]
                                        ; implicit-def: $vgpr46
	s_and_saveexec_b64 vcc, s[24:25]
	s_xor_b64 s[24:25], exec, vcc
; %bb.2313:                             ;   in Loop: Header=BB6_2057 Depth=2
	v_min_i32_e32 v3, 15, v5
	v_lshl_or_b32 v3, v3, 3, v4
	v_and_or_b32 v46, v2, 7, v3
                                        ; implicit-def: $vgpr4
; %bb.2314:                             ;   in Loop: Header=BB6_2057 Depth=2
	s_andn2_saveexec_b64 s[24:25], s[24:25]
; %bb.2315:                             ;   in Loop: Header=BB6_2057 Depth=2
	v_mov_b32_e32 v46, v4
; %bb.2316:                             ;   in Loop: Header=BB6_2057 Depth=2
	s_or_b64 exec, exec, s[24:25]
.LBB6_2317:                             ;   in Loop: Header=BB6_2057 Depth=2
	s_or_b64 exec, exec, s[66:67]
.LBB6_2318:                             ;   in Loop: Header=BB6_2057 Depth=2
	s_andn2_saveexec_b64 s[24:25], s[64:65]
	s_or_b64 exec, exec, s[24:25]
                                        ; implicit-def: $vgpr3
.LBB6_2319:                             ;   in Loop: Header=BB6_2057 Depth=2
	s_andn2_saveexec_b64 s[24:25], s[62:63]
; %bb.2320:                             ;   in Loop: Header=BB6_2057 Depth=2
	v_or_b32_sdwa v2, v3, s76 dst_sel:DWORD dst_unused:UNUSED_PAD src0_sel:BYTE_3 src1_sel:DWORD
	v_cmp_eq_u64_e32 vcc, 0, v[54:55]
	v_cndmask_b32_e32 v46, v2, v46, vcc
; %bb.2321:                             ;   in Loop: Header=BB6_2057 Depth=2
	s_or_b64 exec, exec, s[24:25]
	v_and_b32_e32 v2, 0xff, v61
	s_and_b64 vcc, exec, s[22:23]
	v_cmp_ne_u16_e64 s[24:25], 0, v2
	s_cbranch_vccnz .LBB6_2335
; %bb.2322:                             ;   in Loop: Header=BB6_2057 Depth=2
	v_mov_b32_e32 v4, 0
	v_mov_b32_e32 v3, 0
	s_and_saveexec_b64 s[62:63], s[24:25]
	s_cbranch_execz .LBB6_2328
; %bb.2323:                             ;   in Loop: Header=BB6_2057 Depth=2
	v_cmp_ne_u16_e32 vcc, s75, v2
	v_bfrev_b32_e32 v3, 1
	s_and_saveexec_b64 s[64:65], vcc
	s_cbranch_execz .LBB6_2327
; %bb.2324:                             ;   in Loop: Header=BB6_2057 Depth=2
	v_and_b32_e32 v5, 0x7f, v61
	v_cmp_ne_u32_e32 vcc, s76, v5
	v_mov_b32_e32 v3, 0x7f800001
	s_and_saveexec_b64 s[66:67], vcc
	s_cbranch_execz .LBB6_2326
; %bb.2325:                             ;   in Loop: Header=BB6_2057 Depth=2
	v_and_b32_e32 v3, 7, v2
	v_ffbh_u32_e32 v6, v3
	v_min_u32_e32 v9, 32, v6
	v_subrev_u32_e32 v6, 28, v9
	v_lshlrev_b64 v[6:7], v6, v[2:3]
	v_lshrrev_b32_e32 v8, 3, v5
	v_sub_u32_e32 v7, 29, v9
	v_and_b32_e32 v6, 7, v6
	v_cmp_gt_u32_e32 vcc, 8, v5
	v_cndmask_b32_e32 v5, v8, v7, vcc
	v_cndmask_b32_e32 v3, v3, v6, vcc
	v_lshlrev_b32_e32 v6, 24, v61
	v_lshlrev_b32_e32 v3, 20, v3
	v_and_b32_e32 v6, 0x80000000, v6
	v_lshl_add_u32 v5, v5, 23, v26
	v_or3_b32 v3, v6, v5, v3
.LBB6_2326:                             ;   in Loop: Header=BB6_2057 Depth=2
	s_or_b64 exec, exec, s[66:67]
.LBB6_2327:                             ;   in Loop: Header=BB6_2057 Depth=2
	s_or_b64 exec, exec, s[64:65]
.LBB6_2328:                             ;   in Loop: Header=BB6_2057 Depth=2
	s_or_b64 exec, exec, s[62:63]
	v_and_b32_e32 v16, 0xff, v56
	v_cmp_ne_u16_e32 vcc, 0, v16
	s_and_saveexec_b64 s[62:63], vcc
	s_cbranch_execz .LBB6_2334
; %bb.2329:                             ;   in Loop: Header=BB6_2057 Depth=2
	v_cmp_ne_u16_e32 vcc, s75, v16
	v_bfrev_b32_e32 v4, 1
	s_and_saveexec_b64 s[64:65], vcc
	s_cbranch_execz .LBB6_2333
; %bb.2330:                             ;   in Loop: Header=BB6_2057 Depth=2
	v_and_b32_e32 v5, 0x7f, v56
	v_cmp_ne_u32_e32 vcc, s76, v5
	v_mov_b32_e32 v4, 0x7f800001
	s_and_saveexec_b64 s[66:67], vcc
	s_cbranch_execz .LBB6_2332
; %bb.2331:                             ;   in Loop: Header=BB6_2057 Depth=2
	v_and_b32_e32 v4, 7, v16
	v_ffbh_u32_e32 v6, v4
	v_min_u32_e32 v9, 32, v6
	v_subrev_u32_e32 v6, 28, v9
	v_lshlrev_b64 v[6:7], v6, v[16:17]
	v_lshrrev_b32_e32 v8, 3, v5
	v_sub_u32_e32 v7, 29, v9
	v_and_b32_e32 v6, 7, v6
	v_cmp_gt_u32_e32 vcc, 8, v5
	v_cndmask_b32_e32 v5, v8, v7, vcc
	v_cndmask_b32_e32 v4, v4, v6, vcc
	v_lshlrev_b32_e32 v6, 24, v56
	v_lshlrev_b32_e32 v4, 20, v4
	v_and_b32_e32 v6, 0x80000000, v6
	v_lshl_add_u32 v5, v5, 23, v26
	v_or3_b32 v4, v6, v5, v4
.LBB6_2332:                             ;   in Loop: Header=BB6_2057 Depth=2
	s_or_b64 exec, exec, s[66:67]
.LBB6_2333:                             ;   in Loop: Header=BB6_2057 Depth=2
	s_or_b64 exec, exec, s[64:65]
.LBB6_2334:                             ;   in Loop: Header=BB6_2057 Depth=2
	s_or_b64 exec, exec, s[62:63]
	v_max_f32_e32 v4, v4, v4
	v_max_f32_e32 v3, v3, v3
	;; [unrolled: 1-line block ×3, first 2 shown]
	s_branch .LBB6_2349
.LBB6_2335:                             ;   in Loop: Header=BB6_2057 Depth=2
                                        ; implicit-def: $vgpr3
	s_cbranch_execz .LBB6_2349
; %bb.2336:                             ;   in Loop: Header=BB6_2057 Depth=2
	v_mov_b32_e32 v4, 0
	v_mov_b32_e32 v3, 0
	s_and_saveexec_b64 s[62:63], s[24:25]
	s_cbranch_execz .LBB6_2342
; %bb.2337:                             ;   in Loop: Header=BB6_2057 Depth=2
	v_cmp_ne_u16_e32 vcc, s75, v2
	v_bfrev_b32_e32 v3, 1
	s_and_saveexec_b64 s[24:25], vcc
	s_cbranch_execz .LBB6_2341
; %bb.2338:                             ;   in Loop: Header=BB6_2057 Depth=2
	v_and_b32_e32 v5, 0x7f, v61
	v_cmp_ne_u32_e32 vcc, s76, v5
	v_mov_b32_e32 v3, 0x7f800001
	s_and_saveexec_b64 s[64:65], vcc
	s_cbranch_execz .LBB6_2340
; %bb.2339:                             ;   in Loop: Header=BB6_2057 Depth=2
	v_and_b32_e32 v6, 7, v2
	v_ffbh_u32_e32 v3, v6
	v_min_u32_e32 v8, 32, v3
	v_subrev_u32_e32 v3, 28, v8
	v_lshlrev_b64 v[2:3], v3, v[2:3]
	v_lshrrev_b32_e32 v7, 3, v5
	v_sub_u32_e32 v3, 29, v8
	v_and_b32_e32 v2, 7, v2
	v_cmp_gt_u32_e32 vcc, 8, v5
	v_cndmask_b32_e32 v3, v7, v3, vcc
	v_cndmask_b32_e32 v2, v6, v2, vcc
	v_lshlrev_b32_e32 v5, 24, v61
	v_lshlrev_b32_e32 v2, 20, v2
	v_and_b32_e32 v5, 0x80000000, v5
	v_lshl_add_u32 v3, v3, 23, v26
	v_or3_b32 v3, v5, v3, v2
.LBB6_2340:                             ;   in Loop: Header=BB6_2057 Depth=2
	s_or_b64 exec, exec, s[64:65]
.LBB6_2341:                             ;   in Loop: Header=BB6_2057 Depth=2
	s_or_b64 exec, exec, s[24:25]
.LBB6_2342:                             ;   in Loop: Header=BB6_2057 Depth=2
	s_or_b64 exec, exec, s[62:63]
	v_and_b32_e32 v2, 0xff, v56
	v_cmp_ne_u16_e32 vcc, 0, v2
	s_and_saveexec_b64 s[24:25], vcc
	s_cbranch_execz .LBB6_2348
; %bb.2343:                             ;   in Loop: Header=BB6_2057 Depth=2
	v_cmp_ne_u16_e32 vcc, s75, v2
	v_bfrev_b32_e32 v4, 1
	s_and_saveexec_b64 s[62:63], vcc
	s_cbranch_execz .LBB6_2347
; %bb.2344:                             ;   in Loop: Header=BB6_2057 Depth=2
	v_and_b32_e32 v5, 0x7f, v56
	v_cmp_ne_u32_e32 vcc, s76, v5
	v_mov_b32_e32 v4, 0x7f800001
	s_and_saveexec_b64 s[64:65], vcc
	s_cbranch_execz .LBB6_2346
; %bb.2345:                             ;   in Loop: Header=BB6_2057 Depth=2
	v_and_b32_e32 v4, 7, v2
	v_ffbh_u32_e32 v6, v4
	v_min_u32_e32 v9, 32, v6
	v_subrev_u32_e32 v6, 28, v9
	v_lshlrev_b64 v[6:7], v6, v[2:3]
	v_lshrrev_b32_e32 v8, 3, v5
	v_sub_u32_e32 v2, 29, v9
	v_and_b32_e32 v6, 7, v6
	v_cmp_gt_u32_e32 vcc, 8, v5
	v_cndmask_b32_e32 v2, v8, v2, vcc
	v_cndmask_b32_e32 v4, v4, v6, vcc
	v_lshlrev_b32_e32 v5, 24, v56
	v_lshlrev_b32_e32 v4, 20, v4
	v_and_b32_e32 v5, 0x80000000, v5
	v_lshl_add_u32 v2, v2, 23, v26
	v_or3_b32 v4, v5, v2, v4
.LBB6_2346:                             ;   in Loop: Header=BB6_2057 Depth=2
	s_or_b64 exec, exec, s[64:65]
.LBB6_2347:                             ;   in Loop: Header=BB6_2057 Depth=2
	s_or_b64 exec, exec, s[62:63]
.LBB6_2348:                             ;   in Loop: Header=BB6_2057 Depth=2
	s_or_b64 exec, exec, s[24:25]
	v_max_f32_e32 v2, v4, v4
	v_max_f32_e32 v3, v3, v3
	v_min_f32_e32 v3, v3, v2
.LBB6_2349:                             ;   in Loop: Header=BB6_2057 Depth=2
	v_and_b32_sdwa v4, v3, s75 dst_sel:DWORD dst_unused:UNUSED_PAD src0_sel:BYTE_3 src1_sel:DWORD
	v_and_b32_e32 v6, 0x7f800000, v3
	v_mov_b32_e32 v7, v55
	v_and_b32_e32 v54, 0x7fffff, v3
	v_or_b32_e32 v56, 0x7e, v4
	v_cmp_ne_u64_e32 vcc, s[44:45], v[6:7]
	s_and_saveexec_b64 s[24:25], vcc
	s_xor_b64 s[62:63], exec, s[24:25]
	s_cbranch_execz .LBB6_2363
; %bb.2350:                             ;   in Loop: Header=BB6_2057 Depth=2
	v_and_b32_e32 v6, 0x7fffffff, v3
	v_mov_b32_e32 v7, v55
	v_cmp_gt_u64_e32 vcc, s[46:47], v[6:7]
	s_and_saveexec_b64 s[24:25], vcc
	s_xor_b64 s[64:65], exec, s[24:25]
	s_cbranch_execz .LBB6_2362
; %bb.2351:                             ;   in Loop: Header=BB6_2057 Depth=2
	v_cmp_ne_u32_e32 vcc, 0, v3
	v_mov_b32_e32 v56, 0
	s_and_saveexec_b64 s[66:67], vcc
	s_cbranch_execz .LBB6_2361
; %bb.2352:                             ;   in Loop: Header=BB6_2057 Depth=2
	v_bfe_u32 v2, v3, 23, 8
	v_sub_u32_e32 v5, 0x79, v2
	v_cmp_gt_u32_e32 vcc, s78, v2
	v_cndmask_b32_e32 v5, 0, v5, vcc
	v_cmp_eq_u32_e32 vcc, 0, v2
	v_or_b32_e32 v6, 0x800000, v54
	v_cndmask_b32_e32 v5, v5, v32, vcc
	v_add_u32_e32 v3, 0xffffff81, v2
	v_cndmask_b32_e32 v54, v6, v54, vcc
	v_add_u32_e32 v2, 20, v5
	v_cndmask_b32_e32 v16, v3, v33, vcc
	v_lshlrev_b64 v[2:3], v2, -1
	v_lshrrev_b64 v[8:9], v5, v[54:55]
	v_not_b32_e32 v3, v3
	v_not_b32_e32 v2, v2
	v_add_u32_e32 v6, 19, v5
	v_lshrrev_b32_e32 v20, 23, v8
	v_and_b32_e32 v3, 0, v3
	v_and_b32_e32 v2, v54, v2
	v_lshlrev_b64 v[6:7], v6, 1
	v_add3_u32 v20, v5, v16, v20
	v_bfe_u32 v5, v8, 20, 1
	v_add_u32_e32 v5, -1, v5
	v_cmp_eq_u64_e32 vcc, v[2:3], v[6:7]
	v_cndmask_b32_e32 v2, 0, v5, vcc
	v_add_u32_e32 v2, v2, v8
	v_and_b32_e32 v2, 0xfffff, v2
	v_add_co_u32_e32 v2, vcc, v2, v8
	v_add_u32_e32 v16, 6, v20
	v_addc_co_u32_e32 v3, vcc, 0, v9, vcc
	v_cmp_ne_u32_e32 vcc, 0, v16
                                        ; implicit-def: $vgpr5
	s_and_saveexec_b64 s[24:25], vcc
	s_xor_b64 s[24:25], exec, s[24:25]
; %bb.2353:                             ;   in Loop: Header=BB6_2057 Depth=2
	v_cmp_lt_u64_e32 vcc, s[50:51], v[2:3]
	v_add_u32_e32 v5, 7, v20
	v_cndmask_b32_e64 v6, 0, 1, vcc
	v_cndmask_b32_e32 v5, v16, v5, vcc
	v_lshrrev_b64 v[2:3], v6, v[2:3]
; %bb.2354:                             ;   in Loop: Header=BB6_2057 Depth=2
	s_andn2_saveexec_b64 s[24:25], s[24:25]
; %bb.2355:                             ;   in Loop: Header=BB6_2057 Depth=2
	v_bfe_u32 v5, v2, 23, 1
; %bb.2356:                             ;   in Loop: Header=BB6_2057 Depth=2
	s_or_b64 exec, exec, s[24:25]
	v_lshrrev_b64 v[2:3], 20, v[2:3]
	v_cmp_gt_i32_e32 vcc, 16, v5
	v_cndmask_b32_e32 v3, 0, v3, vcc
	v_cndmask_b32_e32 v2, 7, v2, vcc
	v_cmp_ne_u32_e32 vcc, 0, v5
	v_cmp_ne_u64_e64 s[24:25], 0, v[2:3]
	s_or_b64 s[24:25], vcc, s[24:25]
                                        ; implicit-def: $vgpr56
	s_and_saveexec_b64 vcc, s[24:25]
	s_xor_b64 s[24:25], exec, vcc
; %bb.2357:                             ;   in Loop: Header=BB6_2057 Depth=2
	v_min_i32_e32 v3, 15, v5
	v_lshl_or_b32 v3, v3, 3, v4
	v_and_or_b32 v56, v2, 7, v3
                                        ; implicit-def: $vgpr4
; %bb.2358:                             ;   in Loop: Header=BB6_2057 Depth=2
	s_andn2_saveexec_b64 s[24:25], s[24:25]
; %bb.2359:                             ;   in Loop: Header=BB6_2057 Depth=2
	v_mov_b32_e32 v56, v4
; %bb.2360:                             ;   in Loop: Header=BB6_2057 Depth=2
	s_or_b64 exec, exec, s[24:25]
.LBB6_2361:                             ;   in Loop: Header=BB6_2057 Depth=2
	s_or_b64 exec, exec, s[66:67]
.LBB6_2362:                             ;   in Loop: Header=BB6_2057 Depth=2
	s_andn2_saveexec_b64 s[24:25], s[64:65]
	s_or_b64 exec, exec, s[24:25]
                                        ; implicit-def: $vgpr3
.LBB6_2363:                             ;   in Loop: Header=BB6_2057 Depth=2
	s_andn2_saveexec_b64 s[24:25], s[62:63]
; %bb.2364:                             ;   in Loop: Header=BB6_2057 Depth=2
	v_or_b32_sdwa v2, v3, s76 dst_sel:DWORD dst_unused:UNUSED_PAD src0_sel:BYTE_3 src1_sel:DWORD
	v_cmp_eq_u64_e32 vcc, 0, v[54:55]
	v_cndmask_b32_e32 v56, v2, v56, vcc
; %bb.2365:                             ;   in Loop: Header=BB6_2057 Depth=2
	s_or_b64 exec, exec, s[24:25]
	v_and_b32_e32 v2, 0xff, v60
	s_and_b64 vcc, exec, s[22:23]
	v_cmp_ne_u16_e64 s[24:25], 0, v2
	s_cbranch_vccnz .LBB6_2379
; %bb.2366:                             ;   in Loop: Header=BB6_2057 Depth=2
	v_mov_b32_e32 v4, 0
	v_mov_b32_e32 v3, 0
	s_and_saveexec_b64 s[62:63], s[24:25]
	s_cbranch_execz .LBB6_2372
; %bb.2367:                             ;   in Loop: Header=BB6_2057 Depth=2
	v_cmp_ne_u16_e32 vcc, s75, v2
	v_bfrev_b32_e32 v3, 1
	s_and_saveexec_b64 s[64:65], vcc
	s_cbranch_execz .LBB6_2371
; %bb.2368:                             ;   in Loop: Header=BB6_2057 Depth=2
	v_and_b32_e32 v5, 0x7f, v60
	v_cmp_ne_u32_e32 vcc, s76, v5
	v_mov_b32_e32 v3, 0x7f800001
	s_and_saveexec_b64 s[66:67], vcc
	s_cbranch_execz .LBB6_2370
; %bb.2369:                             ;   in Loop: Header=BB6_2057 Depth=2
	v_and_b32_e32 v3, 7, v2
	v_ffbh_u32_e32 v6, v3
	v_min_u32_e32 v9, 32, v6
	v_subrev_u32_e32 v6, 28, v9
	v_lshlrev_b64 v[6:7], v6, v[2:3]
	v_lshrrev_b32_e32 v8, 3, v5
	v_sub_u32_e32 v7, 29, v9
	v_and_b32_e32 v6, 7, v6
	v_cmp_gt_u32_e32 vcc, 8, v5
	v_cndmask_b32_e32 v5, v8, v7, vcc
	v_cndmask_b32_e32 v3, v3, v6, vcc
	v_lshlrev_b32_e32 v6, 24, v60
	v_lshlrev_b32_e32 v3, 20, v3
	v_and_b32_e32 v6, 0x80000000, v6
	v_lshl_add_u32 v5, v5, 23, v26
	v_or3_b32 v3, v6, v5, v3
.LBB6_2370:                             ;   in Loop: Header=BB6_2057 Depth=2
	s_or_b64 exec, exec, s[66:67]
.LBB6_2371:                             ;   in Loop: Header=BB6_2057 Depth=2
	s_or_b64 exec, exec, s[64:65]
.LBB6_2372:                             ;   in Loop: Header=BB6_2057 Depth=2
	s_or_b64 exec, exec, s[62:63]
	v_and_b32_e32 v16, 0xff, v59
	v_cmp_ne_u16_e32 vcc, 0, v16
	s_and_saveexec_b64 s[62:63], vcc
	s_cbranch_execz .LBB6_2378
; %bb.2373:                             ;   in Loop: Header=BB6_2057 Depth=2
	v_cmp_ne_u16_e32 vcc, s75, v16
	v_bfrev_b32_e32 v4, 1
	s_and_saveexec_b64 s[64:65], vcc
	s_cbranch_execz .LBB6_2377
; %bb.2374:                             ;   in Loop: Header=BB6_2057 Depth=2
	v_and_b32_e32 v5, 0x7f, v59
	v_cmp_ne_u32_e32 vcc, s76, v5
	v_mov_b32_e32 v4, 0x7f800001
	s_and_saveexec_b64 s[66:67], vcc
	s_cbranch_execz .LBB6_2376
; %bb.2375:                             ;   in Loop: Header=BB6_2057 Depth=2
	v_and_b32_e32 v4, 7, v16
	v_ffbh_u32_e32 v6, v4
	v_min_u32_e32 v9, 32, v6
	v_subrev_u32_e32 v6, 28, v9
	v_lshlrev_b64 v[6:7], v6, v[16:17]
	v_lshrrev_b32_e32 v8, 3, v5
	v_sub_u32_e32 v7, 29, v9
	v_and_b32_e32 v6, 7, v6
	v_cmp_gt_u32_e32 vcc, 8, v5
	v_cndmask_b32_e32 v5, v8, v7, vcc
	v_cndmask_b32_e32 v4, v4, v6, vcc
	v_lshlrev_b32_e32 v6, 24, v59
	v_lshlrev_b32_e32 v4, 20, v4
	v_and_b32_e32 v6, 0x80000000, v6
	v_lshl_add_u32 v5, v5, 23, v26
	v_or3_b32 v4, v6, v5, v4
.LBB6_2376:                             ;   in Loop: Header=BB6_2057 Depth=2
	s_or_b64 exec, exec, s[66:67]
.LBB6_2377:                             ;   in Loop: Header=BB6_2057 Depth=2
	s_or_b64 exec, exec, s[64:65]
.LBB6_2378:                             ;   in Loop: Header=BB6_2057 Depth=2
	s_or_b64 exec, exec, s[62:63]
	v_max_f32_e32 v4, v4, v4
	v_max_f32_e32 v3, v3, v3
	;; [unrolled: 1-line block ×3, first 2 shown]
	s_branch .LBB6_2393
.LBB6_2379:                             ;   in Loop: Header=BB6_2057 Depth=2
                                        ; implicit-def: $vgpr3
	s_cbranch_execz .LBB6_2393
; %bb.2380:                             ;   in Loop: Header=BB6_2057 Depth=2
	v_mov_b32_e32 v4, 0
	v_mov_b32_e32 v3, 0
	s_and_saveexec_b64 s[62:63], s[24:25]
	s_cbranch_execz .LBB6_2386
; %bb.2381:                             ;   in Loop: Header=BB6_2057 Depth=2
	v_cmp_ne_u16_e32 vcc, s75, v2
	v_bfrev_b32_e32 v3, 1
	s_and_saveexec_b64 s[24:25], vcc
	s_cbranch_execz .LBB6_2385
; %bb.2382:                             ;   in Loop: Header=BB6_2057 Depth=2
	v_and_b32_e32 v5, 0x7f, v60
	v_cmp_ne_u32_e32 vcc, s76, v5
	v_mov_b32_e32 v3, 0x7f800001
	s_and_saveexec_b64 s[64:65], vcc
	s_cbranch_execz .LBB6_2384
; %bb.2383:                             ;   in Loop: Header=BB6_2057 Depth=2
	v_and_b32_e32 v6, 7, v2
	v_ffbh_u32_e32 v3, v6
	v_min_u32_e32 v8, 32, v3
	v_subrev_u32_e32 v3, 28, v8
	v_lshlrev_b64 v[2:3], v3, v[2:3]
	v_lshrrev_b32_e32 v7, 3, v5
	v_sub_u32_e32 v3, 29, v8
	v_and_b32_e32 v2, 7, v2
	v_cmp_gt_u32_e32 vcc, 8, v5
	v_cndmask_b32_e32 v3, v7, v3, vcc
	v_cndmask_b32_e32 v2, v6, v2, vcc
	v_lshlrev_b32_e32 v5, 24, v60
	v_lshlrev_b32_e32 v2, 20, v2
	v_and_b32_e32 v5, 0x80000000, v5
	v_lshl_add_u32 v3, v3, 23, v26
	v_or3_b32 v3, v5, v3, v2
.LBB6_2384:                             ;   in Loop: Header=BB6_2057 Depth=2
	s_or_b64 exec, exec, s[64:65]
.LBB6_2385:                             ;   in Loop: Header=BB6_2057 Depth=2
	s_or_b64 exec, exec, s[24:25]
.LBB6_2386:                             ;   in Loop: Header=BB6_2057 Depth=2
	s_or_b64 exec, exec, s[62:63]
	v_and_b32_e32 v2, 0xff, v59
	v_cmp_ne_u16_e32 vcc, 0, v2
	s_and_saveexec_b64 s[24:25], vcc
	s_cbranch_execz .LBB6_2392
; %bb.2387:                             ;   in Loop: Header=BB6_2057 Depth=2
	v_cmp_ne_u16_e32 vcc, s75, v2
	v_bfrev_b32_e32 v4, 1
	s_and_saveexec_b64 s[62:63], vcc
	s_cbranch_execz .LBB6_2391
; %bb.2388:                             ;   in Loop: Header=BB6_2057 Depth=2
	v_and_b32_e32 v5, 0x7f, v59
	v_cmp_ne_u32_e32 vcc, s76, v5
	v_mov_b32_e32 v4, 0x7f800001
	s_and_saveexec_b64 s[64:65], vcc
	s_cbranch_execz .LBB6_2390
; %bb.2389:                             ;   in Loop: Header=BB6_2057 Depth=2
	v_and_b32_e32 v4, 7, v2
	v_ffbh_u32_e32 v6, v4
	v_min_u32_e32 v9, 32, v6
	v_subrev_u32_e32 v6, 28, v9
	v_lshlrev_b64 v[6:7], v6, v[2:3]
	v_lshrrev_b32_e32 v8, 3, v5
	v_sub_u32_e32 v2, 29, v9
	v_and_b32_e32 v6, 7, v6
	v_cmp_gt_u32_e32 vcc, 8, v5
	v_cndmask_b32_e32 v2, v8, v2, vcc
	v_cndmask_b32_e32 v4, v4, v6, vcc
	v_lshlrev_b32_e32 v5, 24, v59
	v_lshlrev_b32_e32 v4, 20, v4
	v_and_b32_e32 v5, 0x80000000, v5
	v_lshl_add_u32 v2, v2, 23, v26
	v_or3_b32 v4, v5, v2, v4
.LBB6_2390:                             ;   in Loop: Header=BB6_2057 Depth=2
	s_or_b64 exec, exec, s[64:65]
.LBB6_2391:                             ;   in Loop: Header=BB6_2057 Depth=2
	s_or_b64 exec, exec, s[62:63]
.LBB6_2392:                             ;   in Loop: Header=BB6_2057 Depth=2
	s_or_b64 exec, exec, s[24:25]
	v_max_f32_e32 v2, v4, v4
	v_max_f32_e32 v3, v3, v3
	v_min_f32_e32 v3, v3, v2
.LBB6_2393:                             ;   in Loop: Header=BB6_2057 Depth=2
	v_and_b32_sdwa v4, v3, s75 dst_sel:DWORD dst_unused:UNUSED_PAD src0_sel:BYTE_3 src1_sel:DWORD
	v_and_b32_e32 v6, 0x7f800000, v3
	v_mov_b32_e32 v7, v55
	v_and_b32_e32 v54, 0x7fffff, v3
	v_or_b32_e32 v59, 0x7e, v4
	v_cmp_ne_u64_e32 vcc, s[44:45], v[6:7]
	s_and_saveexec_b64 s[24:25], vcc
	s_xor_b64 s[62:63], exec, s[24:25]
	s_cbranch_execz .LBB6_2407
; %bb.2394:                             ;   in Loop: Header=BB6_2057 Depth=2
	v_and_b32_e32 v6, 0x7fffffff, v3
	v_mov_b32_e32 v7, v55
	v_cmp_gt_u64_e32 vcc, s[46:47], v[6:7]
	s_and_saveexec_b64 s[24:25], vcc
	s_xor_b64 s[64:65], exec, s[24:25]
	s_cbranch_execz .LBB6_2406
; %bb.2395:                             ;   in Loop: Header=BB6_2057 Depth=2
	v_cmp_ne_u32_e32 vcc, 0, v3
	v_mov_b32_e32 v59, 0
	s_and_saveexec_b64 s[66:67], vcc
	s_cbranch_execz .LBB6_2405
; %bb.2396:                             ;   in Loop: Header=BB6_2057 Depth=2
	v_bfe_u32 v2, v3, 23, 8
	v_sub_u32_e32 v5, 0x79, v2
	v_cmp_gt_u32_e32 vcc, s78, v2
	v_cndmask_b32_e32 v5, 0, v5, vcc
	v_cmp_eq_u32_e32 vcc, 0, v2
	v_or_b32_e32 v6, 0x800000, v54
	v_cndmask_b32_e32 v5, v5, v32, vcc
	v_add_u32_e32 v3, 0xffffff81, v2
	v_cndmask_b32_e32 v54, v6, v54, vcc
	v_add_u32_e32 v2, 20, v5
	v_cndmask_b32_e32 v16, v3, v33, vcc
	v_lshlrev_b64 v[2:3], v2, -1
	v_lshrrev_b64 v[8:9], v5, v[54:55]
	v_not_b32_e32 v3, v3
	v_not_b32_e32 v2, v2
	v_add_u32_e32 v6, 19, v5
	v_lshrrev_b32_e32 v20, 23, v8
	v_and_b32_e32 v3, 0, v3
	v_and_b32_e32 v2, v54, v2
	v_lshlrev_b64 v[6:7], v6, 1
	v_add3_u32 v20, v5, v16, v20
	v_bfe_u32 v5, v8, 20, 1
	v_add_u32_e32 v5, -1, v5
	v_cmp_eq_u64_e32 vcc, v[2:3], v[6:7]
	v_cndmask_b32_e32 v2, 0, v5, vcc
	v_add_u32_e32 v2, v2, v8
	v_and_b32_e32 v2, 0xfffff, v2
	v_add_co_u32_e32 v2, vcc, v2, v8
	v_add_u32_e32 v16, 6, v20
	v_addc_co_u32_e32 v3, vcc, 0, v9, vcc
	v_cmp_ne_u32_e32 vcc, 0, v16
                                        ; implicit-def: $vgpr5
	s_and_saveexec_b64 s[24:25], vcc
	s_xor_b64 s[24:25], exec, s[24:25]
; %bb.2397:                             ;   in Loop: Header=BB6_2057 Depth=2
	v_cmp_lt_u64_e32 vcc, s[50:51], v[2:3]
	v_add_u32_e32 v5, 7, v20
	v_cndmask_b32_e64 v6, 0, 1, vcc
	v_cndmask_b32_e32 v5, v16, v5, vcc
	v_lshrrev_b64 v[2:3], v6, v[2:3]
; %bb.2398:                             ;   in Loop: Header=BB6_2057 Depth=2
	s_andn2_saveexec_b64 s[24:25], s[24:25]
; %bb.2399:                             ;   in Loop: Header=BB6_2057 Depth=2
	v_bfe_u32 v5, v2, 23, 1
; %bb.2400:                             ;   in Loop: Header=BB6_2057 Depth=2
	s_or_b64 exec, exec, s[24:25]
	v_lshrrev_b64 v[2:3], 20, v[2:3]
	v_cmp_gt_i32_e32 vcc, 16, v5
	v_cndmask_b32_e32 v3, 0, v3, vcc
	v_cndmask_b32_e32 v2, 7, v2, vcc
	v_cmp_ne_u32_e32 vcc, 0, v5
	v_cmp_ne_u64_e64 s[24:25], 0, v[2:3]
	s_or_b64 s[24:25], vcc, s[24:25]
                                        ; implicit-def: $vgpr59
	s_and_saveexec_b64 vcc, s[24:25]
	s_xor_b64 s[24:25], exec, vcc
; %bb.2401:                             ;   in Loop: Header=BB6_2057 Depth=2
	v_min_i32_e32 v3, 15, v5
	v_lshl_or_b32 v3, v3, 3, v4
	v_and_or_b32 v59, v2, 7, v3
                                        ; implicit-def: $vgpr4
; %bb.2402:                             ;   in Loop: Header=BB6_2057 Depth=2
	s_andn2_saveexec_b64 s[24:25], s[24:25]
; %bb.2403:                             ;   in Loop: Header=BB6_2057 Depth=2
	v_mov_b32_e32 v59, v4
; %bb.2404:                             ;   in Loop: Header=BB6_2057 Depth=2
	s_or_b64 exec, exec, s[24:25]
.LBB6_2405:                             ;   in Loop: Header=BB6_2057 Depth=2
	s_or_b64 exec, exec, s[66:67]
.LBB6_2406:                             ;   in Loop: Header=BB6_2057 Depth=2
	s_andn2_saveexec_b64 s[24:25], s[64:65]
	s_or_b64 exec, exec, s[24:25]
                                        ; implicit-def: $vgpr3
.LBB6_2407:                             ;   in Loop: Header=BB6_2057 Depth=2
	s_andn2_saveexec_b64 s[24:25], s[62:63]
; %bb.2408:                             ;   in Loop: Header=BB6_2057 Depth=2
	v_or_b32_sdwa v2, v3, s76 dst_sel:DWORD dst_unused:UNUSED_PAD src0_sel:BYTE_3 src1_sel:DWORD
	v_cmp_eq_u64_e32 vcc, 0, v[54:55]
	v_cndmask_b32_e32 v59, v2, v59, vcc
; %bb.2409:                             ;   in Loop: Header=BB6_2057 Depth=2
	s_or_b64 exec, exec, s[24:25]
	v_and_b32_e32 v2, 0xff, v58
	s_and_b64 vcc, exec, s[22:23]
	v_cmp_ne_u16_e64 s[24:25], 0, v2
	s_cbranch_vccnz .LBB6_2423
; %bb.2410:                             ;   in Loop: Header=BB6_2057 Depth=2
	v_mov_b32_e32 v4, 0
	v_mov_b32_e32 v3, 0
	s_and_saveexec_b64 s[62:63], s[24:25]
	s_cbranch_execz .LBB6_2416
; %bb.2411:                             ;   in Loop: Header=BB6_2057 Depth=2
	v_cmp_ne_u16_e32 vcc, s75, v2
	v_bfrev_b32_e32 v3, 1
	s_and_saveexec_b64 s[64:65], vcc
	s_cbranch_execz .LBB6_2415
; %bb.2412:                             ;   in Loop: Header=BB6_2057 Depth=2
	v_and_b32_e32 v5, 0x7f, v58
	v_cmp_ne_u32_e32 vcc, s76, v5
	v_mov_b32_e32 v3, 0x7f800001
	s_and_saveexec_b64 s[66:67], vcc
	s_cbranch_execz .LBB6_2414
; %bb.2413:                             ;   in Loop: Header=BB6_2057 Depth=2
	v_and_b32_e32 v3, 7, v2
	v_ffbh_u32_e32 v6, v3
	v_min_u32_e32 v9, 32, v6
	v_subrev_u32_e32 v6, 28, v9
	v_lshlrev_b64 v[6:7], v6, v[2:3]
	v_lshrrev_b32_e32 v8, 3, v5
	v_sub_u32_e32 v7, 29, v9
	v_and_b32_e32 v6, 7, v6
	v_cmp_gt_u32_e32 vcc, 8, v5
	v_cndmask_b32_e32 v5, v8, v7, vcc
	v_cndmask_b32_e32 v3, v3, v6, vcc
	v_lshlrev_b32_e32 v6, 24, v58
	v_lshlrev_b32_e32 v3, 20, v3
	v_and_b32_e32 v6, 0x80000000, v6
	v_lshl_add_u32 v5, v5, 23, v26
	v_or3_b32 v3, v6, v5, v3
.LBB6_2414:                             ;   in Loop: Header=BB6_2057 Depth=2
	s_or_b64 exec, exec, s[66:67]
.LBB6_2415:                             ;   in Loop: Header=BB6_2057 Depth=2
	s_or_b64 exec, exec, s[64:65]
.LBB6_2416:                             ;   in Loop: Header=BB6_2057 Depth=2
	s_or_b64 exec, exec, s[62:63]
	v_and_b32_e32 v16, 0xff, v57
	v_cmp_ne_u16_e32 vcc, 0, v16
	s_and_saveexec_b64 s[62:63], vcc
	s_cbranch_execz .LBB6_2422
; %bb.2417:                             ;   in Loop: Header=BB6_2057 Depth=2
	v_cmp_ne_u16_e32 vcc, s75, v16
	v_bfrev_b32_e32 v4, 1
	s_and_saveexec_b64 s[64:65], vcc
	s_cbranch_execz .LBB6_2421
; %bb.2418:                             ;   in Loop: Header=BB6_2057 Depth=2
	v_and_b32_e32 v5, 0x7f, v57
	v_cmp_ne_u32_e32 vcc, s76, v5
	v_mov_b32_e32 v4, 0x7f800001
	s_and_saveexec_b64 s[66:67], vcc
	s_cbranch_execz .LBB6_2420
; %bb.2419:                             ;   in Loop: Header=BB6_2057 Depth=2
	v_and_b32_e32 v4, 7, v16
	v_ffbh_u32_e32 v6, v4
	v_min_u32_e32 v9, 32, v6
	v_subrev_u32_e32 v6, 28, v9
	v_lshlrev_b64 v[6:7], v6, v[16:17]
	v_lshrrev_b32_e32 v8, 3, v5
	v_sub_u32_e32 v7, 29, v9
	v_and_b32_e32 v6, 7, v6
	v_cmp_gt_u32_e32 vcc, 8, v5
	v_cndmask_b32_e32 v5, v8, v7, vcc
	v_cndmask_b32_e32 v4, v4, v6, vcc
	v_lshlrev_b32_e32 v6, 24, v57
	v_lshlrev_b32_e32 v4, 20, v4
	v_and_b32_e32 v6, 0x80000000, v6
	v_lshl_add_u32 v5, v5, 23, v26
	v_or3_b32 v4, v6, v5, v4
.LBB6_2420:                             ;   in Loop: Header=BB6_2057 Depth=2
	s_or_b64 exec, exec, s[66:67]
.LBB6_2421:                             ;   in Loop: Header=BB6_2057 Depth=2
	s_or_b64 exec, exec, s[64:65]
.LBB6_2422:                             ;   in Loop: Header=BB6_2057 Depth=2
	s_or_b64 exec, exec, s[62:63]
	v_max_f32_e32 v4, v4, v4
	v_max_f32_e32 v3, v3, v3
	;; [unrolled: 1-line block ×3, first 2 shown]
	s_branch .LBB6_2437
.LBB6_2423:                             ;   in Loop: Header=BB6_2057 Depth=2
                                        ; implicit-def: $vgpr3
	s_cbranch_execz .LBB6_2437
; %bb.2424:                             ;   in Loop: Header=BB6_2057 Depth=2
	v_mov_b32_e32 v4, 0
	v_mov_b32_e32 v3, 0
	s_and_saveexec_b64 s[62:63], s[24:25]
	s_cbranch_execz .LBB6_2430
; %bb.2425:                             ;   in Loop: Header=BB6_2057 Depth=2
	v_cmp_ne_u16_e32 vcc, s75, v2
	v_bfrev_b32_e32 v3, 1
	s_and_saveexec_b64 s[24:25], vcc
	s_cbranch_execz .LBB6_2429
; %bb.2426:                             ;   in Loop: Header=BB6_2057 Depth=2
	v_and_b32_e32 v5, 0x7f, v58
	v_cmp_ne_u32_e32 vcc, s76, v5
	v_mov_b32_e32 v3, 0x7f800001
	s_and_saveexec_b64 s[64:65], vcc
	s_cbranch_execz .LBB6_2428
; %bb.2427:                             ;   in Loop: Header=BB6_2057 Depth=2
	v_and_b32_e32 v6, 7, v2
	v_ffbh_u32_e32 v3, v6
	v_min_u32_e32 v8, 32, v3
	v_subrev_u32_e32 v3, 28, v8
	v_lshlrev_b64 v[2:3], v3, v[2:3]
	v_lshrrev_b32_e32 v7, 3, v5
	v_sub_u32_e32 v3, 29, v8
	v_and_b32_e32 v2, 7, v2
	v_cmp_gt_u32_e32 vcc, 8, v5
	v_cndmask_b32_e32 v3, v7, v3, vcc
	v_cndmask_b32_e32 v2, v6, v2, vcc
	v_lshlrev_b32_e32 v5, 24, v58
	v_lshlrev_b32_e32 v2, 20, v2
	v_and_b32_e32 v5, 0x80000000, v5
	v_lshl_add_u32 v3, v3, 23, v26
	v_or3_b32 v3, v5, v3, v2
.LBB6_2428:                             ;   in Loop: Header=BB6_2057 Depth=2
	s_or_b64 exec, exec, s[64:65]
.LBB6_2429:                             ;   in Loop: Header=BB6_2057 Depth=2
	s_or_b64 exec, exec, s[24:25]
.LBB6_2430:                             ;   in Loop: Header=BB6_2057 Depth=2
	s_or_b64 exec, exec, s[62:63]
	v_and_b32_e32 v2, 0xff, v57
	v_cmp_ne_u16_e32 vcc, 0, v2
	s_and_saveexec_b64 s[24:25], vcc
	s_cbranch_execz .LBB6_2436
; %bb.2431:                             ;   in Loop: Header=BB6_2057 Depth=2
	v_cmp_ne_u16_e32 vcc, s75, v2
	v_bfrev_b32_e32 v4, 1
	s_and_saveexec_b64 s[62:63], vcc
	s_cbranch_execz .LBB6_2435
; %bb.2432:                             ;   in Loop: Header=BB6_2057 Depth=2
	v_and_b32_e32 v5, 0x7f, v57
	v_cmp_ne_u32_e32 vcc, s76, v5
	v_mov_b32_e32 v4, 0x7f800001
	s_and_saveexec_b64 s[64:65], vcc
	s_cbranch_execz .LBB6_2434
; %bb.2433:                             ;   in Loop: Header=BB6_2057 Depth=2
	v_and_b32_e32 v4, 7, v2
	v_ffbh_u32_e32 v6, v4
	v_min_u32_e32 v9, 32, v6
	v_subrev_u32_e32 v6, 28, v9
	v_lshlrev_b64 v[6:7], v6, v[2:3]
	v_lshrrev_b32_e32 v8, 3, v5
	v_sub_u32_e32 v2, 29, v9
	v_and_b32_e32 v6, 7, v6
	v_cmp_gt_u32_e32 vcc, 8, v5
	v_cndmask_b32_e32 v2, v8, v2, vcc
	v_cndmask_b32_e32 v4, v4, v6, vcc
	v_lshlrev_b32_e32 v5, 24, v57
	v_lshlrev_b32_e32 v4, 20, v4
	v_and_b32_e32 v5, 0x80000000, v5
	v_lshl_add_u32 v2, v2, 23, v26
	v_or3_b32 v4, v5, v2, v4
.LBB6_2434:                             ;   in Loop: Header=BB6_2057 Depth=2
	s_or_b64 exec, exec, s[64:65]
.LBB6_2435:                             ;   in Loop: Header=BB6_2057 Depth=2
	s_or_b64 exec, exec, s[62:63]
.LBB6_2436:                             ;   in Loop: Header=BB6_2057 Depth=2
	s_or_b64 exec, exec, s[24:25]
	v_max_f32_e32 v2, v4, v4
	v_max_f32_e32 v3, v3, v3
	v_min_f32_e32 v3, v3, v2
.LBB6_2437:                             ;   in Loop: Header=BB6_2057 Depth=2
	v_and_b32_sdwa v4, v3, s75 dst_sel:DWORD dst_unused:UNUSED_PAD src0_sel:BYTE_3 src1_sel:DWORD
	v_and_b32_e32 v6, 0x7f800000, v3
	v_mov_b32_e32 v7, v55
	v_and_b32_e32 v54, 0x7fffff, v3
	v_or_b32_e32 v57, 0x7e, v4
	v_cmp_ne_u64_e32 vcc, s[44:45], v[6:7]
	s_and_saveexec_b64 s[24:25], vcc
	s_xor_b64 s[62:63], exec, s[24:25]
	s_cbranch_execz .LBB6_2451
; %bb.2438:                             ;   in Loop: Header=BB6_2057 Depth=2
	v_and_b32_e32 v6, 0x7fffffff, v3
	v_mov_b32_e32 v7, v55
	v_cmp_gt_u64_e32 vcc, s[46:47], v[6:7]
	s_and_saveexec_b64 s[24:25], vcc
	s_xor_b64 s[64:65], exec, s[24:25]
	s_cbranch_execz .LBB6_2450
; %bb.2439:                             ;   in Loop: Header=BB6_2057 Depth=2
	v_cmp_ne_u32_e32 vcc, 0, v3
	v_mov_b32_e32 v57, 0
	s_and_saveexec_b64 s[66:67], vcc
	s_cbranch_execz .LBB6_2449
; %bb.2440:                             ;   in Loop: Header=BB6_2057 Depth=2
	v_bfe_u32 v2, v3, 23, 8
	v_sub_u32_e32 v5, 0x79, v2
	v_cmp_gt_u32_e32 vcc, s78, v2
	v_cndmask_b32_e32 v5, 0, v5, vcc
	v_cmp_eq_u32_e32 vcc, 0, v2
	v_or_b32_e32 v6, 0x800000, v54
	v_cndmask_b32_e32 v5, v5, v32, vcc
	v_add_u32_e32 v3, 0xffffff81, v2
	v_cndmask_b32_e32 v54, v6, v54, vcc
	v_add_u32_e32 v2, 20, v5
	v_cndmask_b32_e32 v16, v3, v33, vcc
	v_lshlrev_b64 v[2:3], v2, -1
	v_lshrrev_b64 v[8:9], v5, v[54:55]
	v_not_b32_e32 v3, v3
	v_not_b32_e32 v2, v2
	v_add_u32_e32 v6, 19, v5
	v_lshrrev_b32_e32 v20, 23, v8
	v_and_b32_e32 v3, 0, v3
	v_and_b32_e32 v2, v54, v2
	v_lshlrev_b64 v[6:7], v6, 1
	v_add3_u32 v20, v5, v16, v20
	v_bfe_u32 v5, v8, 20, 1
	v_add_u32_e32 v5, -1, v5
	v_cmp_eq_u64_e32 vcc, v[2:3], v[6:7]
	v_cndmask_b32_e32 v2, 0, v5, vcc
	v_add_u32_e32 v2, v2, v8
	v_and_b32_e32 v2, 0xfffff, v2
	v_add_co_u32_e32 v2, vcc, v2, v8
	v_add_u32_e32 v16, 6, v20
	v_addc_co_u32_e32 v3, vcc, 0, v9, vcc
	v_cmp_ne_u32_e32 vcc, 0, v16
                                        ; implicit-def: $vgpr5
	s_and_saveexec_b64 s[24:25], vcc
	s_xor_b64 s[24:25], exec, s[24:25]
; %bb.2441:                             ;   in Loop: Header=BB6_2057 Depth=2
	v_cmp_lt_u64_e32 vcc, s[50:51], v[2:3]
	v_add_u32_e32 v5, 7, v20
	v_cndmask_b32_e64 v6, 0, 1, vcc
	v_cndmask_b32_e32 v5, v16, v5, vcc
	v_lshrrev_b64 v[2:3], v6, v[2:3]
; %bb.2442:                             ;   in Loop: Header=BB6_2057 Depth=2
	s_andn2_saveexec_b64 s[24:25], s[24:25]
; %bb.2443:                             ;   in Loop: Header=BB6_2057 Depth=2
	v_bfe_u32 v5, v2, 23, 1
; %bb.2444:                             ;   in Loop: Header=BB6_2057 Depth=2
	s_or_b64 exec, exec, s[24:25]
	v_lshrrev_b64 v[2:3], 20, v[2:3]
	v_cmp_gt_i32_e32 vcc, 16, v5
	v_cndmask_b32_e32 v3, 0, v3, vcc
	v_cndmask_b32_e32 v2, 7, v2, vcc
	v_cmp_ne_u32_e32 vcc, 0, v5
	v_cmp_ne_u64_e64 s[24:25], 0, v[2:3]
	s_or_b64 s[24:25], vcc, s[24:25]
                                        ; implicit-def: $vgpr57
	s_and_saveexec_b64 vcc, s[24:25]
	s_xor_b64 s[24:25], exec, vcc
; %bb.2445:                             ;   in Loop: Header=BB6_2057 Depth=2
	v_min_i32_e32 v3, 15, v5
	v_lshl_or_b32 v3, v3, 3, v4
	v_and_or_b32 v57, v2, 7, v3
                                        ; implicit-def: $vgpr4
; %bb.2446:                             ;   in Loop: Header=BB6_2057 Depth=2
	s_andn2_saveexec_b64 s[24:25], s[24:25]
; %bb.2447:                             ;   in Loop: Header=BB6_2057 Depth=2
	v_mov_b32_e32 v57, v4
; %bb.2448:                             ;   in Loop: Header=BB6_2057 Depth=2
	s_or_b64 exec, exec, s[24:25]
.LBB6_2449:                             ;   in Loop: Header=BB6_2057 Depth=2
	s_or_b64 exec, exec, s[66:67]
.LBB6_2450:                             ;   in Loop: Header=BB6_2057 Depth=2
	s_andn2_saveexec_b64 s[24:25], s[64:65]
	s_or_b64 exec, exec, s[24:25]
                                        ; implicit-def: $vgpr3
.LBB6_2451:                             ;   in Loop: Header=BB6_2057 Depth=2
	s_andn2_saveexec_b64 s[24:25], s[62:63]
; %bb.2452:                             ;   in Loop: Header=BB6_2057 Depth=2
	v_or_b32_sdwa v2, v3, s76 dst_sel:DWORD dst_unused:UNUSED_PAD src0_sel:BYTE_3 src1_sel:DWORD
	v_cmp_eq_u64_e32 vcc, 0, v[54:55]
	v_cndmask_b32_e32 v57, v2, v57, vcc
; %bb.2453:                             ;   in Loop: Header=BB6_2057 Depth=2
	s_or_b64 exec, exec, s[24:25]
	v_and_b32_e32 v2, 0xff, v47
	s_and_b64 vcc, exec, s[22:23]
	v_cmp_ne_u16_e64 s[24:25], 0, v2
	s_cbranch_vccnz .LBB6_2467
; %bb.2454:                             ;   in Loop: Header=BB6_2057 Depth=2
	v_mov_b32_e32 v4, 0
	v_mov_b32_e32 v3, 0
	s_and_saveexec_b64 s[62:63], s[24:25]
	s_cbranch_execz .LBB6_2460
; %bb.2455:                             ;   in Loop: Header=BB6_2057 Depth=2
	v_cmp_ne_u16_e32 vcc, s75, v2
	v_bfrev_b32_e32 v3, 1
	s_and_saveexec_b64 s[64:65], vcc
	s_cbranch_execz .LBB6_2459
; %bb.2456:                             ;   in Loop: Header=BB6_2057 Depth=2
	v_and_b32_e32 v5, 0x7f, v47
	v_cmp_ne_u32_e32 vcc, s76, v5
	v_mov_b32_e32 v3, 0x7f800001
	s_and_saveexec_b64 s[66:67], vcc
	s_cbranch_execz .LBB6_2458
; %bb.2457:                             ;   in Loop: Header=BB6_2057 Depth=2
	v_and_b32_e32 v3, 7, v2
	v_ffbh_u32_e32 v6, v3
	v_min_u32_e32 v9, 32, v6
	v_subrev_u32_e32 v6, 28, v9
	v_lshlrev_b64 v[6:7], v6, v[2:3]
	v_lshrrev_b32_e32 v8, 3, v5
	v_sub_u32_e32 v7, 29, v9
	v_and_b32_e32 v6, 7, v6
	v_cmp_gt_u32_e32 vcc, 8, v5
	v_cndmask_b32_e32 v5, v8, v7, vcc
	v_cndmask_b32_e32 v3, v3, v6, vcc
	v_lshlrev_b32_e32 v6, 24, v47
	v_lshlrev_b32_e32 v3, 20, v3
	v_and_b32_e32 v6, 0x80000000, v6
	v_lshl_add_u32 v5, v5, 23, v26
	v_or3_b32 v3, v6, v5, v3
.LBB6_2458:                             ;   in Loop: Header=BB6_2057 Depth=2
	s_or_b64 exec, exec, s[66:67]
.LBB6_2459:                             ;   in Loop: Header=BB6_2057 Depth=2
	s_or_b64 exec, exec, s[64:65]
.LBB6_2460:                             ;   in Loop: Header=BB6_2057 Depth=2
	s_or_b64 exec, exec, s[62:63]
	v_and_b32_e32 v16, 0xff, v0
	v_cmp_ne_u16_e32 vcc, 0, v16
	s_and_saveexec_b64 s[62:63], vcc
	s_cbranch_execz .LBB6_2466
; %bb.2461:                             ;   in Loop: Header=BB6_2057 Depth=2
	v_cmp_ne_u16_e32 vcc, s75, v16
	v_bfrev_b32_e32 v4, 1
	s_and_saveexec_b64 s[64:65], vcc
	s_cbranch_execz .LBB6_2465
; %bb.2462:                             ;   in Loop: Header=BB6_2057 Depth=2
	v_and_b32_e32 v5, 0x7f, v0
	v_cmp_ne_u32_e32 vcc, s76, v5
	v_mov_b32_e32 v4, 0x7f800001
	s_and_saveexec_b64 s[66:67], vcc
	s_cbranch_execz .LBB6_2464
; %bb.2463:                             ;   in Loop: Header=BB6_2057 Depth=2
	v_and_b32_e32 v4, 7, v16
	v_ffbh_u32_e32 v6, v4
	v_min_u32_e32 v9, 32, v6
	v_subrev_u32_e32 v6, 28, v9
	v_lshlrev_b64 v[6:7], v6, v[16:17]
	v_lshrrev_b32_e32 v8, 3, v5
	v_sub_u32_e32 v7, 29, v9
	v_and_b32_e32 v6, 7, v6
	v_cmp_gt_u32_e32 vcc, 8, v5
	v_cndmask_b32_e32 v5, v8, v7, vcc
	v_cndmask_b32_e32 v4, v4, v6, vcc
	v_lshlrev_b32_e32 v6, 24, v0
	v_lshlrev_b32_e32 v4, 20, v4
	v_and_b32_e32 v6, 0x80000000, v6
	v_lshl_add_u32 v5, v5, 23, v26
	v_or3_b32 v4, v6, v5, v4
.LBB6_2464:                             ;   in Loop: Header=BB6_2057 Depth=2
	s_or_b64 exec, exec, s[66:67]
.LBB6_2465:                             ;   in Loop: Header=BB6_2057 Depth=2
	s_or_b64 exec, exec, s[64:65]
.LBB6_2466:                             ;   in Loop: Header=BB6_2057 Depth=2
	s_or_b64 exec, exec, s[62:63]
	v_max_f32_e32 v4, v4, v4
	v_max_f32_e32 v3, v3, v3
	;; [unrolled: 1-line block ×3, first 2 shown]
	s_branch .LBB6_2481
.LBB6_2467:                             ;   in Loop: Header=BB6_2057 Depth=2
                                        ; implicit-def: $vgpr3
	s_cbranch_execz .LBB6_2481
; %bb.2468:                             ;   in Loop: Header=BB6_2057 Depth=2
	v_mov_b32_e32 v4, 0
	v_mov_b32_e32 v3, 0
	s_and_saveexec_b64 s[62:63], s[24:25]
	s_cbranch_execz .LBB6_2474
; %bb.2469:                             ;   in Loop: Header=BB6_2057 Depth=2
	v_cmp_ne_u16_e32 vcc, s75, v2
	v_bfrev_b32_e32 v3, 1
	s_and_saveexec_b64 s[24:25], vcc
	s_cbranch_execz .LBB6_2473
; %bb.2470:                             ;   in Loop: Header=BB6_2057 Depth=2
	v_and_b32_e32 v5, 0x7f, v47
	v_cmp_ne_u32_e32 vcc, s76, v5
	v_mov_b32_e32 v3, 0x7f800001
	s_and_saveexec_b64 s[64:65], vcc
	s_cbranch_execz .LBB6_2472
; %bb.2471:                             ;   in Loop: Header=BB6_2057 Depth=2
	v_and_b32_e32 v6, 7, v2
	v_ffbh_u32_e32 v3, v6
	v_min_u32_e32 v8, 32, v3
	v_subrev_u32_e32 v3, 28, v8
	v_lshlrev_b64 v[2:3], v3, v[2:3]
	v_lshrrev_b32_e32 v7, 3, v5
	v_sub_u32_e32 v3, 29, v8
	v_and_b32_e32 v2, 7, v2
	v_cmp_gt_u32_e32 vcc, 8, v5
	v_cndmask_b32_e32 v3, v7, v3, vcc
	v_cndmask_b32_e32 v2, v6, v2, vcc
	v_lshlrev_b32_e32 v5, 24, v47
	v_lshlrev_b32_e32 v2, 20, v2
	v_and_b32_e32 v5, 0x80000000, v5
	v_lshl_add_u32 v3, v3, 23, v26
	v_or3_b32 v3, v5, v3, v2
.LBB6_2472:                             ;   in Loop: Header=BB6_2057 Depth=2
	s_or_b64 exec, exec, s[64:65]
.LBB6_2473:                             ;   in Loop: Header=BB6_2057 Depth=2
	s_or_b64 exec, exec, s[24:25]
.LBB6_2474:                             ;   in Loop: Header=BB6_2057 Depth=2
	s_or_b64 exec, exec, s[62:63]
	v_and_b32_e32 v2, 0xff, v0
	v_cmp_ne_u16_e32 vcc, 0, v2
	s_and_saveexec_b64 s[24:25], vcc
	s_cbranch_execz .LBB6_2480
; %bb.2475:                             ;   in Loop: Header=BB6_2057 Depth=2
	v_cmp_ne_u16_e32 vcc, s75, v2
	v_bfrev_b32_e32 v4, 1
	s_and_saveexec_b64 s[62:63], vcc
	s_cbranch_execz .LBB6_2479
; %bb.2476:                             ;   in Loop: Header=BB6_2057 Depth=2
	v_and_b32_e32 v5, 0x7f, v0
	v_cmp_ne_u32_e32 vcc, s76, v5
	v_mov_b32_e32 v4, 0x7f800001
	s_and_saveexec_b64 s[64:65], vcc
	s_cbranch_execz .LBB6_2478
; %bb.2477:                             ;   in Loop: Header=BB6_2057 Depth=2
	v_and_b32_e32 v4, 7, v2
	v_ffbh_u32_e32 v6, v4
	v_min_u32_e32 v9, 32, v6
	v_subrev_u32_e32 v6, 28, v9
	v_lshlrev_b64 v[6:7], v6, v[2:3]
	v_lshrrev_b32_e32 v8, 3, v5
	v_sub_u32_e32 v2, 29, v9
	v_and_b32_e32 v6, 7, v6
	v_cmp_gt_u32_e32 vcc, 8, v5
	v_cndmask_b32_e32 v2, v8, v2, vcc
	v_cndmask_b32_e32 v4, v4, v6, vcc
	v_lshlrev_b32_e32 v0, 24, v0
	v_lshlrev_b32_e32 v4, 20, v4
	v_and_b32_e32 v0, 0x80000000, v0
	v_lshl_add_u32 v2, v2, 23, v26
	v_or3_b32 v4, v0, v2, v4
.LBB6_2478:                             ;   in Loop: Header=BB6_2057 Depth=2
	s_or_b64 exec, exec, s[64:65]
.LBB6_2479:                             ;   in Loop: Header=BB6_2057 Depth=2
	s_or_b64 exec, exec, s[62:63]
.LBB6_2480:                             ;   in Loop: Header=BB6_2057 Depth=2
	s_or_b64 exec, exec, s[24:25]
	v_max_f32_e32 v0, v4, v4
	v_max_f32_e32 v2, v3, v3
	v_min_f32_e32 v3, v2, v0
.LBB6_2481:                             ;   in Loop: Header=BB6_2057 Depth=2
	v_and_b32_sdwa v4, v3, s75 dst_sel:DWORD dst_unused:UNUSED_PAD src0_sel:BYTE_3 src1_sel:DWORD
	v_and_b32_e32 v6, 0x7f800000, v3
	v_mov_b32_e32 v7, v55
	v_and_b32_e32 v54, 0x7fffff, v3
	v_or_b32_e32 v0, 0x7e, v4
	v_cmp_ne_u64_e32 vcc, s[44:45], v[6:7]
	s_and_saveexec_b64 s[24:25], vcc
	s_xor_b64 s[62:63], exec, s[24:25]
	s_cbranch_execz .LBB6_2495
; %bb.2482:                             ;   in Loop: Header=BB6_2057 Depth=2
	v_and_b32_e32 v6, 0x7fffffff, v3
	v_mov_b32_e32 v7, v55
	v_cmp_gt_u64_e32 vcc, s[46:47], v[6:7]
	s_and_saveexec_b64 s[24:25], vcc
	s_xor_b64 s[64:65], exec, s[24:25]
	s_cbranch_execz .LBB6_2494
; %bb.2483:                             ;   in Loop: Header=BB6_2057 Depth=2
	v_cmp_ne_u32_e32 vcc, 0, v3
	v_mov_b32_e32 v0, 0
	s_and_saveexec_b64 s[66:67], vcc
	s_cbranch_execz .LBB6_2493
; %bb.2484:                             ;   in Loop: Header=BB6_2057 Depth=2
	v_bfe_u32 v0, v3, 23, 8
	v_sub_u32_e32 v3, 0x79, v0
	v_cmp_gt_u32_e32 vcc, s78, v0
	v_cndmask_b32_e32 v3, 0, v3, vcc
	v_cmp_eq_u32_e32 vcc, 0, v0
	v_add_u32_e32 v2, 0xffffff81, v0
	v_or_b32_e32 v5, 0x800000, v54
	v_cndmask_b32_e32 v16, v3, v32, vcc
	v_cndmask_b32_e32 v0, v2, v33, vcc
	;; [unrolled: 1-line block ×3, first 2 shown]
	v_add_u32_e32 v2, 20, v16
	v_lshlrev_b64 v[2:3], v2, -1
	v_add_u32_e32 v5, 19, v16
	v_lshrrev_b64 v[8:9], v16, v[54:55]
	v_not_b32_e32 v3, v3
	v_not_b32_e32 v2, v2
	v_lshlrev_b64 v[6:7], v5, 1
	v_lshrrev_b32_e32 v5, 23, v8
	v_and_b32_e32 v3, 0, v3
	v_and_b32_e32 v2, v54, v2
	v_add3_u32 v16, v16, v0, v5
	v_bfe_u32 v5, v8, 20, 1
	v_add_u32_e32 v5, -1, v5
	v_cmp_eq_u64_e32 vcc, v[2:3], v[6:7]
	v_cndmask_b32_e32 v2, 0, v5, vcc
	v_add_u32_e32 v2, v2, v8
	v_and_b32_e32 v2, 0xfffff, v2
	v_add_co_u32_e32 v2, vcc, v2, v8
	v_add_u32_e32 v0, 6, v16
	v_addc_co_u32_e32 v3, vcc, 0, v9, vcc
	v_cmp_ne_u32_e32 vcc, 0, v0
                                        ; implicit-def: $vgpr5
	s_and_saveexec_b64 s[24:25], vcc
	s_xor_b64 s[24:25], exec, s[24:25]
; %bb.2485:                             ;   in Loop: Header=BB6_2057 Depth=2
	v_add_u32_e32 v5, 7, v16
	v_cmp_lt_u64_e32 vcc, s[50:51], v[2:3]
	v_cndmask_b32_e32 v5, v0, v5, vcc
	v_cndmask_b32_e64 v0, 0, 1, vcc
	v_lshrrev_b64 v[2:3], v0, v[2:3]
; %bb.2486:                             ;   in Loop: Header=BB6_2057 Depth=2
	s_andn2_saveexec_b64 s[24:25], s[24:25]
; %bb.2487:                             ;   in Loop: Header=BB6_2057 Depth=2
	v_bfe_u32 v5, v2, 23, 1
; %bb.2488:                             ;   in Loop: Header=BB6_2057 Depth=2
	s_or_b64 exec, exec, s[24:25]
	v_lshrrev_b64 v[2:3], 20, v[2:3]
	v_cmp_gt_i32_e32 vcc, 16, v5
	v_cndmask_b32_e32 v3, 0, v3, vcc
	v_cndmask_b32_e32 v2, 7, v2, vcc
	v_cmp_ne_u32_e32 vcc, 0, v5
	v_cmp_ne_u64_e64 s[24:25], 0, v[2:3]
	s_or_b64 s[24:25], vcc, s[24:25]
                                        ; implicit-def: $vgpr0
	s_and_saveexec_b64 vcc, s[24:25]
	s_xor_b64 s[24:25], exec, vcc
; %bb.2489:                             ;   in Loop: Header=BB6_2057 Depth=2
	v_min_i32_e32 v0, 15, v5
	v_lshl_or_b32 v0, v0, 3, v4
	v_and_or_b32 v0, v2, 7, v0
                                        ; implicit-def: $vgpr4
; %bb.2490:                             ;   in Loop: Header=BB6_2057 Depth=2
	s_andn2_saveexec_b64 s[24:25], s[24:25]
; %bb.2491:                             ;   in Loop: Header=BB6_2057 Depth=2
	v_mov_b32_e32 v0, v4
; %bb.2492:                             ;   in Loop: Header=BB6_2057 Depth=2
	s_or_b64 exec, exec, s[24:25]
.LBB6_2493:                             ;   in Loop: Header=BB6_2057 Depth=2
	s_or_b64 exec, exec, s[66:67]
.LBB6_2494:                             ;   in Loop: Header=BB6_2057 Depth=2
	s_andn2_saveexec_b64 s[24:25], s[64:65]
	s_or_b64 exec, exec, s[24:25]
                                        ; implicit-def: $vgpr3
.LBB6_2495:                             ;   in Loop: Header=BB6_2057 Depth=2
	s_andn2_saveexec_b64 s[24:25], s[62:63]
; %bb.2496:                             ;   in Loop: Header=BB6_2057 Depth=2
	v_or_b32_sdwa v2, v3, s76 dst_sel:DWORD dst_unused:UNUSED_PAD src0_sel:BYTE_3 src1_sel:DWORD
	v_cmp_eq_u64_e32 vcc, 0, v[54:55]
	v_cndmask_b32_e32 v0, v2, v0, vcc
; %bb.2497:                             ;   in Loop: Header=BB6_2057 Depth=2
	s_or_b64 exec, exec, s[24:25]
	v_and_b32_e32 v2, 0xff, v43
	s_and_b64 vcc, exec, s[22:23]
	v_cmp_ne_u16_e64 s[24:25], 0, v2
	s_cbranch_vccnz .LBB6_2511
; %bb.2498:                             ;   in Loop: Header=BB6_2057 Depth=2
	v_mov_b32_e32 v4, 0
	v_mov_b32_e32 v3, 0
	s_and_saveexec_b64 s[62:63], s[24:25]
	s_cbranch_execz .LBB6_2504
; %bb.2499:                             ;   in Loop: Header=BB6_2057 Depth=2
	v_cmp_ne_u16_e32 vcc, s75, v2
	v_bfrev_b32_e32 v3, 1
	s_and_saveexec_b64 s[64:65], vcc
	s_cbranch_execz .LBB6_2503
; %bb.2500:                             ;   in Loop: Header=BB6_2057 Depth=2
	v_and_b32_e32 v5, 0x7f, v43
	v_cmp_ne_u32_e32 vcc, s76, v5
	v_mov_b32_e32 v3, 0x7f800001
	s_and_saveexec_b64 s[66:67], vcc
	s_cbranch_execz .LBB6_2502
; %bb.2501:                             ;   in Loop: Header=BB6_2057 Depth=2
	v_and_b32_e32 v3, 7, v2
	v_ffbh_u32_e32 v6, v3
	v_min_u32_e32 v9, 32, v6
	v_subrev_u32_e32 v6, 28, v9
	v_lshlrev_b64 v[6:7], v6, v[2:3]
	v_lshrrev_b32_e32 v8, 3, v5
	v_sub_u32_e32 v7, 29, v9
	v_and_b32_e32 v6, 7, v6
	v_cmp_gt_u32_e32 vcc, 8, v5
	v_cndmask_b32_e32 v5, v8, v7, vcc
	v_cndmask_b32_e32 v3, v3, v6, vcc
	v_lshlrev_b32_e32 v6, 24, v43
	v_lshlrev_b32_e32 v3, 20, v3
	v_and_b32_e32 v6, 0x80000000, v6
	v_lshl_add_u32 v5, v5, 23, v26
	v_or3_b32 v3, v6, v5, v3
.LBB6_2502:                             ;   in Loop: Header=BB6_2057 Depth=2
	s_or_b64 exec, exec, s[66:67]
.LBB6_2503:                             ;   in Loop: Header=BB6_2057 Depth=2
	s_or_b64 exec, exec, s[64:65]
.LBB6_2504:                             ;   in Loop: Header=BB6_2057 Depth=2
	s_or_b64 exec, exec, s[62:63]
	v_and_b32_e32 v16, 0xff, v27
	v_cmp_ne_u16_e32 vcc, 0, v16
	s_and_saveexec_b64 s[62:63], vcc
	s_cbranch_execz .LBB6_2510
; %bb.2505:                             ;   in Loop: Header=BB6_2057 Depth=2
	v_cmp_ne_u16_e32 vcc, s75, v16
	v_bfrev_b32_e32 v4, 1
	s_and_saveexec_b64 s[64:65], vcc
	s_cbranch_execz .LBB6_2509
; %bb.2506:                             ;   in Loop: Header=BB6_2057 Depth=2
	v_and_b32_e32 v5, 0x7f, v27
	v_cmp_ne_u32_e32 vcc, s76, v5
	v_mov_b32_e32 v4, 0x7f800001
	s_and_saveexec_b64 s[66:67], vcc
	s_cbranch_execz .LBB6_2508
; %bb.2507:                             ;   in Loop: Header=BB6_2057 Depth=2
	v_and_b32_e32 v4, 7, v16
	v_ffbh_u32_e32 v6, v4
	v_min_u32_e32 v9, 32, v6
	v_subrev_u32_e32 v6, 28, v9
	v_lshlrev_b64 v[6:7], v6, v[16:17]
	v_lshrrev_b32_e32 v8, 3, v5
	v_sub_u32_e32 v7, 29, v9
	v_and_b32_e32 v6, 7, v6
	v_cmp_gt_u32_e32 vcc, 8, v5
	v_cndmask_b32_e32 v5, v8, v7, vcc
	v_cndmask_b32_e32 v4, v4, v6, vcc
	v_lshlrev_b32_e32 v6, 24, v27
	v_lshlrev_b32_e32 v4, 20, v4
	v_and_b32_e32 v6, 0x80000000, v6
	v_lshl_add_u32 v5, v5, 23, v26
	v_or3_b32 v4, v6, v5, v4
.LBB6_2508:                             ;   in Loop: Header=BB6_2057 Depth=2
	s_or_b64 exec, exec, s[66:67]
.LBB6_2509:                             ;   in Loop: Header=BB6_2057 Depth=2
	s_or_b64 exec, exec, s[64:65]
.LBB6_2510:                             ;   in Loop: Header=BB6_2057 Depth=2
	s_or_b64 exec, exec, s[62:63]
	v_max_f32_e32 v4, v4, v4
	v_max_f32_e32 v3, v3, v3
	v_max_f32_e32 v3, v3, v4
	s_branch .LBB6_2525
.LBB6_2511:                             ;   in Loop: Header=BB6_2057 Depth=2
                                        ; implicit-def: $vgpr3
	s_cbranch_execz .LBB6_2525
; %bb.2512:                             ;   in Loop: Header=BB6_2057 Depth=2
	v_mov_b32_e32 v4, 0
	v_mov_b32_e32 v3, 0
	s_and_saveexec_b64 s[62:63], s[24:25]
	s_cbranch_execz .LBB6_2518
; %bb.2513:                             ;   in Loop: Header=BB6_2057 Depth=2
	v_cmp_ne_u16_e32 vcc, s75, v2
	v_bfrev_b32_e32 v3, 1
	s_and_saveexec_b64 s[24:25], vcc
	s_cbranch_execz .LBB6_2517
; %bb.2514:                             ;   in Loop: Header=BB6_2057 Depth=2
	v_and_b32_e32 v5, 0x7f, v43
	v_cmp_ne_u32_e32 vcc, s76, v5
	v_mov_b32_e32 v3, 0x7f800001
	s_and_saveexec_b64 s[64:65], vcc
	s_cbranch_execz .LBB6_2516
; %bb.2515:                             ;   in Loop: Header=BB6_2057 Depth=2
	v_and_b32_e32 v6, 7, v2
	v_ffbh_u32_e32 v3, v6
	v_min_u32_e32 v8, 32, v3
	v_subrev_u32_e32 v3, 28, v8
	v_lshlrev_b64 v[2:3], v3, v[2:3]
	v_lshrrev_b32_e32 v7, 3, v5
	v_sub_u32_e32 v3, 29, v8
	v_and_b32_e32 v2, 7, v2
	v_cmp_gt_u32_e32 vcc, 8, v5
	v_cndmask_b32_e32 v3, v7, v3, vcc
	v_cndmask_b32_e32 v2, v6, v2, vcc
	v_lshlrev_b32_e32 v5, 24, v43
	v_lshlrev_b32_e32 v2, 20, v2
	v_and_b32_e32 v5, 0x80000000, v5
	v_lshl_add_u32 v3, v3, 23, v26
	v_or3_b32 v3, v5, v3, v2
.LBB6_2516:                             ;   in Loop: Header=BB6_2057 Depth=2
	s_or_b64 exec, exec, s[64:65]
.LBB6_2517:                             ;   in Loop: Header=BB6_2057 Depth=2
	s_or_b64 exec, exec, s[24:25]
.LBB6_2518:                             ;   in Loop: Header=BB6_2057 Depth=2
	s_or_b64 exec, exec, s[62:63]
	v_and_b32_e32 v2, 0xff, v27
	v_cmp_ne_u16_e32 vcc, 0, v2
	s_and_saveexec_b64 s[24:25], vcc
	s_cbranch_execz .LBB6_2524
; %bb.2519:                             ;   in Loop: Header=BB6_2057 Depth=2
	v_cmp_ne_u16_e32 vcc, s75, v2
	v_bfrev_b32_e32 v4, 1
	s_and_saveexec_b64 s[62:63], vcc
	s_cbranch_execz .LBB6_2523
; %bb.2520:                             ;   in Loop: Header=BB6_2057 Depth=2
	v_and_b32_e32 v5, 0x7f, v27
	v_cmp_ne_u32_e32 vcc, s76, v5
	v_mov_b32_e32 v4, 0x7f800001
	s_and_saveexec_b64 s[64:65], vcc
	s_cbranch_execz .LBB6_2522
; %bb.2521:                             ;   in Loop: Header=BB6_2057 Depth=2
	v_and_b32_e32 v4, 7, v2
	v_ffbh_u32_e32 v6, v4
	v_min_u32_e32 v9, 32, v6
	v_subrev_u32_e32 v6, 28, v9
	v_lshlrev_b64 v[6:7], v6, v[2:3]
	v_lshrrev_b32_e32 v8, 3, v5
	v_sub_u32_e32 v2, 29, v9
	v_and_b32_e32 v6, 7, v6
	v_cmp_gt_u32_e32 vcc, 8, v5
	v_cndmask_b32_e32 v2, v8, v2, vcc
	v_cndmask_b32_e32 v4, v4, v6, vcc
	v_lshlrev_b32_e32 v5, 24, v27
	v_lshlrev_b32_e32 v4, 20, v4
	v_and_b32_e32 v5, 0x80000000, v5
	v_lshl_add_u32 v2, v2, 23, v26
	v_or3_b32 v4, v5, v2, v4
.LBB6_2522:                             ;   in Loop: Header=BB6_2057 Depth=2
	s_or_b64 exec, exec, s[64:65]
.LBB6_2523:                             ;   in Loop: Header=BB6_2057 Depth=2
	s_or_b64 exec, exec, s[62:63]
.LBB6_2524:                             ;   in Loop: Header=BB6_2057 Depth=2
	s_or_b64 exec, exec, s[24:25]
	v_max_f32_e32 v2, v4, v4
	v_max_f32_e32 v3, v3, v3
	v_min_f32_e32 v3, v3, v2
.LBB6_2525:                             ;   in Loop: Header=BB6_2057 Depth=2
	v_and_b32_sdwa v4, v3, s75 dst_sel:DWORD dst_unused:UNUSED_PAD src0_sel:BYTE_3 src1_sel:DWORD
	v_and_b32_e32 v6, 0x7f800000, v3
	v_mov_b32_e32 v7, v55
	v_and_b32_e32 v54, 0x7fffff, v3
	v_or_b32_e32 v27, 0x7e, v4
	v_cmp_ne_u64_e32 vcc, s[44:45], v[6:7]
	s_and_saveexec_b64 s[24:25], vcc
	s_xor_b64 s[62:63], exec, s[24:25]
	s_cbranch_execz .LBB6_2539
; %bb.2526:                             ;   in Loop: Header=BB6_2057 Depth=2
	v_and_b32_e32 v6, 0x7fffffff, v3
	v_mov_b32_e32 v7, v55
	v_cmp_gt_u64_e32 vcc, s[46:47], v[6:7]
	s_and_saveexec_b64 s[24:25], vcc
	s_xor_b64 s[64:65], exec, s[24:25]
	s_cbranch_execz .LBB6_2538
; %bb.2527:                             ;   in Loop: Header=BB6_2057 Depth=2
	v_cmp_ne_u32_e32 vcc, 0, v3
	v_mov_b32_e32 v27, 0
	s_and_saveexec_b64 s[66:67], vcc
	s_cbranch_execz .LBB6_2537
; %bb.2528:                             ;   in Loop: Header=BB6_2057 Depth=2
	v_bfe_u32 v2, v3, 23, 8
	v_sub_u32_e32 v5, 0x79, v2
	v_cmp_gt_u32_e32 vcc, s78, v2
	v_cndmask_b32_e32 v5, 0, v5, vcc
	v_cmp_eq_u32_e32 vcc, 0, v2
	v_or_b32_e32 v6, 0x800000, v54
	v_cndmask_b32_e32 v5, v5, v32, vcc
	v_add_u32_e32 v3, 0xffffff81, v2
	v_cndmask_b32_e32 v54, v6, v54, vcc
	v_add_u32_e32 v2, 20, v5
	v_cndmask_b32_e32 v16, v3, v33, vcc
	v_lshlrev_b64 v[2:3], v2, -1
	v_lshrrev_b64 v[8:9], v5, v[54:55]
	v_not_b32_e32 v3, v3
	v_not_b32_e32 v2, v2
	v_add_u32_e32 v6, 19, v5
	v_lshrrev_b32_e32 v20, 23, v8
	v_and_b32_e32 v3, 0, v3
	v_and_b32_e32 v2, v54, v2
	v_lshlrev_b64 v[6:7], v6, 1
	v_add3_u32 v20, v5, v16, v20
	v_bfe_u32 v5, v8, 20, 1
	v_add_u32_e32 v5, -1, v5
	v_cmp_eq_u64_e32 vcc, v[2:3], v[6:7]
	v_cndmask_b32_e32 v2, 0, v5, vcc
	v_add_u32_e32 v2, v2, v8
	v_and_b32_e32 v2, 0xfffff, v2
	v_add_co_u32_e32 v2, vcc, v2, v8
	v_add_u32_e32 v16, 6, v20
	v_addc_co_u32_e32 v3, vcc, 0, v9, vcc
	v_cmp_ne_u32_e32 vcc, 0, v16
                                        ; implicit-def: $vgpr5
	s_and_saveexec_b64 s[24:25], vcc
	s_xor_b64 s[24:25], exec, s[24:25]
; %bb.2529:                             ;   in Loop: Header=BB6_2057 Depth=2
	v_cmp_lt_u64_e32 vcc, s[50:51], v[2:3]
	v_add_u32_e32 v5, 7, v20
	v_cndmask_b32_e64 v6, 0, 1, vcc
	v_cndmask_b32_e32 v5, v16, v5, vcc
	v_lshrrev_b64 v[2:3], v6, v[2:3]
; %bb.2530:                             ;   in Loop: Header=BB6_2057 Depth=2
	s_andn2_saveexec_b64 s[24:25], s[24:25]
; %bb.2531:                             ;   in Loop: Header=BB6_2057 Depth=2
	v_bfe_u32 v5, v2, 23, 1
; %bb.2532:                             ;   in Loop: Header=BB6_2057 Depth=2
	s_or_b64 exec, exec, s[24:25]
	v_lshrrev_b64 v[2:3], 20, v[2:3]
	v_cmp_gt_i32_e32 vcc, 16, v5
	v_cndmask_b32_e32 v3, 0, v3, vcc
	v_cndmask_b32_e32 v2, 7, v2, vcc
	v_cmp_ne_u32_e32 vcc, 0, v5
	v_cmp_ne_u64_e64 s[24:25], 0, v[2:3]
	s_or_b64 s[24:25], vcc, s[24:25]
                                        ; implicit-def: $vgpr27
	s_and_saveexec_b64 vcc, s[24:25]
	s_xor_b64 s[24:25], exec, vcc
; %bb.2533:                             ;   in Loop: Header=BB6_2057 Depth=2
	v_min_i32_e32 v3, 15, v5
	v_lshl_or_b32 v3, v3, 3, v4
	v_and_or_b32 v27, v2, 7, v3
                                        ; implicit-def: $vgpr4
; %bb.2534:                             ;   in Loop: Header=BB6_2057 Depth=2
	s_andn2_saveexec_b64 s[24:25], s[24:25]
; %bb.2535:                             ;   in Loop: Header=BB6_2057 Depth=2
	v_mov_b32_e32 v27, v4
; %bb.2536:                             ;   in Loop: Header=BB6_2057 Depth=2
	s_or_b64 exec, exec, s[24:25]
.LBB6_2537:                             ;   in Loop: Header=BB6_2057 Depth=2
	s_or_b64 exec, exec, s[66:67]
.LBB6_2538:                             ;   in Loop: Header=BB6_2057 Depth=2
	s_andn2_saveexec_b64 s[24:25], s[64:65]
	s_or_b64 exec, exec, s[24:25]
                                        ; implicit-def: $vgpr3
.LBB6_2539:                             ;   in Loop: Header=BB6_2057 Depth=2
	s_andn2_saveexec_b64 s[24:25], s[62:63]
; %bb.2540:                             ;   in Loop: Header=BB6_2057 Depth=2
	v_or_b32_sdwa v2, v3, s76 dst_sel:DWORD dst_unused:UNUSED_PAD src0_sel:BYTE_3 src1_sel:DWORD
	v_cmp_eq_u64_e32 vcc, 0, v[54:55]
	v_cndmask_b32_e32 v27, v2, v27, vcc
; %bb.2541:                             ;   in Loop: Header=BB6_2057 Depth=2
	s_or_b64 exec, exec, s[24:25]
	v_and_b32_e32 v2, 0xff, v41
	s_and_b64 vcc, exec, s[22:23]
	v_cmp_ne_u16_e64 s[24:25], 0, v2
	s_cbranch_vccnz .LBB6_2555
; %bb.2542:                             ;   in Loop: Header=BB6_2057 Depth=2
	v_mov_b32_e32 v4, 0
	v_mov_b32_e32 v3, 0
	s_and_saveexec_b64 s[62:63], s[24:25]
	s_cbranch_execz .LBB6_2548
; %bb.2543:                             ;   in Loop: Header=BB6_2057 Depth=2
	v_cmp_ne_u16_e32 vcc, s75, v2
	v_bfrev_b32_e32 v3, 1
	s_and_saveexec_b64 s[64:65], vcc
	s_cbranch_execz .LBB6_2547
; %bb.2544:                             ;   in Loop: Header=BB6_2057 Depth=2
	v_and_b32_e32 v5, 0x7f, v41
	v_cmp_ne_u32_e32 vcc, s76, v5
	v_mov_b32_e32 v3, 0x7f800001
	s_and_saveexec_b64 s[66:67], vcc
	s_cbranch_execz .LBB6_2546
; %bb.2545:                             ;   in Loop: Header=BB6_2057 Depth=2
	v_and_b32_e32 v3, 7, v2
	v_ffbh_u32_e32 v6, v3
	v_min_u32_e32 v9, 32, v6
	v_subrev_u32_e32 v6, 28, v9
	v_lshlrev_b64 v[6:7], v6, v[2:3]
	v_lshrrev_b32_e32 v8, 3, v5
	v_sub_u32_e32 v7, 29, v9
	v_and_b32_e32 v6, 7, v6
	v_cmp_gt_u32_e32 vcc, 8, v5
	v_cndmask_b32_e32 v5, v8, v7, vcc
	v_cndmask_b32_e32 v3, v3, v6, vcc
	v_lshlrev_b32_e32 v6, 24, v41
	v_lshlrev_b32_e32 v3, 20, v3
	v_and_b32_e32 v6, 0x80000000, v6
	v_lshl_add_u32 v5, v5, 23, v26
	v_or3_b32 v3, v6, v5, v3
.LBB6_2546:                             ;   in Loop: Header=BB6_2057 Depth=2
	s_or_b64 exec, exec, s[66:67]
.LBB6_2547:                             ;   in Loop: Header=BB6_2057 Depth=2
	s_or_b64 exec, exec, s[64:65]
.LBB6_2548:                             ;   in Loop: Header=BB6_2057 Depth=2
	s_or_b64 exec, exec, s[62:63]
	v_and_b32_e32 v16, 0xff, v29
	v_cmp_ne_u16_e32 vcc, 0, v16
	s_and_saveexec_b64 s[62:63], vcc
	s_cbranch_execz .LBB6_2554
; %bb.2549:                             ;   in Loop: Header=BB6_2057 Depth=2
	v_cmp_ne_u16_e32 vcc, s75, v16
	v_bfrev_b32_e32 v4, 1
	s_and_saveexec_b64 s[64:65], vcc
	s_cbranch_execz .LBB6_2553
; %bb.2550:                             ;   in Loop: Header=BB6_2057 Depth=2
	v_and_b32_e32 v5, 0x7f, v29
	v_cmp_ne_u32_e32 vcc, s76, v5
	v_mov_b32_e32 v4, 0x7f800001
	s_and_saveexec_b64 s[66:67], vcc
	s_cbranch_execz .LBB6_2552
; %bb.2551:                             ;   in Loop: Header=BB6_2057 Depth=2
	v_and_b32_e32 v4, 7, v16
	v_ffbh_u32_e32 v6, v4
	v_min_u32_e32 v9, 32, v6
	v_subrev_u32_e32 v6, 28, v9
	v_lshlrev_b64 v[6:7], v6, v[16:17]
	v_lshrrev_b32_e32 v8, 3, v5
	v_sub_u32_e32 v7, 29, v9
	v_and_b32_e32 v6, 7, v6
	v_cmp_gt_u32_e32 vcc, 8, v5
	v_cndmask_b32_e32 v5, v8, v7, vcc
	v_cndmask_b32_e32 v4, v4, v6, vcc
	v_lshlrev_b32_e32 v6, 24, v29
	v_lshlrev_b32_e32 v4, 20, v4
	v_and_b32_e32 v6, 0x80000000, v6
	v_lshl_add_u32 v5, v5, 23, v26
	v_or3_b32 v4, v6, v5, v4
.LBB6_2552:                             ;   in Loop: Header=BB6_2057 Depth=2
	s_or_b64 exec, exec, s[66:67]
.LBB6_2553:                             ;   in Loop: Header=BB6_2057 Depth=2
	s_or_b64 exec, exec, s[64:65]
.LBB6_2554:                             ;   in Loop: Header=BB6_2057 Depth=2
	s_or_b64 exec, exec, s[62:63]
	v_max_f32_e32 v4, v4, v4
	v_max_f32_e32 v3, v3, v3
	;; [unrolled: 1-line block ×3, first 2 shown]
	s_branch .LBB6_2569
.LBB6_2555:                             ;   in Loop: Header=BB6_2057 Depth=2
                                        ; implicit-def: $vgpr3
	s_cbranch_execz .LBB6_2569
; %bb.2556:                             ;   in Loop: Header=BB6_2057 Depth=2
	v_mov_b32_e32 v4, 0
	v_mov_b32_e32 v3, 0
	s_and_saveexec_b64 s[62:63], s[24:25]
	s_cbranch_execz .LBB6_2562
; %bb.2557:                             ;   in Loop: Header=BB6_2057 Depth=2
	v_cmp_ne_u16_e32 vcc, s75, v2
	v_bfrev_b32_e32 v3, 1
	s_and_saveexec_b64 s[24:25], vcc
	s_cbranch_execz .LBB6_2561
; %bb.2558:                             ;   in Loop: Header=BB6_2057 Depth=2
	v_and_b32_e32 v5, 0x7f, v41
	v_cmp_ne_u32_e32 vcc, s76, v5
	v_mov_b32_e32 v3, 0x7f800001
	s_and_saveexec_b64 s[64:65], vcc
	s_cbranch_execz .LBB6_2560
; %bb.2559:                             ;   in Loop: Header=BB6_2057 Depth=2
	v_and_b32_e32 v6, 7, v2
	v_ffbh_u32_e32 v3, v6
	v_min_u32_e32 v8, 32, v3
	v_subrev_u32_e32 v3, 28, v8
	v_lshlrev_b64 v[2:3], v3, v[2:3]
	v_lshrrev_b32_e32 v7, 3, v5
	v_sub_u32_e32 v3, 29, v8
	v_and_b32_e32 v2, 7, v2
	v_cmp_gt_u32_e32 vcc, 8, v5
	v_cndmask_b32_e32 v3, v7, v3, vcc
	v_cndmask_b32_e32 v2, v6, v2, vcc
	v_lshlrev_b32_e32 v5, 24, v41
	v_lshlrev_b32_e32 v2, 20, v2
	v_and_b32_e32 v5, 0x80000000, v5
	v_lshl_add_u32 v3, v3, 23, v26
	v_or3_b32 v3, v5, v3, v2
.LBB6_2560:                             ;   in Loop: Header=BB6_2057 Depth=2
	s_or_b64 exec, exec, s[64:65]
.LBB6_2561:                             ;   in Loop: Header=BB6_2057 Depth=2
	s_or_b64 exec, exec, s[24:25]
.LBB6_2562:                             ;   in Loop: Header=BB6_2057 Depth=2
	s_or_b64 exec, exec, s[62:63]
	v_and_b32_e32 v2, 0xff, v29
	v_cmp_ne_u16_e32 vcc, 0, v2
	s_and_saveexec_b64 s[24:25], vcc
	s_cbranch_execz .LBB6_2568
; %bb.2563:                             ;   in Loop: Header=BB6_2057 Depth=2
	v_cmp_ne_u16_e32 vcc, s75, v2
	v_bfrev_b32_e32 v4, 1
	s_and_saveexec_b64 s[62:63], vcc
	s_cbranch_execz .LBB6_2567
; %bb.2564:                             ;   in Loop: Header=BB6_2057 Depth=2
	v_and_b32_e32 v5, 0x7f, v29
	v_cmp_ne_u32_e32 vcc, s76, v5
	v_mov_b32_e32 v4, 0x7f800001
	s_and_saveexec_b64 s[64:65], vcc
	s_cbranch_execz .LBB6_2566
; %bb.2565:                             ;   in Loop: Header=BB6_2057 Depth=2
	v_and_b32_e32 v4, 7, v2
	v_ffbh_u32_e32 v6, v4
	v_min_u32_e32 v9, 32, v6
	v_subrev_u32_e32 v6, 28, v9
	v_lshlrev_b64 v[6:7], v6, v[2:3]
	v_lshrrev_b32_e32 v8, 3, v5
	v_sub_u32_e32 v2, 29, v9
	v_and_b32_e32 v6, 7, v6
	v_cmp_gt_u32_e32 vcc, 8, v5
	v_cndmask_b32_e32 v2, v8, v2, vcc
	v_cndmask_b32_e32 v4, v4, v6, vcc
	v_lshlrev_b32_e32 v5, 24, v29
	v_lshlrev_b32_e32 v4, 20, v4
	v_and_b32_e32 v5, 0x80000000, v5
	v_lshl_add_u32 v2, v2, 23, v26
	v_or3_b32 v4, v5, v2, v4
.LBB6_2566:                             ;   in Loop: Header=BB6_2057 Depth=2
	s_or_b64 exec, exec, s[64:65]
.LBB6_2567:                             ;   in Loop: Header=BB6_2057 Depth=2
	s_or_b64 exec, exec, s[62:63]
.LBB6_2568:                             ;   in Loop: Header=BB6_2057 Depth=2
	s_or_b64 exec, exec, s[24:25]
	v_max_f32_e32 v2, v4, v4
	v_max_f32_e32 v3, v3, v3
	v_min_f32_e32 v3, v3, v2
.LBB6_2569:                             ;   in Loop: Header=BB6_2057 Depth=2
	v_and_b32_sdwa v4, v3, s75 dst_sel:DWORD dst_unused:UNUSED_PAD src0_sel:BYTE_3 src1_sel:DWORD
	v_and_b32_e32 v6, 0x7f800000, v3
	v_mov_b32_e32 v7, v55
	v_and_b32_e32 v54, 0x7fffff, v3
	v_or_b32_e32 v29, 0x7e, v4
	v_cmp_ne_u64_e32 vcc, s[44:45], v[6:7]
	s_and_saveexec_b64 s[24:25], vcc
	s_xor_b64 s[62:63], exec, s[24:25]
	s_cbranch_execz .LBB6_2583
; %bb.2570:                             ;   in Loop: Header=BB6_2057 Depth=2
	v_and_b32_e32 v6, 0x7fffffff, v3
	v_mov_b32_e32 v7, v55
	v_cmp_gt_u64_e32 vcc, s[46:47], v[6:7]
	s_and_saveexec_b64 s[24:25], vcc
	s_xor_b64 s[64:65], exec, s[24:25]
	s_cbranch_execz .LBB6_2582
; %bb.2571:                             ;   in Loop: Header=BB6_2057 Depth=2
	v_cmp_ne_u32_e32 vcc, 0, v3
	v_mov_b32_e32 v29, 0
	s_and_saveexec_b64 s[66:67], vcc
	s_cbranch_execz .LBB6_2581
; %bb.2572:                             ;   in Loop: Header=BB6_2057 Depth=2
	v_bfe_u32 v2, v3, 23, 8
	v_sub_u32_e32 v5, 0x79, v2
	v_cmp_gt_u32_e32 vcc, s78, v2
	v_cndmask_b32_e32 v5, 0, v5, vcc
	v_cmp_eq_u32_e32 vcc, 0, v2
	v_or_b32_e32 v6, 0x800000, v54
	v_cndmask_b32_e32 v5, v5, v32, vcc
	v_add_u32_e32 v3, 0xffffff81, v2
	v_cndmask_b32_e32 v54, v6, v54, vcc
	v_add_u32_e32 v2, 20, v5
	v_cndmask_b32_e32 v16, v3, v33, vcc
	v_lshlrev_b64 v[2:3], v2, -1
	v_lshrrev_b64 v[8:9], v5, v[54:55]
	v_not_b32_e32 v3, v3
	v_not_b32_e32 v2, v2
	v_add_u32_e32 v6, 19, v5
	v_lshrrev_b32_e32 v20, 23, v8
	v_and_b32_e32 v3, 0, v3
	v_and_b32_e32 v2, v54, v2
	v_lshlrev_b64 v[6:7], v6, 1
	v_add3_u32 v20, v5, v16, v20
	v_bfe_u32 v5, v8, 20, 1
	v_add_u32_e32 v5, -1, v5
	v_cmp_eq_u64_e32 vcc, v[2:3], v[6:7]
	v_cndmask_b32_e32 v2, 0, v5, vcc
	v_add_u32_e32 v2, v2, v8
	v_and_b32_e32 v2, 0xfffff, v2
	v_add_co_u32_e32 v2, vcc, v2, v8
	v_add_u32_e32 v16, 6, v20
	v_addc_co_u32_e32 v3, vcc, 0, v9, vcc
	v_cmp_ne_u32_e32 vcc, 0, v16
                                        ; implicit-def: $vgpr5
	s_and_saveexec_b64 s[24:25], vcc
	s_xor_b64 s[24:25], exec, s[24:25]
; %bb.2573:                             ;   in Loop: Header=BB6_2057 Depth=2
	v_cmp_lt_u64_e32 vcc, s[50:51], v[2:3]
	v_add_u32_e32 v5, 7, v20
	v_cndmask_b32_e64 v6, 0, 1, vcc
	v_cndmask_b32_e32 v5, v16, v5, vcc
	v_lshrrev_b64 v[2:3], v6, v[2:3]
; %bb.2574:                             ;   in Loop: Header=BB6_2057 Depth=2
	s_andn2_saveexec_b64 s[24:25], s[24:25]
; %bb.2575:                             ;   in Loop: Header=BB6_2057 Depth=2
	v_bfe_u32 v5, v2, 23, 1
; %bb.2576:                             ;   in Loop: Header=BB6_2057 Depth=2
	s_or_b64 exec, exec, s[24:25]
	v_lshrrev_b64 v[2:3], 20, v[2:3]
	v_cmp_gt_i32_e32 vcc, 16, v5
	v_cndmask_b32_e32 v3, 0, v3, vcc
	v_cndmask_b32_e32 v2, 7, v2, vcc
	v_cmp_ne_u32_e32 vcc, 0, v5
	v_cmp_ne_u64_e64 s[24:25], 0, v[2:3]
	s_or_b64 s[24:25], vcc, s[24:25]
                                        ; implicit-def: $vgpr29
	s_and_saveexec_b64 vcc, s[24:25]
	s_xor_b64 s[24:25], exec, vcc
; %bb.2577:                             ;   in Loop: Header=BB6_2057 Depth=2
	v_min_i32_e32 v3, 15, v5
	v_lshl_or_b32 v3, v3, 3, v4
	v_and_or_b32 v29, v2, 7, v3
                                        ; implicit-def: $vgpr4
; %bb.2578:                             ;   in Loop: Header=BB6_2057 Depth=2
	s_andn2_saveexec_b64 s[24:25], s[24:25]
; %bb.2579:                             ;   in Loop: Header=BB6_2057 Depth=2
	v_mov_b32_e32 v29, v4
; %bb.2580:                             ;   in Loop: Header=BB6_2057 Depth=2
	s_or_b64 exec, exec, s[24:25]
.LBB6_2581:                             ;   in Loop: Header=BB6_2057 Depth=2
	s_or_b64 exec, exec, s[66:67]
.LBB6_2582:                             ;   in Loop: Header=BB6_2057 Depth=2
	s_andn2_saveexec_b64 s[24:25], s[64:65]
	s_or_b64 exec, exec, s[24:25]
                                        ; implicit-def: $vgpr3
.LBB6_2583:                             ;   in Loop: Header=BB6_2057 Depth=2
	s_andn2_saveexec_b64 s[24:25], s[62:63]
; %bb.2584:                             ;   in Loop: Header=BB6_2057 Depth=2
	v_or_b32_sdwa v2, v3, s76 dst_sel:DWORD dst_unused:UNUSED_PAD src0_sel:BYTE_3 src1_sel:DWORD
	v_cmp_eq_u64_e32 vcc, 0, v[54:55]
	v_cndmask_b32_e32 v29, v2, v29, vcc
; %bb.2585:                             ;   in Loop: Header=BB6_2057 Depth=2
	s_or_b64 exec, exec, s[24:25]
	v_and_b32_e32 v2, 0xff, v53
	s_and_b64 vcc, exec, s[22:23]
	v_cmp_ne_u16_e64 s[24:25], 0, v2
	s_cbranch_vccnz .LBB6_2599
; %bb.2586:                             ;   in Loop: Header=BB6_2057 Depth=2
	v_mov_b32_e32 v4, 0
	v_mov_b32_e32 v3, 0
	s_and_saveexec_b64 s[62:63], s[24:25]
	s_cbranch_execz .LBB6_2592
; %bb.2587:                             ;   in Loop: Header=BB6_2057 Depth=2
	v_cmp_ne_u16_e32 vcc, s75, v2
	v_bfrev_b32_e32 v3, 1
	s_and_saveexec_b64 s[64:65], vcc
	s_cbranch_execz .LBB6_2591
; %bb.2588:                             ;   in Loop: Header=BB6_2057 Depth=2
	v_and_b32_e32 v5, 0x7f, v53
	v_cmp_ne_u32_e32 vcc, s76, v5
	v_mov_b32_e32 v3, 0x7f800001
	s_and_saveexec_b64 s[66:67], vcc
	s_cbranch_execz .LBB6_2590
; %bb.2589:                             ;   in Loop: Header=BB6_2057 Depth=2
	v_and_b32_e32 v3, 7, v2
	v_ffbh_u32_e32 v6, v3
	v_min_u32_e32 v9, 32, v6
	v_subrev_u32_e32 v6, 28, v9
	v_lshlrev_b64 v[6:7], v6, v[2:3]
	v_lshrrev_b32_e32 v8, 3, v5
	v_sub_u32_e32 v7, 29, v9
	v_and_b32_e32 v6, 7, v6
	v_cmp_gt_u32_e32 vcc, 8, v5
	v_cndmask_b32_e32 v5, v8, v7, vcc
	v_cndmask_b32_e32 v3, v3, v6, vcc
	v_lshlrev_b32_e32 v6, 24, v53
	v_lshlrev_b32_e32 v3, 20, v3
	v_and_b32_e32 v6, 0x80000000, v6
	v_lshl_add_u32 v5, v5, 23, v26
	v_or3_b32 v3, v6, v5, v3
.LBB6_2590:                             ;   in Loop: Header=BB6_2057 Depth=2
	s_or_b64 exec, exec, s[66:67]
.LBB6_2591:                             ;   in Loop: Header=BB6_2057 Depth=2
	s_or_b64 exec, exec, s[64:65]
.LBB6_2592:                             ;   in Loop: Header=BB6_2057 Depth=2
	s_or_b64 exec, exec, s[62:63]
	v_and_b32_e32 v16, 0xff, v52
	v_cmp_ne_u16_e32 vcc, 0, v16
	s_and_saveexec_b64 s[62:63], vcc
	s_cbranch_execz .LBB6_2598
; %bb.2593:                             ;   in Loop: Header=BB6_2057 Depth=2
	v_cmp_ne_u16_e32 vcc, s75, v16
	v_bfrev_b32_e32 v4, 1
	s_and_saveexec_b64 s[64:65], vcc
	s_cbranch_execz .LBB6_2597
; %bb.2594:                             ;   in Loop: Header=BB6_2057 Depth=2
	v_and_b32_e32 v5, 0x7f, v52
	v_cmp_ne_u32_e32 vcc, s76, v5
	v_mov_b32_e32 v4, 0x7f800001
	s_and_saveexec_b64 s[66:67], vcc
	s_cbranch_execz .LBB6_2596
; %bb.2595:                             ;   in Loop: Header=BB6_2057 Depth=2
	v_and_b32_e32 v4, 7, v16
	v_ffbh_u32_e32 v6, v4
	v_min_u32_e32 v9, 32, v6
	v_subrev_u32_e32 v6, 28, v9
	v_lshlrev_b64 v[6:7], v6, v[16:17]
	v_lshrrev_b32_e32 v8, 3, v5
	v_sub_u32_e32 v7, 29, v9
	v_and_b32_e32 v6, 7, v6
	v_cmp_gt_u32_e32 vcc, 8, v5
	v_cndmask_b32_e32 v5, v8, v7, vcc
	v_cndmask_b32_e32 v4, v4, v6, vcc
	v_lshlrev_b32_e32 v6, 24, v52
	v_lshlrev_b32_e32 v4, 20, v4
	v_and_b32_e32 v6, 0x80000000, v6
	v_lshl_add_u32 v5, v5, 23, v26
	v_or3_b32 v4, v6, v5, v4
.LBB6_2596:                             ;   in Loop: Header=BB6_2057 Depth=2
	s_or_b64 exec, exec, s[66:67]
.LBB6_2597:                             ;   in Loop: Header=BB6_2057 Depth=2
	s_or_b64 exec, exec, s[64:65]
.LBB6_2598:                             ;   in Loop: Header=BB6_2057 Depth=2
	s_or_b64 exec, exec, s[62:63]
	v_max_f32_e32 v4, v4, v4
	v_max_f32_e32 v3, v3, v3
	;; [unrolled: 1-line block ×3, first 2 shown]
	s_branch .LBB6_2613
.LBB6_2599:                             ;   in Loop: Header=BB6_2057 Depth=2
                                        ; implicit-def: $vgpr3
	s_cbranch_execz .LBB6_2613
; %bb.2600:                             ;   in Loop: Header=BB6_2057 Depth=2
	v_mov_b32_e32 v4, 0
	v_mov_b32_e32 v3, 0
	s_and_saveexec_b64 s[62:63], s[24:25]
	s_cbranch_execz .LBB6_2606
; %bb.2601:                             ;   in Loop: Header=BB6_2057 Depth=2
	v_cmp_ne_u16_e32 vcc, s75, v2
	v_bfrev_b32_e32 v3, 1
	s_and_saveexec_b64 s[24:25], vcc
	s_cbranch_execz .LBB6_2605
; %bb.2602:                             ;   in Loop: Header=BB6_2057 Depth=2
	v_and_b32_e32 v5, 0x7f, v53
	v_cmp_ne_u32_e32 vcc, s76, v5
	v_mov_b32_e32 v3, 0x7f800001
	s_and_saveexec_b64 s[64:65], vcc
	s_cbranch_execz .LBB6_2604
; %bb.2603:                             ;   in Loop: Header=BB6_2057 Depth=2
	v_and_b32_e32 v6, 7, v2
	v_ffbh_u32_e32 v3, v6
	v_min_u32_e32 v8, 32, v3
	v_subrev_u32_e32 v3, 28, v8
	v_lshlrev_b64 v[2:3], v3, v[2:3]
	v_lshrrev_b32_e32 v7, 3, v5
	v_sub_u32_e32 v3, 29, v8
	v_and_b32_e32 v2, 7, v2
	v_cmp_gt_u32_e32 vcc, 8, v5
	v_cndmask_b32_e32 v3, v7, v3, vcc
	v_cndmask_b32_e32 v2, v6, v2, vcc
	v_lshlrev_b32_e32 v5, 24, v53
	v_lshlrev_b32_e32 v2, 20, v2
	v_and_b32_e32 v5, 0x80000000, v5
	v_lshl_add_u32 v3, v3, 23, v26
	v_or3_b32 v3, v5, v3, v2
.LBB6_2604:                             ;   in Loop: Header=BB6_2057 Depth=2
	s_or_b64 exec, exec, s[64:65]
.LBB6_2605:                             ;   in Loop: Header=BB6_2057 Depth=2
	s_or_b64 exec, exec, s[24:25]
.LBB6_2606:                             ;   in Loop: Header=BB6_2057 Depth=2
	s_or_b64 exec, exec, s[62:63]
	v_and_b32_e32 v2, 0xff, v52
	v_cmp_ne_u16_e32 vcc, 0, v2
	s_and_saveexec_b64 s[24:25], vcc
	s_cbranch_execz .LBB6_2612
; %bb.2607:                             ;   in Loop: Header=BB6_2057 Depth=2
	v_cmp_ne_u16_e32 vcc, s75, v2
	v_bfrev_b32_e32 v4, 1
	s_and_saveexec_b64 s[62:63], vcc
	s_cbranch_execz .LBB6_2611
; %bb.2608:                             ;   in Loop: Header=BB6_2057 Depth=2
	v_and_b32_e32 v5, 0x7f, v52
	v_cmp_ne_u32_e32 vcc, s76, v5
	v_mov_b32_e32 v4, 0x7f800001
	s_and_saveexec_b64 s[64:65], vcc
	s_cbranch_execz .LBB6_2610
; %bb.2609:                             ;   in Loop: Header=BB6_2057 Depth=2
	v_and_b32_e32 v4, 7, v2
	v_ffbh_u32_e32 v6, v4
	v_min_u32_e32 v9, 32, v6
	v_subrev_u32_e32 v6, 28, v9
	v_lshlrev_b64 v[6:7], v6, v[2:3]
	v_lshrrev_b32_e32 v8, 3, v5
	v_sub_u32_e32 v2, 29, v9
	v_and_b32_e32 v6, 7, v6
	v_cmp_gt_u32_e32 vcc, 8, v5
	v_cndmask_b32_e32 v2, v8, v2, vcc
	v_cndmask_b32_e32 v4, v4, v6, vcc
	v_lshlrev_b32_e32 v5, 24, v52
	v_lshlrev_b32_e32 v4, 20, v4
	v_and_b32_e32 v5, 0x80000000, v5
	v_lshl_add_u32 v2, v2, 23, v26
	v_or3_b32 v4, v5, v2, v4
.LBB6_2610:                             ;   in Loop: Header=BB6_2057 Depth=2
	s_or_b64 exec, exec, s[64:65]
.LBB6_2611:                             ;   in Loop: Header=BB6_2057 Depth=2
	s_or_b64 exec, exec, s[62:63]
.LBB6_2612:                             ;   in Loop: Header=BB6_2057 Depth=2
	s_or_b64 exec, exec, s[24:25]
	v_max_f32_e32 v2, v4, v4
	v_max_f32_e32 v3, v3, v3
	v_min_f32_e32 v3, v3, v2
.LBB6_2613:                             ;   in Loop: Header=BB6_2057 Depth=2
	v_and_b32_sdwa v5, v3, s75 dst_sel:DWORD dst_unused:UNUSED_PAD src0_sel:BYTE_3 src1_sel:DWORD
	v_and_b32_e32 v6, 0x7f800000, v3
	v_mov_b32_e32 v7, v55
	v_and_b32_e32 v54, 0x7fffff, v3
	v_or_b32_e32 v4, 0x7e, v5
	v_cmp_ne_u64_e32 vcc, s[44:45], v[6:7]
	s_and_saveexec_b64 s[24:25], vcc
	s_xor_b64 s[62:63], exec, s[24:25]
	s_cbranch_execz .LBB6_2627
; %bb.2614:                             ;   in Loop: Header=BB6_2057 Depth=2
	v_and_b32_e32 v6, 0x7fffffff, v3
	v_mov_b32_e32 v7, v55
	v_cmp_gt_u64_e32 vcc, s[46:47], v[6:7]
	s_and_saveexec_b64 s[24:25], vcc
	s_xor_b64 s[64:65], exec, s[24:25]
	s_cbranch_execz .LBB6_2626
; %bb.2615:                             ;   in Loop: Header=BB6_2057 Depth=2
	v_cmp_ne_u32_e32 vcc, 0, v3
	v_mov_b32_e32 v4, 0
	s_and_saveexec_b64 s[66:67], vcc
	s_cbranch_execz .LBB6_2625
; %bb.2616:                             ;   in Loop: Header=BB6_2057 Depth=2
	v_bfe_u32 v2, v3, 23, 8
	v_sub_u32_e32 v4, 0x79, v2
	v_cmp_gt_u32_e32 vcc, s78, v2
	v_cndmask_b32_e32 v4, 0, v4, vcc
	v_cmp_eq_u32_e32 vcc, 0, v2
	v_or_b32_e32 v6, 0x800000, v54
	v_cndmask_b32_e32 v4, v4, v32, vcc
	v_add_u32_e32 v3, 0xffffff81, v2
	v_cndmask_b32_e32 v54, v6, v54, vcc
	v_add_u32_e32 v2, 20, v4
	v_cndmask_b32_e32 v16, v3, v33, vcc
	v_lshlrev_b64 v[2:3], v2, -1
	v_lshrrev_b64 v[8:9], v4, v[54:55]
	v_not_b32_e32 v3, v3
	v_not_b32_e32 v2, v2
	v_add_u32_e32 v6, 19, v4
	v_lshrrev_b32_e32 v20, 23, v8
	v_and_b32_e32 v3, 0, v3
	v_and_b32_e32 v2, v54, v2
	v_lshlrev_b64 v[6:7], v6, 1
	v_add3_u32 v20, v4, v16, v20
	v_bfe_u32 v16, v8, 20, 1
	v_add_u32_e32 v16, -1, v16
	v_cmp_eq_u64_e32 vcc, v[2:3], v[6:7]
	v_cndmask_b32_e32 v2, 0, v16, vcc
	v_add_u32_e32 v2, v2, v8
	v_and_b32_e32 v2, 0xfffff, v2
	v_add_co_u32_e32 v2, vcc, v2, v8
	v_add_u32_e32 v4, 6, v20
	v_addc_co_u32_e32 v3, vcc, 0, v9, vcc
	v_cmp_ne_u32_e32 vcc, 0, v4
                                        ; implicit-def: $vgpr16
	s_and_saveexec_b64 s[24:25], vcc
	s_xor_b64 s[24:25], exec, s[24:25]
; %bb.2617:                             ;   in Loop: Header=BB6_2057 Depth=2
	v_add_u32_e32 v6, 7, v20
	v_cmp_lt_u64_e32 vcc, s[50:51], v[2:3]
	v_cndmask_b32_e32 v16, v4, v6, vcc
	v_cndmask_b32_e64 v4, 0, 1, vcc
	v_lshrrev_b64 v[2:3], v4, v[2:3]
; %bb.2618:                             ;   in Loop: Header=BB6_2057 Depth=2
	s_andn2_saveexec_b64 s[24:25], s[24:25]
; %bb.2619:                             ;   in Loop: Header=BB6_2057 Depth=2
	v_bfe_u32 v16, v2, 23, 1
; %bb.2620:                             ;   in Loop: Header=BB6_2057 Depth=2
	s_or_b64 exec, exec, s[24:25]
	v_lshrrev_b64 v[2:3], 20, v[2:3]
	v_cmp_gt_i32_e32 vcc, 16, v16
	v_cndmask_b32_e32 v3, 0, v3, vcc
	v_cndmask_b32_e32 v2, 7, v2, vcc
	v_cmp_ne_u32_e32 vcc, 0, v16
	v_cmp_ne_u64_e64 s[24:25], 0, v[2:3]
	s_or_b64 s[24:25], vcc, s[24:25]
                                        ; implicit-def: $vgpr4
	s_and_saveexec_b64 vcc, s[24:25]
	s_xor_b64 s[24:25], exec, vcc
; %bb.2621:                             ;   in Loop: Header=BB6_2057 Depth=2
	v_min_i32_e32 v3, 15, v16
	v_lshl_or_b32 v3, v3, 3, v5
	v_and_or_b32 v4, v2, 7, v3
                                        ; implicit-def: $vgpr5
; %bb.2622:                             ;   in Loop: Header=BB6_2057 Depth=2
	s_andn2_saveexec_b64 s[24:25], s[24:25]
; %bb.2623:                             ;   in Loop: Header=BB6_2057 Depth=2
	v_mov_b32_e32 v4, v5
; %bb.2624:                             ;   in Loop: Header=BB6_2057 Depth=2
	s_or_b64 exec, exec, s[24:25]
.LBB6_2625:                             ;   in Loop: Header=BB6_2057 Depth=2
	s_or_b64 exec, exec, s[66:67]
.LBB6_2626:                             ;   in Loop: Header=BB6_2057 Depth=2
	s_andn2_saveexec_b64 s[24:25], s[64:65]
	s_or_b64 exec, exec, s[24:25]
                                        ; implicit-def: $vgpr3
.LBB6_2627:                             ;   in Loop: Header=BB6_2057 Depth=2
	s_andn2_saveexec_b64 s[24:25], s[62:63]
; %bb.2628:                             ;   in Loop: Header=BB6_2057 Depth=2
	v_or_b32_sdwa v2, v3, s76 dst_sel:DWORD dst_unused:UNUSED_PAD src0_sel:BYTE_3 src1_sel:DWORD
	v_cmp_eq_u64_e32 vcc, 0, v[54:55]
	v_cndmask_b32_e32 v4, v2, v4, vcc
; %bb.2629:                             ;   in Loop: Header=BB6_2057 Depth=2
	s_or_b64 exec, exec, s[24:25]
	v_and_b32_e32 v2, 0xff, v34
	s_and_b64 vcc, exec, s[22:23]
	v_cmp_ne_u16_e64 s[24:25], 0, v2
	s_cbranch_vccnz .LBB6_2643
; %bb.2630:                             ;   in Loop: Header=BB6_2057 Depth=2
	v_mov_b32_e32 v5, 0
	v_mov_b32_e32 v3, 0
	s_and_saveexec_b64 s[62:63], s[24:25]
	s_cbranch_execz .LBB6_2636
; %bb.2631:                             ;   in Loop: Header=BB6_2057 Depth=2
	v_cmp_ne_u16_e32 vcc, s75, v2
	v_bfrev_b32_e32 v3, 1
	s_and_saveexec_b64 s[64:65], vcc
	s_cbranch_execz .LBB6_2635
; %bb.2632:                             ;   in Loop: Header=BB6_2057 Depth=2
	v_and_b32_e32 v16, 0x7f, v34
	v_cmp_ne_u32_e32 vcc, s76, v16
	v_mov_b32_e32 v3, 0x7f800001
	s_and_saveexec_b64 s[66:67], vcc
	s_cbranch_execz .LBB6_2634
; %bb.2633:                             ;   in Loop: Header=BB6_2057 Depth=2
	v_and_b32_e32 v3, 7, v2
	v_ffbh_u32_e32 v6, v3
	v_min_u32_e32 v9, 32, v6
	v_subrev_u32_e32 v6, 28, v9
	v_lshlrev_b64 v[6:7], v6, v[2:3]
	v_lshrrev_b32_e32 v8, 3, v16
	v_sub_u32_e32 v7, 29, v9
	v_and_b32_e32 v6, 7, v6
	v_cmp_gt_u32_e32 vcc, 8, v16
	v_cndmask_b32_e32 v7, v8, v7, vcc
	v_cndmask_b32_e32 v3, v3, v6, vcc
	v_lshlrev_b32_e32 v6, 24, v34
	v_lshlrev_b32_e32 v3, 20, v3
	v_and_b32_e32 v6, 0x80000000, v6
	v_lshl_add_u32 v7, v7, 23, v26
	v_or3_b32 v3, v6, v7, v3
.LBB6_2634:                             ;   in Loop: Header=BB6_2057 Depth=2
	s_or_b64 exec, exec, s[66:67]
.LBB6_2635:                             ;   in Loop: Header=BB6_2057 Depth=2
	s_or_b64 exec, exec, s[64:65]
.LBB6_2636:                             ;   in Loop: Header=BB6_2057 Depth=2
	s_or_b64 exec, exec, s[62:63]
	v_and_b32_e32 v16, 0xff, v31
	v_cmp_ne_u16_e32 vcc, 0, v16
	s_and_saveexec_b64 s[62:63], vcc
	s_cbranch_execz .LBB6_2642
; %bb.2637:                             ;   in Loop: Header=BB6_2057 Depth=2
	v_cmp_ne_u16_e32 vcc, s75, v16
	v_bfrev_b32_e32 v5, 1
	s_and_saveexec_b64 s[64:65], vcc
	s_cbranch_execz .LBB6_2641
; %bb.2638:                             ;   in Loop: Header=BB6_2057 Depth=2
	v_and_b32_e32 v20, 0x7f, v31
	v_cmp_ne_u32_e32 vcc, s76, v20
	v_mov_b32_e32 v5, 0x7f800001
	s_and_saveexec_b64 s[66:67], vcc
	s_cbranch_execz .LBB6_2640
; %bb.2639:                             ;   in Loop: Header=BB6_2057 Depth=2
	v_and_b32_e32 v5, 7, v16
	v_ffbh_u32_e32 v6, v5
	v_min_u32_e32 v9, 32, v6
	v_subrev_u32_e32 v6, 28, v9
	v_lshlrev_b64 v[6:7], v6, v[16:17]
	v_lshrrev_b32_e32 v8, 3, v20
	v_sub_u32_e32 v7, 29, v9
	v_and_b32_e32 v6, 7, v6
	v_cmp_gt_u32_e32 vcc, 8, v20
	v_cndmask_b32_e32 v7, v8, v7, vcc
	v_cndmask_b32_e32 v5, v5, v6, vcc
	v_lshlrev_b32_e32 v6, 24, v31
	v_lshlrev_b32_e32 v5, 20, v5
	v_and_b32_e32 v6, 0x80000000, v6
	v_lshl_add_u32 v7, v7, 23, v26
	v_or3_b32 v5, v6, v7, v5
.LBB6_2640:                             ;   in Loop: Header=BB6_2057 Depth=2
	s_or_b64 exec, exec, s[66:67]
.LBB6_2641:                             ;   in Loop: Header=BB6_2057 Depth=2
	s_or_b64 exec, exec, s[64:65]
.LBB6_2642:                             ;   in Loop: Header=BB6_2057 Depth=2
	s_or_b64 exec, exec, s[62:63]
	v_max_f32_e32 v5, v5, v5
	v_max_f32_e32 v3, v3, v3
	;; [unrolled: 1-line block ×3, first 2 shown]
	s_branch .LBB6_2657
.LBB6_2643:                             ;   in Loop: Header=BB6_2057 Depth=2
                                        ; implicit-def: $vgpr3
	s_cbranch_execz .LBB6_2657
; %bb.2644:                             ;   in Loop: Header=BB6_2057 Depth=2
	v_mov_b32_e32 v5, 0
	v_mov_b32_e32 v3, 0
	s_and_saveexec_b64 s[62:63], s[24:25]
	s_cbranch_execz .LBB6_2650
; %bb.2645:                             ;   in Loop: Header=BB6_2057 Depth=2
	v_cmp_ne_u16_e32 vcc, s75, v2
	v_bfrev_b32_e32 v3, 1
	s_and_saveexec_b64 s[24:25], vcc
	s_cbranch_execz .LBB6_2649
; %bb.2646:                             ;   in Loop: Header=BB6_2057 Depth=2
	v_and_b32_e32 v16, 0x7f, v34
	v_cmp_ne_u32_e32 vcc, s76, v16
	v_mov_b32_e32 v3, 0x7f800001
	s_and_saveexec_b64 s[64:65], vcc
	s_cbranch_execz .LBB6_2648
; %bb.2647:                             ;   in Loop: Header=BB6_2057 Depth=2
	v_and_b32_e32 v6, 7, v2
	v_ffbh_u32_e32 v3, v6
	v_min_u32_e32 v8, 32, v3
	v_subrev_u32_e32 v3, 28, v8
	v_lshlrev_b64 v[2:3], v3, v[2:3]
	v_lshrrev_b32_e32 v7, 3, v16
	v_sub_u32_e32 v3, 29, v8
	v_and_b32_e32 v2, 7, v2
	v_cmp_gt_u32_e32 vcc, 8, v16
	v_cndmask_b32_e32 v3, v7, v3, vcc
	v_cndmask_b32_e32 v2, v6, v2, vcc
	v_lshlrev_b32_e32 v6, 24, v34
	v_lshlrev_b32_e32 v2, 20, v2
	v_and_b32_e32 v6, 0x80000000, v6
	v_lshl_add_u32 v3, v3, 23, v26
	v_or3_b32 v3, v6, v3, v2
.LBB6_2648:                             ;   in Loop: Header=BB6_2057 Depth=2
	s_or_b64 exec, exec, s[64:65]
.LBB6_2649:                             ;   in Loop: Header=BB6_2057 Depth=2
	s_or_b64 exec, exec, s[24:25]
.LBB6_2650:                             ;   in Loop: Header=BB6_2057 Depth=2
	s_or_b64 exec, exec, s[62:63]
	v_and_b32_e32 v2, 0xff, v31
	v_cmp_ne_u16_e32 vcc, 0, v2
	s_and_saveexec_b64 s[24:25], vcc
	s_cbranch_execz .LBB6_2656
; %bb.2651:                             ;   in Loop: Header=BB6_2057 Depth=2
	v_cmp_ne_u16_e32 vcc, s75, v2
	v_bfrev_b32_e32 v5, 1
	s_and_saveexec_b64 s[62:63], vcc
	s_cbranch_execz .LBB6_2655
; %bb.2652:                             ;   in Loop: Header=BB6_2057 Depth=2
	v_and_b32_e32 v16, 0x7f, v31
	v_cmp_ne_u32_e32 vcc, s76, v16
	v_mov_b32_e32 v5, 0x7f800001
	s_and_saveexec_b64 s[64:65], vcc
	s_cbranch_execz .LBB6_2654
; %bb.2653:                             ;   in Loop: Header=BB6_2057 Depth=2
	v_and_b32_e32 v5, 7, v2
	v_ffbh_u32_e32 v6, v5
	v_min_u32_e32 v9, 32, v6
	v_subrev_u32_e32 v6, 28, v9
	v_lshlrev_b64 v[6:7], v6, v[2:3]
	v_lshrrev_b32_e32 v8, 3, v16
	v_sub_u32_e32 v2, 29, v9
	v_and_b32_e32 v6, 7, v6
	v_cmp_gt_u32_e32 vcc, 8, v16
	v_cndmask_b32_e32 v2, v8, v2, vcc
	v_cndmask_b32_e32 v5, v5, v6, vcc
	v_lshlrev_b32_e32 v6, 24, v31
	v_lshlrev_b32_e32 v5, 20, v5
	v_and_b32_e32 v6, 0x80000000, v6
	v_lshl_add_u32 v2, v2, 23, v26
	v_or3_b32 v5, v6, v2, v5
.LBB6_2654:                             ;   in Loop: Header=BB6_2057 Depth=2
	s_or_b64 exec, exec, s[64:65]
.LBB6_2655:                             ;   in Loop: Header=BB6_2057 Depth=2
	s_or_b64 exec, exec, s[62:63]
.LBB6_2656:                             ;   in Loop: Header=BB6_2057 Depth=2
	s_or_b64 exec, exec, s[24:25]
	v_max_f32_e32 v2, v5, v5
	v_max_f32_e32 v3, v3, v3
	v_min_f32_e32 v3, v3, v2
.LBB6_2657:                             ;   in Loop: Header=BB6_2057 Depth=2
	v_and_b32_sdwa v16, v3, s75 dst_sel:DWORD dst_unused:UNUSED_PAD src0_sel:BYTE_3 src1_sel:DWORD
	v_and_b32_e32 v6, 0x7f800000, v3
	v_mov_b32_e32 v7, v55
	v_and_b32_e32 v54, 0x7fffff, v3
	v_or_b32_e32 v5, 0x7e, v16
	v_cmp_ne_u64_e32 vcc, s[44:45], v[6:7]
	s_and_saveexec_b64 s[24:25], vcc
	s_xor_b64 s[62:63], exec, s[24:25]
	s_cbranch_execz .LBB6_2671
; %bb.2658:                             ;   in Loop: Header=BB6_2057 Depth=2
	v_and_b32_e32 v6, 0x7fffffff, v3
	v_mov_b32_e32 v7, v55
	v_cmp_gt_u64_e32 vcc, s[46:47], v[6:7]
	s_and_saveexec_b64 s[24:25], vcc
	s_xor_b64 s[64:65], exec, s[24:25]
	s_cbranch_execz .LBB6_2670
; %bb.2659:                             ;   in Loop: Header=BB6_2057 Depth=2
	v_cmp_ne_u32_e32 vcc, 0, v3
	v_mov_b32_e32 v5, 0
	s_and_saveexec_b64 s[66:67], vcc
	s_cbranch_execz .LBB6_2669
; %bb.2660:                             ;   in Loop: Header=BB6_2057 Depth=2
	v_bfe_u32 v2, v3, 23, 8
	v_sub_u32_e32 v5, 0x79, v2
	v_cmp_gt_u32_e32 vcc, s78, v2
	v_cndmask_b32_e32 v5, 0, v5, vcc
	v_cmp_eq_u32_e32 vcc, 0, v2
	v_or_b32_e32 v6, 0x800000, v54
	v_cndmask_b32_e32 v5, v5, v32, vcc
	v_add_u32_e32 v3, 0xffffff81, v2
	v_cndmask_b32_e32 v54, v6, v54, vcc
	v_add_u32_e32 v2, 20, v5
	v_cndmask_b32_e32 v20, v3, v33, vcc
	v_lshlrev_b64 v[2:3], v2, -1
	v_lshrrev_b64 v[8:9], v5, v[54:55]
	v_not_b32_e32 v3, v3
	v_not_b32_e32 v2, v2
	v_add_u32_e32 v6, 19, v5
	v_lshrrev_b32_e32 v31, 23, v8
	v_and_b32_e32 v3, 0, v3
	v_and_b32_e32 v2, v54, v2
	v_lshlrev_b64 v[6:7], v6, 1
	v_add3_u32 v31, v5, v20, v31
	v_bfe_u32 v20, v8, 20, 1
	v_add_u32_e32 v20, -1, v20
	v_cmp_eq_u64_e32 vcc, v[2:3], v[6:7]
	v_cndmask_b32_e32 v2, 0, v20, vcc
	v_add_u32_e32 v2, v2, v8
	v_and_b32_e32 v2, 0xfffff, v2
	v_add_co_u32_e32 v2, vcc, v2, v8
	v_add_u32_e32 v5, 6, v31
	v_addc_co_u32_e32 v3, vcc, 0, v9, vcc
	v_cmp_ne_u32_e32 vcc, 0, v5
                                        ; implicit-def: $vgpr20
	s_and_saveexec_b64 s[24:25], vcc
	s_xor_b64 s[24:25], exec, s[24:25]
; %bb.2661:                             ;   in Loop: Header=BB6_2057 Depth=2
	v_add_u32_e32 v6, 7, v31
	v_cmp_lt_u64_e32 vcc, s[50:51], v[2:3]
	v_cndmask_b32_e32 v20, v5, v6, vcc
	v_cndmask_b32_e64 v5, 0, 1, vcc
	v_lshrrev_b64 v[2:3], v5, v[2:3]
; %bb.2662:                             ;   in Loop: Header=BB6_2057 Depth=2
	s_andn2_saveexec_b64 s[24:25], s[24:25]
; %bb.2663:                             ;   in Loop: Header=BB6_2057 Depth=2
	v_bfe_u32 v20, v2, 23, 1
; %bb.2664:                             ;   in Loop: Header=BB6_2057 Depth=2
	s_or_b64 exec, exec, s[24:25]
	v_lshrrev_b64 v[2:3], 20, v[2:3]
	v_cmp_gt_i32_e32 vcc, 16, v20
	v_cndmask_b32_e32 v3, 0, v3, vcc
	v_cndmask_b32_e32 v2, 7, v2, vcc
	v_cmp_ne_u32_e32 vcc, 0, v20
	v_cmp_ne_u64_e64 s[24:25], 0, v[2:3]
	s_or_b64 s[24:25], vcc, s[24:25]
                                        ; implicit-def: $vgpr5
	s_and_saveexec_b64 vcc, s[24:25]
	s_xor_b64 s[24:25], exec, vcc
; %bb.2665:                             ;   in Loop: Header=BB6_2057 Depth=2
	v_min_i32_e32 v3, 15, v20
	v_lshl_or_b32 v3, v3, 3, v16
	v_and_or_b32 v5, v2, 7, v3
                                        ; implicit-def: $vgpr16
; %bb.2666:                             ;   in Loop: Header=BB6_2057 Depth=2
	s_andn2_saveexec_b64 s[24:25], s[24:25]
; %bb.2667:                             ;   in Loop: Header=BB6_2057 Depth=2
	v_mov_b32_e32 v5, v16
; %bb.2668:                             ;   in Loop: Header=BB6_2057 Depth=2
	s_or_b64 exec, exec, s[24:25]
.LBB6_2669:                             ;   in Loop: Header=BB6_2057 Depth=2
	s_or_b64 exec, exec, s[66:67]
.LBB6_2670:                             ;   in Loop: Header=BB6_2057 Depth=2
	s_andn2_saveexec_b64 s[24:25], s[64:65]
	s_or_b64 exec, exec, s[24:25]
                                        ; implicit-def: $vgpr3
.LBB6_2671:                             ;   in Loop: Header=BB6_2057 Depth=2
	s_andn2_saveexec_b64 s[24:25], s[62:63]
; %bb.2672:                             ;   in Loop: Header=BB6_2057 Depth=2
	v_or_b32_sdwa v2, v3, s76 dst_sel:DWORD dst_unused:UNUSED_PAD src0_sel:BYTE_3 src1_sel:DWORD
	v_cmp_eq_u64_e32 vcc, 0, v[54:55]
	v_cndmask_b32_e32 v5, v2, v5, vcc
; %bb.2673:                             ;   in Loop: Header=BB6_2057 Depth=2
	s_or_b64 exec, exec, s[24:25]
	v_and_b32_e32 v2, 0xff, v28
	s_and_b64 vcc, exec, s[22:23]
	v_cmp_ne_u16_e64 s[24:25], 0, v2
	s_cbranch_vccnz .LBB6_2687
; %bb.2674:                             ;   in Loop: Header=BB6_2057 Depth=2
	v_mov_b32_e32 v20, 0
	v_mov_b32_e32 v3, 0
	s_and_saveexec_b64 s[62:63], s[24:25]
	s_cbranch_execz .LBB6_2680
; %bb.2675:                             ;   in Loop: Header=BB6_2057 Depth=2
	v_cmp_ne_u16_e32 vcc, s75, v2
	v_bfrev_b32_e32 v3, 1
	s_and_saveexec_b64 s[64:65], vcc
	s_cbranch_execz .LBB6_2679
; %bb.2676:                             ;   in Loop: Header=BB6_2057 Depth=2
	v_and_b32_e32 v16, 0x7f, v28
	v_cmp_ne_u32_e32 vcc, s76, v16
	v_mov_b32_e32 v3, 0x7f800001
	s_and_saveexec_b64 s[66:67], vcc
	s_cbranch_execz .LBB6_2678
; %bb.2677:                             ;   in Loop: Header=BB6_2057 Depth=2
	v_and_b32_e32 v3, 7, v2
	v_ffbh_u32_e32 v6, v3
	v_min_u32_e32 v9, 32, v6
	v_subrev_u32_e32 v6, 28, v9
	v_lshlrev_b64 v[6:7], v6, v[2:3]
	v_lshrrev_b32_e32 v8, 3, v16
	v_sub_u32_e32 v7, 29, v9
	v_and_b32_e32 v6, 7, v6
	v_cmp_gt_u32_e32 vcc, 8, v16
	v_cndmask_b32_e32 v7, v8, v7, vcc
	v_cndmask_b32_e32 v3, v3, v6, vcc
	v_lshlrev_b32_e32 v6, 24, v28
	v_lshlrev_b32_e32 v3, 20, v3
	v_and_b32_e32 v6, 0x80000000, v6
	v_lshl_add_u32 v7, v7, 23, v26
	v_or3_b32 v3, v6, v7, v3
.LBB6_2678:                             ;   in Loop: Header=BB6_2057 Depth=2
	s_or_b64 exec, exec, s[66:67]
.LBB6_2679:                             ;   in Loop: Header=BB6_2057 Depth=2
	s_or_b64 exec, exec, s[64:65]
.LBB6_2680:                             ;   in Loop: Header=BB6_2057 Depth=2
	s_or_b64 exec, exec, s[62:63]
	v_and_b32_e32 v16, 0xff, v25
	v_cmp_ne_u16_e32 vcc, 0, v16
	s_and_saveexec_b64 s[62:63], vcc
	s_cbranch_execz .LBB6_2686
; %bb.2681:                             ;   in Loop: Header=BB6_2057 Depth=2
	v_cmp_ne_u16_e32 vcc, s75, v16
	v_bfrev_b32_e32 v20, 1
	s_and_saveexec_b64 s[64:65], vcc
	s_cbranch_execz .LBB6_2685
; %bb.2682:                             ;   in Loop: Header=BB6_2057 Depth=2
	v_and_b32_e32 v31, 0x7f, v25
	v_cmp_ne_u32_e32 vcc, s76, v31
	v_mov_b32_e32 v20, 0x7f800001
	s_and_saveexec_b64 s[66:67], vcc
	s_cbranch_execz .LBB6_2684
; %bb.2683:                             ;   in Loop: Header=BB6_2057 Depth=2
	v_and_b32_e32 v8, 7, v16
	v_ffbh_u32_e32 v6, v8
	v_min_u32_e32 v20, 32, v6
	v_subrev_u32_e32 v6, 28, v20
	v_lshlrev_b64 v[6:7], v6, v[16:17]
	v_lshrrev_b32_e32 v9, 3, v31
	v_sub_u32_e32 v7, 29, v20
	v_and_b32_e32 v6, 7, v6
	v_cmp_gt_u32_e32 vcc, 8, v31
	v_cndmask_b32_e32 v7, v9, v7, vcc
	v_cndmask_b32_e32 v6, v8, v6, vcc
	v_lshlrev_b32_e32 v8, 24, v25
	v_lshlrev_b32_e32 v6, 20, v6
	v_and_b32_e32 v8, 0x80000000, v8
	v_lshl_add_u32 v7, v7, 23, v26
	v_or3_b32 v20, v8, v7, v6
.LBB6_2684:                             ;   in Loop: Header=BB6_2057 Depth=2
	s_or_b64 exec, exec, s[66:67]
.LBB6_2685:                             ;   in Loop: Header=BB6_2057 Depth=2
	s_or_b64 exec, exec, s[64:65]
.LBB6_2686:                             ;   in Loop: Header=BB6_2057 Depth=2
	s_or_b64 exec, exec, s[62:63]
	v_max_f32_e32 v6, v20, v20
	v_max_f32_e32 v3, v3, v3
	;; [unrolled: 1-line block ×3, first 2 shown]
	s_branch .LBB6_2701
.LBB6_2687:                             ;   in Loop: Header=BB6_2057 Depth=2
                                        ; implicit-def: $vgpr3
	s_cbranch_execz .LBB6_2701
; %bb.2688:                             ;   in Loop: Header=BB6_2057 Depth=2
	v_mov_b32_e32 v16, 0
	v_mov_b32_e32 v3, 0
	s_and_saveexec_b64 s[62:63], s[24:25]
	s_cbranch_execz .LBB6_2694
; %bb.2689:                             ;   in Loop: Header=BB6_2057 Depth=2
	v_cmp_ne_u16_e32 vcc, s75, v2
	v_bfrev_b32_e32 v3, 1
	s_and_saveexec_b64 s[24:25], vcc
	s_cbranch_execz .LBB6_2693
; %bb.2690:                             ;   in Loop: Header=BB6_2057 Depth=2
	v_and_b32_e32 v20, 0x7f, v28
	v_cmp_ne_u32_e32 vcc, s76, v20
	v_mov_b32_e32 v3, 0x7f800001
	s_and_saveexec_b64 s[64:65], vcc
	s_cbranch_execz .LBB6_2692
; %bb.2691:                             ;   in Loop: Header=BB6_2057 Depth=2
	v_and_b32_e32 v6, 7, v2
	v_ffbh_u32_e32 v3, v6
	v_min_u32_e32 v8, 32, v3
	v_subrev_u32_e32 v3, 28, v8
	v_lshlrev_b64 v[2:3], v3, v[2:3]
	v_lshrrev_b32_e32 v7, 3, v20
	v_sub_u32_e32 v3, 29, v8
	v_and_b32_e32 v2, 7, v2
	v_cmp_gt_u32_e32 vcc, 8, v20
	v_cndmask_b32_e32 v3, v7, v3, vcc
	v_cndmask_b32_e32 v2, v6, v2, vcc
	v_lshlrev_b32_e32 v6, 24, v28
	v_lshlrev_b32_e32 v2, 20, v2
	v_and_b32_e32 v6, 0x80000000, v6
	v_lshl_add_u32 v3, v3, 23, v26
	v_or3_b32 v3, v6, v3, v2
.LBB6_2692:                             ;   in Loop: Header=BB6_2057 Depth=2
	s_or_b64 exec, exec, s[64:65]
.LBB6_2693:                             ;   in Loop: Header=BB6_2057 Depth=2
	s_or_b64 exec, exec, s[24:25]
.LBB6_2694:                             ;   in Loop: Header=BB6_2057 Depth=2
	s_or_b64 exec, exec, s[62:63]
	v_and_b32_e32 v2, 0xff, v25
	v_cmp_ne_u16_e32 vcc, 0, v2
	s_and_saveexec_b64 s[24:25], vcc
	s_cbranch_execz .LBB6_2700
; %bb.2695:                             ;   in Loop: Header=BB6_2057 Depth=2
	v_cmp_ne_u16_e32 vcc, s75, v2
	v_bfrev_b32_e32 v16, 1
	s_and_saveexec_b64 s[62:63], vcc
	s_cbranch_execz .LBB6_2699
; %bb.2696:                             ;   in Loop: Header=BB6_2057 Depth=2
	v_and_b32_e32 v20, 0x7f, v25
	v_cmp_ne_u32_e32 vcc, s76, v20
	v_mov_b32_e32 v16, 0x7f800001
	s_and_saveexec_b64 s[64:65], vcc
	s_cbranch_execz .LBB6_2698
; %bb.2697:                             ;   in Loop: Header=BB6_2057 Depth=2
	v_and_b32_e32 v8, 7, v2
	v_ffbh_u32_e32 v6, v8
	v_min_u32_e32 v16, 32, v6
	v_subrev_u32_e32 v6, 28, v16
	v_lshlrev_b64 v[6:7], v6, v[2:3]
	v_lshrrev_b32_e32 v9, 3, v20
	v_sub_u32_e32 v2, 29, v16
	v_and_b32_e32 v6, 7, v6
	v_cmp_gt_u32_e32 vcc, 8, v20
	v_cndmask_b32_e32 v2, v9, v2, vcc
	v_cndmask_b32_e32 v6, v8, v6, vcc
	v_lshlrev_b32_e32 v7, 24, v25
	v_lshlrev_b32_e32 v6, 20, v6
	v_and_b32_e32 v7, 0x80000000, v7
	v_lshl_add_u32 v2, v2, 23, v26
	v_or3_b32 v16, v7, v2, v6
.LBB6_2698:                             ;   in Loop: Header=BB6_2057 Depth=2
	s_or_b64 exec, exec, s[64:65]
.LBB6_2699:                             ;   in Loop: Header=BB6_2057 Depth=2
	s_or_b64 exec, exec, s[62:63]
.LBB6_2700:                             ;   in Loop: Header=BB6_2057 Depth=2
	s_or_b64 exec, exec, s[24:25]
	v_max_f32_e32 v2, v16, v16
	v_max_f32_e32 v3, v3, v3
	v_min_f32_e32 v3, v3, v2
.LBB6_2701:                             ;   in Loop: Header=BB6_2057 Depth=2
	v_and_b32_sdwa v16, v3, s75 dst_sel:DWORD dst_unused:UNUSED_PAD src0_sel:BYTE_3 src1_sel:DWORD
	v_and_b32_e32 v6, 0x7f800000, v3
	v_mov_b32_e32 v7, v55
	v_and_b32_e32 v54, 0x7fffff, v3
	v_or_b32_e32 v20, 0x7e, v16
	v_cmp_ne_u64_e32 vcc, s[44:45], v[6:7]
	s_and_saveexec_b64 s[24:25], vcc
	s_xor_b64 s[62:63], exec, s[24:25]
	s_cbranch_execz .LBB6_2715
; %bb.2702:                             ;   in Loop: Header=BB6_2057 Depth=2
	v_and_b32_e32 v6, 0x7fffffff, v3
	v_mov_b32_e32 v7, v55
	v_cmp_gt_u64_e32 vcc, s[46:47], v[6:7]
	s_and_saveexec_b64 s[24:25], vcc
	s_xor_b64 s[64:65], exec, s[24:25]
	s_cbranch_execz .LBB6_2714
; %bb.2703:                             ;   in Loop: Header=BB6_2057 Depth=2
	v_cmp_ne_u32_e32 vcc, 0, v3
	v_mov_b32_e32 v20, 0
	s_and_saveexec_b64 s[66:67], vcc
	s_cbranch_execz .LBB6_2713
; %bb.2704:                             ;   in Loop: Header=BB6_2057 Depth=2
	v_bfe_u32 v2, v3, 23, 8
	v_sub_u32_e32 v6, 0x79, v2
	v_cmp_gt_u32_e32 vcc, s78, v2
	v_cndmask_b32_e32 v6, 0, v6, vcc
	v_cmp_eq_u32_e32 vcc, 0, v2
	v_or_b32_e32 v7, 0x800000, v54
	v_cndmask_b32_e32 v25, v6, v32, vcc
	v_add_u32_e32 v3, 0xffffff81, v2
	v_cndmask_b32_e32 v54, v7, v54, vcc
	v_add_u32_e32 v2, 20, v25
	v_cndmask_b32_e32 v20, v3, v33, vcc
	v_lshlrev_b64 v[2:3], v2, -1
	v_lshrrev_b64 v[8:9], v25, v[54:55]
	v_not_b32_e32 v3, v3
	v_not_b32_e32 v2, v2
	v_add_u32_e32 v6, 19, v25
	v_lshrrev_b32_e32 v28, 23, v8
	v_and_b32_e32 v3, 0, v3
	v_and_b32_e32 v2, v54, v2
	v_lshlrev_b64 v[6:7], v6, 1
	v_add3_u32 v28, v25, v20, v28
	v_bfe_u32 v25, v8, 20, 1
	v_add_u32_e32 v25, -1, v25
	v_cmp_eq_u64_e32 vcc, v[2:3], v[6:7]
	v_cndmask_b32_e32 v2, 0, v25, vcc
	v_add_u32_e32 v2, v2, v8
	v_and_b32_e32 v2, 0xfffff, v2
	v_add_co_u32_e32 v2, vcc, v2, v8
	v_add_u32_e32 v20, 6, v28
	v_addc_co_u32_e32 v3, vcc, 0, v9, vcc
	v_cmp_ne_u32_e32 vcc, 0, v20
                                        ; implicit-def: $vgpr25
	s_and_saveexec_b64 s[24:25], vcc
	s_xor_b64 s[24:25], exec, s[24:25]
; %bb.2705:                             ;   in Loop: Header=BB6_2057 Depth=2
	v_add_u32_e32 v6, 7, v28
	v_cmp_lt_u64_e32 vcc, s[50:51], v[2:3]
	v_cndmask_b32_e32 v25, v20, v6, vcc
	v_cndmask_b32_e64 v6, 0, 1, vcc
	v_lshrrev_b64 v[2:3], v6, v[2:3]
; %bb.2706:                             ;   in Loop: Header=BB6_2057 Depth=2
	s_andn2_saveexec_b64 s[24:25], s[24:25]
; %bb.2707:                             ;   in Loop: Header=BB6_2057 Depth=2
	v_bfe_u32 v25, v2, 23, 1
; %bb.2708:                             ;   in Loop: Header=BB6_2057 Depth=2
	s_or_b64 exec, exec, s[24:25]
	v_lshrrev_b64 v[2:3], 20, v[2:3]
	v_cmp_gt_i32_e32 vcc, 16, v25
	v_cndmask_b32_e32 v3, 0, v3, vcc
	v_cndmask_b32_e32 v2, 7, v2, vcc
	v_cmp_ne_u32_e32 vcc, 0, v25
	v_cmp_ne_u64_e64 s[24:25], 0, v[2:3]
	s_or_b64 s[24:25], vcc, s[24:25]
                                        ; implicit-def: $vgpr20
	s_and_saveexec_b64 vcc, s[24:25]
	s_xor_b64 s[24:25], exec, vcc
; %bb.2709:                             ;   in Loop: Header=BB6_2057 Depth=2
	v_min_i32_e32 v3, 15, v25
	v_lshl_or_b32 v3, v3, 3, v16
	v_and_or_b32 v20, v2, 7, v3
                                        ; implicit-def: $vgpr16
; %bb.2710:                             ;   in Loop: Header=BB6_2057 Depth=2
	s_andn2_saveexec_b64 s[24:25], s[24:25]
; %bb.2711:                             ;   in Loop: Header=BB6_2057 Depth=2
	v_mov_b32_e32 v20, v16
; %bb.2712:                             ;   in Loop: Header=BB6_2057 Depth=2
	s_or_b64 exec, exec, s[24:25]
.LBB6_2713:                             ;   in Loop: Header=BB6_2057 Depth=2
	s_or_b64 exec, exec, s[66:67]
.LBB6_2714:                             ;   in Loop: Header=BB6_2057 Depth=2
	s_andn2_saveexec_b64 s[24:25], s[64:65]
	s_or_b64 exec, exec, s[24:25]
                                        ; implicit-def: $vgpr3
.LBB6_2715:                             ;   in Loop: Header=BB6_2057 Depth=2
	s_andn2_saveexec_b64 s[24:25], s[62:63]
; %bb.2716:                             ;   in Loop: Header=BB6_2057 Depth=2
	v_or_b32_sdwa v2, v3, s76 dst_sel:DWORD dst_unused:UNUSED_PAD src0_sel:BYTE_3 src1_sel:DWORD
	v_cmp_eq_u64_e32 vcc, 0, v[54:55]
	v_cndmask_b32_e32 v20, v2, v20, vcc
; %bb.2717:                             ;   in Loop: Header=BB6_2057 Depth=2
	s_or_b64 exec, exec, s[24:25]
	v_and_b32_e32 v2, 0xff, v23
	s_and_b64 vcc, exec, s[22:23]
	v_cmp_ne_u16_e64 s[22:23], 0, v2
	s_cbranch_vccnz .LBB6_2731
; %bb.2718:                             ;   in Loop: Header=BB6_2057 Depth=2
	v_mov_b32_e32 v25, 0
	v_mov_b32_e32 v3, 0
	s_and_saveexec_b64 s[24:25], s[22:23]
	s_cbranch_execz .LBB6_2724
; %bb.2719:                             ;   in Loop: Header=BB6_2057 Depth=2
	v_cmp_ne_u16_e32 vcc, s75, v2
	v_bfrev_b32_e32 v3, 1
	s_and_saveexec_b64 s[62:63], vcc
	s_cbranch_execz .LBB6_2723
; %bb.2720:                             ;   in Loop: Header=BB6_2057 Depth=2
	v_and_b32_e32 v16, 0x7f, v23
	v_cmp_ne_u32_e32 vcc, s76, v16
	v_mov_b32_e32 v3, 0x7f800001
	s_and_saveexec_b64 s[64:65], vcc
	s_cbranch_execz .LBB6_2722
; %bb.2721:                             ;   in Loop: Header=BB6_2057 Depth=2
	v_and_b32_e32 v3, 7, v2
	v_ffbh_u32_e32 v6, v3
	v_min_u32_e32 v9, 32, v6
	v_subrev_u32_e32 v6, 28, v9
	v_lshlrev_b64 v[6:7], v6, v[2:3]
	v_lshrrev_b32_e32 v8, 3, v16
	v_sub_u32_e32 v7, 29, v9
	v_and_b32_e32 v6, 7, v6
	v_cmp_gt_u32_e32 vcc, 8, v16
	v_cndmask_b32_e32 v7, v8, v7, vcc
	v_cndmask_b32_e32 v3, v3, v6, vcc
	v_lshlrev_b32_e32 v6, 24, v23
	v_lshlrev_b32_e32 v3, 20, v3
	v_and_b32_e32 v6, 0x80000000, v6
	v_lshl_add_u32 v7, v7, 23, v26
	v_or3_b32 v3, v6, v7, v3
.LBB6_2722:                             ;   in Loop: Header=BB6_2057 Depth=2
	s_or_b64 exec, exec, s[64:65]
.LBB6_2723:                             ;   in Loop: Header=BB6_2057 Depth=2
	s_or_b64 exec, exec, s[62:63]
.LBB6_2724:                             ;   in Loop: Header=BB6_2057 Depth=2
	s_or_b64 exec, exec, s[24:25]
	v_and_b32_e32 v16, 0xff, v22
	v_cmp_ne_u16_e32 vcc, 0, v16
	s_and_saveexec_b64 s[24:25], vcc
	s_cbranch_execz .LBB6_2730
; %bb.2725:                             ;   in Loop: Header=BB6_2057 Depth=2
	v_cmp_ne_u16_e32 vcc, s75, v16
	v_bfrev_b32_e32 v25, 1
	s_and_saveexec_b64 s[62:63], vcc
	s_cbranch_execz .LBB6_2729
; %bb.2726:                             ;   in Loop: Header=BB6_2057 Depth=2
	v_and_b32_e32 v28, 0x7f, v22
	v_cmp_ne_u32_e32 vcc, s76, v28
	v_mov_b32_e32 v25, 0x7f800001
	s_and_saveexec_b64 s[64:65], vcc
	s_cbranch_execz .LBB6_2728
; %bb.2727:                             ;   in Loop: Header=BB6_2057 Depth=2
	v_and_b32_e32 v8, 7, v16
	v_ffbh_u32_e32 v6, v8
	v_min_u32_e32 v25, 32, v6
	v_subrev_u32_e32 v6, 28, v25
	v_lshlrev_b64 v[6:7], v6, v[16:17]
	v_lshrrev_b32_e32 v9, 3, v28
	v_sub_u32_e32 v7, 29, v25
	v_and_b32_e32 v6, 7, v6
	v_cmp_gt_u32_e32 vcc, 8, v28
	v_cndmask_b32_e32 v7, v9, v7, vcc
	v_cndmask_b32_e32 v6, v8, v6, vcc
	v_lshlrev_b32_e32 v8, 24, v22
	v_lshlrev_b32_e32 v6, 20, v6
	v_and_b32_e32 v8, 0x80000000, v8
	v_lshl_add_u32 v7, v7, 23, v26
	v_or3_b32 v25, v8, v7, v6
.LBB6_2728:                             ;   in Loop: Header=BB6_2057 Depth=2
	s_or_b64 exec, exec, s[64:65]
.LBB6_2729:                             ;   in Loop: Header=BB6_2057 Depth=2
	s_or_b64 exec, exec, s[62:63]
.LBB6_2730:                             ;   in Loop: Header=BB6_2057 Depth=2
	s_or_b64 exec, exec, s[24:25]
	v_max_f32_e32 v6, v25, v25
	v_max_f32_e32 v3, v3, v3
	;; [unrolled: 1-line block ×3, first 2 shown]
	s_branch .LBB6_2745
.LBB6_2731:                             ;   in Loop: Header=BB6_2057 Depth=2
                                        ; implicit-def: $vgpr25
	s_cbranch_execz .LBB6_2745
; %bb.2732:                             ;   in Loop: Header=BB6_2057 Depth=2
	v_mov_b32_e32 v16, 0
	v_mov_b32_e32 v3, 0
	s_and_saveexec_b64 s[24:25], s[22:23]
	s_cbranch_execz .LBB6_2738
; %bb.2733:                             ;   in Loop: Header=BB6_2057 Depth=2
	v_cmp_ne_u16_e32 vcc, s75, v2
	v_bfrev_b32_e32 v3, 1
	s_and_saveexec_b64 s[22:23], vcc
	s_cbranch_execz .LBB6_2737
; %bb.2734:                             ;   in Loop: Header=BB6_2057 Depth=2
	v_and_b32_e32 v25, 0x7f, v23
	v_cmp_ne_u32_e32 vcc, s76, v25
	v_mov_b32_e32 v3, 0x7f800001
	s_and_saveexec_b64 s[62:63], vcc
	s_cbranch_execz .LBB6_2736
; %bb.2735:                             ;   in Loop: Header=BB6_2057 Depth=2
	v_and_b32_e32 v6, 7, v2
	v_ffbh_u32_e32 v3, v6
	v_min_u32_e32 v8, 32, v3
	v_subrev_u32_e32 v3, 28, v8
	v_lshlrev_b64 v[2:3], v3, v[2:3]
	v_lshrrev_b32_e32 v7, 3, v25
	v_sub_u32_e32 v3, 29, v8
	v_and_b32_e32 v2, 7, v2
	v_cmp_gt_u32_e32 vcc, 8, v25
	v_cndmask_b32_e32 v3, v7, v3, vcc
	v_cndmask_b32_e32 v2, v6, v2, vcc
	v_lshlrev_b32_e32 v6, 24, v23
	v_lshlrev_b32_e32 v2, 20, v2
	v_and_b32_e32 v6, 0x80000000, v6
	v_lshl_add_u32 v3, v3, 23, v26
	v_or3_b32 v3, v6, v3, v2
.LBB6_2736:                             ;   in Loop: Header=BB6_2057 Depth=2
	s_or_b64 exec, exec, s[62:63]
.LBB6_2737:                             ;   in Loop: Header=BB6_2057 Depth=2
	s_or_b64 exec, exec, s[22:23]
.LBB6_2738:                             ;   in Loop: Header=BB6_2057 Depth=2
	s_or_b64 exec, exec, s[24:25]
	v_and_b32_e32 v2, 0xff, v22
	v_cmp_ne_u16_e32 vcc, 0, v2
	s_and_saveexec_b64 s[22:23], vcc
	s_cbranch_execz .LBB6_2744
; %bb.2739:                             ;   in Loop: Header=BB6_2057 Depth=2
	v_cmp_ne_u16_e32 vcc, s75, v2
	v_bfrev_b32_e32 v16, 1
	s_and_saveexec_b64 s[24:25], vcc
	s_cbranch_execz .LBB6_2743
; %bb.2740:                             ;   in Loop: Header=BB6_2057 Depth=2
	v_and_b32_e32 v23, 0x7f, v22
	v_cmp_ne_u32_e32 vcc, s76, v23
	v_mov_b32_e32 v16, 0x7f800001
	s_and_saveexec_b64 s[62:63], vcc
	s_cbranch_execz .LBB6_2742
; %bb.2741:                             ;   in Loop: Header=BB6_2057 Depth=2
	v_and_b32_e32 v8, 7, v2
	v_ffbh_u32_e32 v6, v8
	v_min_u32_e32 v16, 32, v6
	v_subrev_u32_e32 v6, 28, v16
	v_lshlrev_b64 v[6:7], v6, v[2:3]
	v_lshrrev_b32_e32 v9, 3, v23
	v_sub_u32_e32 v2, 29, v16
	v_and_b32_e32 v6, 7, v6
	v_cmp_gt_u32_e32 vcc, 8, v23
	v_cndmask_b32_e32 v2, v9, v2, vcc
	v_cndmask_b32_e32 v6, v8, v6, vcc
	v_lshlrev_b32_e32 v7, 24, v22
	v_lshlrev_b32_e32 v6, 20, v6
	v_and_b32_e32 v7, 0x80000000, v7
	v_lshl_add_u32 v2, v2, 23, v26
	v_or3_b32 v16, v7, v2, v6
.LBB6_2742:                             ;   in Loop: Header=BB6_2057 Depth=2
	s_or_b64 exec, exec, s[62:63]
.LBB6_2743:                             ;   in Loop: Header=BB6_2057 Depth=2
	s_or_b64 exec, exec, s[24:25]
.LBB6_2744:                             ;   in Loop: Header=BB6_2057 Depth=2
	s_or_b64 exec, exec, s[22:23]
	v_max_f32_e32 v2, v16, v16
	v_max_f32_e32 v3, v3, v3
	v_min_f32_e32 v25, v3, v2
.LBB6_2745:                             ;   in Loop: Header=BB6_2057 Depth=2
	v_and_b32_sdwa v16, v25, s75 dst_sel:DWORD dst_unused:UNUSED_PAD src0_sel:BYTE_3 src1_sel:DWORD
	v_and_b32_e32 v6, 0x7f800000, v25
	v_mov_b32_e32 v7, v55
	v_and_b32_e32 v54, 0x7fffff, v25
	v_or_b32_e32 v3, 0x7e, v16
	v_cmp_ne_u64_e32 vcc, s[44:45], v[6:7]
	s_and_saveexec_b64 s[22:23], vcc
	s_xor_b64 s[24:25], exec, s[22:23]
	s_cbranch_execz .LBB6_2759
; %bb.2746:                             ;   in Loop: Header=BB6_2057 Depth=2
	v_and_b32_e32 v6, 0x7fffffff, v25
	v_mov_b32_e32 v7, v55
	v_cmp_gt_u64_e32 vcc, s[46:47], v[6:7]
	s_and_saveexec_b64 s[22:23], vcc
	s_xor_b64 s[62:63], exec, s[22:23]
	s_cbranch_execz .LBB6_2758
; %bb.2747:                             ;   in Loop: Header=BB6_2057 Depth=2
	v_cmp_ne_u32_e32 vcc, 0, v25
	v_mov_b32_e32 v3, 0
	s_and_saveexec_b64 s[64:65], vcc
	s_cbranch_execz .LBB6_2757
; %bb.2748:                             ;   in Loop: Header=BB6_2057 Depth=2
	v_bfe_u32 v2, v25, 23, 8
	v_sub_u32_e32 v6, 0x79, v2
	v_cmp_gt_u32_e32 vcc, s78, v2
	v_cndmask_b32_e32 v6, 0, v6, vcc
	v_cmp_eq_u32_e32 vcc, 0, v2
	v_or_b32_e32 v7, 0x800000, v54
	v_cndmask_b32_e32 v23, v6, v32, vcc
	v_add_u32_e32 v3, 0xffffff81, v2
	v_cndmask_b32_e32 v54, v7, v54, vcc
	v_add_u32_e32 v2, 20, v23
	v_cndmask_b32_e32 v22, v3, v33, vcc
	v_lshlrev_b64 v[2:3], v2, -1
	v_lshrrev_b64 v[8:9], v23, v[54:55]
	v_not_b32_e32 v3, v3
	v_not_b32_e32 v2, v2
	v_add_u32_e32 v6, 19, v23
	v_lshrrev_b32_e32 v25, 23, v8
	v_and_b32_e32 v3, 0, v3
	v_and_b32_e32 v2, v54, v2
	v_lshlrev_b64 v[6:7], v6, 1
	v_add3_u32 v25, v23, v22, v25
	v_bfe_u32 v22, v8, 20, 1
	v_add_u32_e32 v22, -1, v22
	v_cmp_eq_u64_e32 vcc, v[2:3], v[6:7]
	v_cndmask_b32_e32 v2, 0, v22, vcc
	v_add_u32_e32 v2, v2, v8
	v_and_b32_e32 v2, 0xfffff, v2
	v_add_co_u32_e32 v2, vcc, v2, v8
	v_add_u32_e32 v23, 6, v25
	v_addc_co_u32_e32 v3, vcc, 0, v9, vcc
	v_cmp_ne_u32_e32 vcc, 0, v23
                                        ; implicit-def: $vgpr22
	s_and_saveexec_b64 s[22:23], vcc
	s_xor_b64 s[22:23], exec, s[22:23]
; %bb.2749:                             ;   in Loop: Header=BB6_2057 Depth=2
	v_add_u32_e32 v6, 7, v25
	v_cmp_lt_u64_e32 vcc, s[50:51], v[2:3]
	v_cndmask_b32_e32 v22, v23, v6, vcc
	v_cndmask_b32_e64 v6, 0, 1, vcc
	v_lshrrev_b64 v[2:3], v6, v[2:3]
; %bb.2750:                             ;   in Loop: Header=BB6_2057 Depth=2
	s_andn2_saveexec_b64 s[22:23], s[22:23]
; %bb.2751:                             ;   in Loop: Header=BB6_2057 Depth=2
	v_bfe_u32 v22, v2, 23, 1
; %bb.2752:                             ;   in Loop: Header=BB6_2057 Depth=2
	s_or_b64 exec, exec, s[22:23]
	v_lshrrev_b64 v[2:3], 20, v[2:3]
	v_cmp_gt_i32_e32 vcc, 16, v22
	v_cndmask_b32_e32 v3, 0, v3, vcc
	v_cndmask_b32_e32 v2, 7, v2, vcc
	v_cmp_ne_u32_e32 vcc, 0, v22
	v_cmp_ne_u64_e64 s[22:23], 0, v[2:3]
	s_or_b64 s[22:23], vcc, s[22:23]
                                        ; implicit-def: $vgpr3
	s_and_saveexec_b64 vcc, s[22:23]
	s_xor_b64 s[22:23], exec, vcc
; %bb.2753:                             ;   in Loop: Header=BB6_2057 Depth=2
	v_min_i32_e32 v3, 15, v22
	v_lshl_or_b32 v3, v3, 3, v16
	v_and_or_b32 v3, v2, 7, v3
                                        ; implicit-def: $vgpr16
; %bb.2754:                             ;   in Loop: Header=BB6_2057 Depth=2
	s_andn2_saveexec_b64 s[22:23], s[22:23]
; %bb.2755:                             ;   in Loop: Header=BB6_2057 Depth=2
	v_mov_b32_e32 v3, v16
; %bb.2756:                             ;   in Loop: Header=BB6_2057 Depth=2
	s_or_b64 exec, exec, s[22:23]
.LBB6_2757:                             ;   in Loop: Header=BB6_2057 Depth=2
	s_or_b64 exec, exec, s[64:65]
.LBB6_2758:                             ;   in Loop: Header=BB6_2057 Depth=2
	s_andn2_saveexec_b64 s[22:23], s[62:63]
	s_or_b64 exec, exec, s[22:23]
                                        ; implicit-def: $vgpr25
.LBB6_2759:                             ;   in Loop: Header=BB6_2057 Depth=2
	s_andn2_saveexec_b64 s[22:23], s[24:25]
	s_cbranch_execz .LBB6_2056
; %bb.2760:                             ;   in Loop: Header=BB6_2057 Depth=2
	v_or_b32_sdwa v2, v25, s76 dst_sel:DWORD dst_unused:UNUSED_PAD src0_sel:BYTE_3 src1_sel:DWORD
	v_cmp_eq_u64_e32 vcc, 0, v[54:55]
	v_cndmask_b32_e32 v3, v2, v3, vcc
	s_branch .LBB6_2056
.LBB6_2761:                             ;   in Loop: Header=BB6_49 Depth=1
	s_or_b64 exec, exec, s[60:61]
	v_accvgpr_read_b32 v61, a7
	v_mov_b32_e32 v46, v39
	v_accvgpr_read_b32 v31, a0
	v_accvgpr_read_b32 v58, a1
	;; [unrolled: 1-line block ×6, first 2 shown]
	v_mov_b32_e32 v20, 1
	v_accvgpr_read_b32 v22, a37
	v_accvgpr_read_b32 v2, a39
.LBB6_2762:                             ;   in Loop: Header=BB6_49 Depth=1
	s_or_b64 exec, exec, s[26:27]
	v_lshlrev_b32_e32 v0, 10, v21
	v_cmp_ne_u32_e32 vcc, v17, v0
	s_and_b64 exec, exec, vcc
	s_cbranch_execz .LBB6_2810
; %bb.2763:                             ;   in Loop: Header=BB6_49 Depth=1
	v_add_u32_e32 v2, v18, v2
	v_and_b32_e32 v2, 0xffffffc0, v2
	v_sub_u32_e32 v2, v18, v2
	v_lshlrev_b32_e32 v3, 6, v19
	v_sub_u32_e32 v2, v2, v3
	v_add_u32_e32 v2, v0, v2
	v_sub_u32_e32 v0, v17, v2
	v_cmp_lt_i32_e32 vcc, 0, v0
	s_and_b64 exec, exec, vcc
	s_cbranch_execz .LBB6_2810
; %bb.2764:                             ;   in Loop: Header=BB6_49 Depth=1
	s_trap 2
	ds_read_b128 v[4:7], v0
	ds_read_b64 v[8:9], v0
	v_add_u32_e32 v1, v2, v1
	v_ashrrev_i32_e32 v13, 31, v1
	s_bitcmp1_b32 s68, 0
	s_waitcnt lgkmcnt(0)
	v_add_co_u32_e32 v2, vcc, v4, v1
	v_addc_co_u32_e32 v3, vcc, v5, v13, vcc
	v_add_co_u32_e32 v10, vcc, v6, v1
	v_addc_co_u32_e32 v11, vcc, v7, v13, vcc
	;; [unrolled: 2-line block ×3, first 2 shown]
	s_mov_b64 s[58:59], 0
	s_cselect_b64 s[60:61], -1, 0
	s_branch .LBB6_2766
.LBB6_2765:                             ;   in Loop: Header=BB6_2766 Depth=2
	s_or_b64 exec, exec, s[22:23]
	flat_store_byte v[12:13], v4 glc slc
	v_accvgpr_read_b32 v4, a36
	v_add_co_u32_e32 v2, vcc, v2, v4
	v_accvgpr_read_b32 v1, a35
	v_addc_co_u32_e32 v3, vcc, v3, v1, vcc
	v_add_co_u32_e32 v10, vcc, v10, v4
	v_addc_co_u32_e32 v11, vcc, v11, v1, vcc
	v_sub_u32_e32 v0, v0, v4
	v_cmp_gt_i32_e32 vcc, 1, v0
	s_or_b64 s[58:59], vcc, s[58:59]
	v_add_co_u32_e32 v12, vcc, v12, v4
	v_addc_co_u32_e32 v13, vcc, v13, v1, vcc
	s_andn2_b64 exec, exec, s[58:59]
	s_cbranch_execz .LBB6_2810
.LBB6_2766:                             ;   Parent Loop BB6_49 Depth=1
                                        ; =>  This Inner Loop Header: Depth=2
	flat_load_ubyte v4, v[10:11] glc slc
	flat_load_ubyte v5, v[2:3] glc slc
	s_and_b64 vcc, exec, s[60:61]
	s_waitcnt vmcnt(0) lgkmcnt(0)
	v_cmp_ne_u16_e64 s[24:25], 0, v4
	v_cmp_ne_u16_e64 s[22:23], s75, v4
	v_and_b32_sdwa v1, sext(v4), s77 dst_sel:DWORD dst_unused:UNUSED_PAD src0_sel:BYTE_0 src1_sel:DWORD
	v_cmp_ne_u16_e64 s[26:27], 0, v5
	s_cbranch_vccz .LBB6_2780
; %bb.2767:                             ;   in Loop: Header=BB6_2766 Depth=2
	v_mov_b32_e32 v15, 0
	v_mov_b32_e32 v16, 0
	s_and_saveexec_b64 s[62:63], s[26:27]
	s_cbranch_execz .LBB6_2773
; %bb.2768:                             ;   in Loop: Header=BB6_2766 Depth=2
	v_cmp_ne_u16_e32 vcc, s75, v5
	v_bfrev_b32_e32 v16, 1
	s_and_saveexec_b64 s[64:65], vcc
	s_cbranch_execz .LBB6_2772
; %bb.2769:                             ;   in Loop: Header=BB6_2766 Depth=2
	v_and_b32_e32 v14, 0xffff, v5
	v_and_b32_e32 v17, 0x7f, v14
	v_cmp_ne_u32_e32 vcc, s76, v17
	v_mov_b32_e32 v16, 0x7f800001
	s_and_saveexec_b64 s[66:67], vcc
	s_cbranch_execz .LBB6_2771
; %bb.2770:                             ;   in Loop: Header=BB6_2766 Depth=2
	v_and_b32_e32 v8, 7, v14
	v_ffbh_u32_e32 v6, v8
	v_min_u32_e32 v16, 32, v6
	v_subrev_u32_e32 v6, 28, v16
	v_lshlrev_b64 v[6:7], v6, v[14:15]
	v_lshrrev_b32_e32 v9, 3, v17
	v_sub_u32_e32 v7, 29, v16
	v_and_b32_e32 v6, 7, v6
	v_cmp_gt_u32_e32 vcc, 8, v17
	v_cndmask_b32_e32 v7, v9, v7, vcc
	v_cndmask_b32_e32 v6, v8, v6, vcc
	v_lshlrev_b32_e32 v8, 24, v5
	v_lshlrev_b32_e32 v6, 20, v6
	v_and_b32_e32 v8, 0x80000000, v8
	v_lshl_add_u32 v7, v7, 23, v26
	v_or3_b32 v16, v8, v7, v6
.LBB6_2771:                             ;   in Loop: Header=BB6_2766 Depth=2
	s_or_b64 exec, exec, s[66:67]
.LBB6_2772:                             ;   in Loop: Header=BB6_2766 Depth=2
	s_or_b64 exec, exec, s[64:65]
.LBB6_2773:                             ;   in Loop: Header=BB6_2766 Depth=2
	s_or_b64 exec, exec, s[62:63]
	s_and_saveexec_b64 s[62:63], s[24:25]
	s_cbranch_execz .LBB6_2779
; %bb.2774:                             ;   in Loop: Header=BB6_2766 Depth=2
	v_bfrev_b32_e32 v15, 1
	s_and_saveexec_b64 s[64:65], s[22:23]
	s_cbranch_execz .LBB6_2778
; %bb.2775:                             ;   in Loop: Header=BB6_2766 Depth=2
	v_and_b32_e32 v14, 0xffff, v4
	v_and_b32_e32 v17, 0x7f, v14
	v_cmp_ne_u32_e32 vcc, s76, v17
	v_mov_b32_e32 v15, 0x7f800001
	s_and_saveexec_b64 s[66:67], vcc
	s_cbranch_execz .LBB6_2777
; %bb.2776:                             ;   in Loop: Header=BB6_2766 Depth=2
	v_and_b32_e32 v8, 7, v14
	v_ffbh_u32_e32 v6, v8
	v_min_u32_e32 v15, 32, v6
	v_subrev_u32_e32 v6, 28, v15
	v_lshlrev_b64 v[6:7], v6, v[14:15]
	v_and_b32_e32 v6, 7, v6
	v_cmp_gt_u32_e32 vcc, 8, v17
	v_lshrrev_b32_e32 v9, 3, v17
	v_sub_u32_e32 v7, 29, v15
	v_cndmask_b32_e32 v6, v8, v6, vcc
	v_cndmask_b32_e32 v7, v9, v7, vcc
	v_lshlrev_b32_e32 v6, 20, v6
	v_lshl_or_b32 v6, v7, 23, v6
	v_add_u32_e32 v6, 0x3c000000, v6
	v_or_b32_e32 v15, v6, v1
.LBB6_2777:                             ;   in Loop: Header=BB6_2766 Depth=2
	s_or_b64 exec, exec, s[66:67]
.LBB6_2778:                             ;   in Loop: Header=BB6_2766 Depth=2
	s_or_b64 exec, exec, s[64:65]
.LBB6_2779:                             ;   in Loop: Header=BB6_2766 Depth=2
	s_or_b64 exec, exec, s[62:63]
	v_max_f32_e32 v6, v15, v15
	v_max_f32_e32 v7, v16, v16
	;; [unrolled: 1-line block ×3, first 2 shown]
	s_branch .LBB6_2794
.LBB6_2780:                             ;   in Loop: Header=BB6_2766 Depth=2
                                        ; implicit-def: $vgpr14
	s_cbranch_execz .LBB6_2794
; %bb.2781:                             ;   in Loop: Header=BB6_2766 Depth=2
	v_mov_b32_e32 v15, 0
	v_mov_b32_e32 v16, 0
	s_and_saveexec_b64 s[62:63], s[26:27]
	s_cbranch_execz .LBB6_2787
; %bb.2782:                             ;   in Loop: Header=BB6_2766 Depth=2
	v_cmp_ne_u16_e32 vcc, s75, v5
	v_bfrev_b32_e32 v16, 1
	s_and_saveexec_b64 s[26:27], vcc
	s_cbranch_execz .LBB6_2786
; %bb.2783:                             ;   in Loop: Header=BB6_2766 Depth=2
	v_and_b32_e32 v14, 0xffff, v5
	v_and_b32_e32 v17, 0x7f, v14
	v_cmp_ne_u32_e32 vcc, s76, v17
	v_mov_b32_e32 v16, 0x7f800001
	s_and_saveexec_b64 s[64:65], vcc
	s_cbranch_execz .LBB6_2785
; %bb.2784:                             ;   in Loop: Header=BB6_2766 Depth=2
	v_and_b32_e32 v8, 7, v14
	v_ffbh_u32_e32 v6, v8
	v_min_u32_e32 v16, 32, v6
	v_subrev_u32_e32 v6, 28, v16
	v_lshlrev_b64 v[6:7], v6, v[14:15]
	v_lshrrev_b32_e32 v9, 3, v17
	v_sub_u32_e32 v7, 29, v16
	v_and_b32_e32 v6, 7, v6
	v_cmp_gt_u32_e32 vcc, 8, v17
	v_cndmask_b32_e32 v7, v9, v7, vcc
	v_cndmask_b32_e32 v6, v8, v6, vcc
	v_lshlrev_b32_e32 v5, 24, v5
	v_lshlrev_b32_e32 v6, 20, v6
	v_and_b32_e32 v5, 0x80000000, v5
	v_lshl_add_u32 v7, v7, 23, v26
	v_or3_b32 v16, v5, v7, v6
.LBB6_2785:                             ;   in Loop: Header=BB6_2766 Depth=2
	s_or_b64 exec, exec, s[64:65]
.LBB6_2786:                             ;   in Loop: Header=BB6_2766 Depth=2
	s_or_b64 exec, exec, s[26:27]
.LBB6_2787:                             ;   in Loop: Header=BB6_2766 Depth=2
	s_or_b64 exec, exec, s[62:63]
	s_and_saveexec_b64 s[26:27], s[24:25]
	s_cbranch_execz .LBB6_2793
; %bb.2788:                             ;   in Loop: Header=BB6_2766 Depth=2
	v_bfrev_b32_e32 v15, 1
	s_and_saveexec_b64 s[24:25], s[22:23]
	s_cbranch_execz .LBB6_2792
; %bb.2789:                             ;   in Loop: Header=BB6_2766 Depth=2
	v_and_b32_e32 v14, 0xffff, v4
	v_and_b32_e32 v4, 0x7f, v14
	v_cmp_ne_u32_e32 vcc, s76, v4
	v_mov_b32_e32 v15, 0x7f800001
	s_and_saveexec_b64 s[22:23], vcc
	s_cbranch_execz .LBB6_2791
; %bb.2790:                             ;   in Loop: Header=BB6_2766 Depth=2
	v_and_b32_e32 v5, 7, v14
	v_ffbh_u32_e32 v6, v5
	v_min_u32_e32 v9, 32, v6
	v_subrev_u32_e32 v6, 28, v9
	v_lshlrev_b64 v[6:7], v6, v[14:15]
	v_and_b32_e32 v6, 7, v6
	v_cmp_gt_u32_e32 vcc, 8, v4
	v_lshrrev_b32_e32 v8, 3, v4
	v_sub_u32_e32 v7, 29, v9
	v_cndmask_b32_e32 v5, v5, v6, vcc
	v_cndmask_b32_e32 v4, v8, v7, vcc
	v_lshlrev_b32_e32 v5, 20, v5
	v_lshl_or_b32 v4, v4, 23, v5
	v_add_u32_e32 v4, 0x3c000000, v4
	v_or_b32_e32 v15, v4, v1
.LBB6_2791:                             ;   in Loop: Header=BB6_2766 Depth=2
	s_or_b64 exec, exec, s[22:23]
.LBB6_2792:                             ;   in Loop: Header=BB6_2766 Depth=2
	s_or_b64 exec, exec, s[24:25]
.LBB6_2793:                             ;   in Loop: Header=BB6_2766 Depth=2
	s_or_b64 exec, exec, s[26:27]
	v_max_f32_e32 v1, v15, v15
	v_max_f32_e32 v4, v16, v16
	v_min_f32_e32 v14, v4, v1
.LBB6_2794:                             ;   in Loop: Header=BB6_2766 Depth=2
	v_and_b32_sdwa v1, v14, s75 dst_sel:DWORD dst_unused:UNUSED_PAD src0_sel:BYTE_3 src1_sel:DWORD
	v_and_b32_e32 v6, 0x7f800000, v14
	v_mov_b32_e32 v7, v55
	v_and_b32_e32 v54, 0x7fffff, v14
	v_or_b32_e32 v4, 0x7e, v1
	v_cmp_ne_u64_e32 vcc, s[44:45], v[6:7]
	s_and_saveexec_b64 s[22:23], vcc
	s_xor_b64 s[24:25], exec, s[22:23]
	s_cbranch_execz .LBB6_2808
; %bb.2795:                             ;   in Loop: Header=BB6_2766 Depth=2
	v_and_b32_e32 v6, 0x7fffffff, v14
	v_mov_b32_e32 v7, v55
	v_cmp_gt_u64_e32 vcc, s[46:47], v[6:7]
	s_and_saveexec_b64 s[22:23], vcc
	s_xor_b64 s[26:27], exec, s[22:23]
	s_cbranch_execz .LBB6_2807
; %bb.2796:                             ;   in Loop: Header=BB6_2766 Depth=2
	v_cmp_ne_u32_e32 vcc, 0, v14
	v_mov_b32_e32 v4, 0
	s_and_saveexec_b64 s[62:63], vcc
	s_cbranch_execz .LBB6_2806
; %bb.2797:                             ;   in Loop: Header=BB6_2766 Depth=2
	v_bfe_u32 v4, v14, 23, 8
	v_sub_u32_e32 v6, 0x79, v4
	v_cmp_gt_u32_e32 vcc, s78, v4
	v_cndmask_b32_e32 v6, 0, v6, vcc
	v_cmp_eq_u32_e32 vcc, 0, v4
	v_cndmask_b32_e32 v17, v6, v32, vcc
	v_add_u32_e32 v5, 0xffffff81, v4
	v_add_u32_e32 v4, 20, v17
	v_or_b32_e32 v7, 0x800000, v54
	v_cndmask_b32_e32 v16, v5, v33, vcc
	v_lshlrev_b64 v[4:5], v4, -1
	v_cndmask_b32_e32 v54, v7, v54, vcc
	v_not_b32_e32 v4, v4
	v_not_b32_e32 v5, v5
	v_and_b32_e32 v6, v54, v4
	v_add_u32_e32 v4, 19, v17
	v_lshrrev_b64 v[14:15], v17, v[54:55]
	v_and_b32_e32 v7, 0, v5
	v_lshlrev_b64 v[8:9], v4, 1
	v_bfe_u32 v5, v14, 20, 1
	v_add_u32_e32 v5, -1, v5
	v_cmp_eq_u64_e32 vcc, v[6:7], v[8:9]
	v_cndmask_b32_e32 v5, 0, v5, vcc
	v_add_u32_e32 v5, v5, v14
	v_lshrrev_b32_e32 v4, 23, v14
	v_and_b32_e32 v5, 0xfffff, v5
	v_add3_u32 v16, v17, v16, v4
	v_add_co_u32_e32 v14, vcc, v5, v14
	v_add_u32_e32 v4, 6, v16
	v_addc_co_u32_e32 v15, vcc, 0, v15, vcc
	v_cmp_ne_u32_e32 vcc, 0, v4
                                        ; implicit-def: $vgpr5
	s_and_saveexec_b64 s[22:23], vcc
	s_xor_b64 s[22:23], exec, s[22:23]
; %bb.2798:                             ;   in Loop: Header=BB6_2766 Depth=2
	v_add_u32_e32 v5, 7, v16
	v_cmp_lt_u64_e32 vcc, s[50:51], v[14:15]
	v_cndmask_b32_e32 v5, v4, v5, vcc
	v_cndmask_b32_e64 v4, 0, 1, vcc
	v_lshrrev_b64 v[14:15], v4, v[14:15]
; %bb.2799:                             ;   in Loop: Header=BB6_2766 Depth=2
	s_andn2_saveexec_b64 s[22:23], s[22:23]
; %bb.2800:                             ;   in Loop: Header=BB6_2766 Depth=2
	v_bfe_u32 v5, v14, 23, 1
; %bb.2801:                             ;   in Loop: Header=BB6_2766 Depth=2
	s_or_b64 exec, exec, s[22:23]
	v_lshrrev_b64 v[6:7], 20, v[14:15]
	v_cmp_gt_i32_e32 vcc, 16, v5
	v_cndmask_b32_e32 v15, 0, v7, vcc
	v_cndmask_b32_e32 v14, 7, v6, vcc
	v_cmp_ne_u32_e32 vcc, 0, v5
	v_cmp_ne_u64_e64 s[22:23], 0, v[14:15]
	s_or_b64 s[22:23], vcc, s[22:23]
                                        ; implicit-def: $vgpr4
	s_and_saveexec_b64 vcc, s[22:23]
	s_xor_b64 s[22:23], exec, vcc
; %bb.2802:                             ;   in Loop: Header=BB6_2766 Depth=2
	v_min_i32_e32 v4, 15, v5
	v_lshl_or_b32 v1, v4, 3, v1
	v_and_or_b32 v4, v14, 7, v1
                                        ; implicit-def: $vgpr1
; %bb.2803:                             ;   in Loop: Header=BB6_2766 Depth=2
	s_andn2_saveexec_b64 s[22:23], s[22:23]
; %bb.2804:                             ;   in Loop: Header=BB6_2766 Depth=2
	v_mov_b32_e32 v4, v1
; %bb.2805:                             ;   in Loop: Header=BB6_2766 Depth=2
	s_or_b64 exec, exec, s[22:23]
.LBB6_2806:                             ;   in Loop: Header=BB6_2766 Depth=2
	s_or_b64 exec, exec, s[62:63]
.LBB6_2807:                             ;   in Loop: Header=BB6_2766 Depth=2
	s_andn2_saveexec_b64 s[22:23], s[26:27]
	s_or_b64 exec, exec, s[22:23]
                                        ; implicit-def: $vgpr14
.LBB6_2808:                             ;   in Loop: Header=BB6_2766 Depth=2
	s_andn2_saveexec_b64 s[22:23], s[24:25]
	s_cbranch_execz .LBB6_2765
; %bb.2809:                             ;   in Loop: Header=BB6_2766 Depth=2
	v_or_b32_sdwa v1, v14, s76 dst_sel:DWORD dst_unused:UNUSED_PAD src0_sel:BYTE_3 src1_sel:DWORD
	v_cmp_eq_u64_e32 vcc, 0, v[54:55]
	v_cndmask_b32_e32 v4, v1, v4, vcc
	s_branch .LBB6_2765
.LBB6_2810:                             ;   in Loop: Header=BB6_49 Depth=1
	s_or_b64 exec, exec, s[56:57]
	v_cmp_ne_u32_e64 s[22:23], 0, v22
	v_accvgpr_read_b32 v14, a40
.LBB6_2811:                             ;   in Loop: Header=BB6_49 Depth=1
	s_and_saveexec_b64 s[24:25], s[12:13]
	s_cbranch_execz .LBB6_2830
; %bb.2812:                             ;   in Loop: Header=BB6_49 Depth=1
	s_and_saveexec_b64 s[26:27], s[38:39]
	s_xor_b64 s[26:27], exec, s[26:27]
	s_cbranch_execz .LBB6_2827
; %bb.2813:                             ;   in Loop: Header=BB6_49 Depth=1
	s_and_saveexec_b64 s[56:57], s[14:15]
	s_cbranch_execz .LBB6_2826
; %bb.2814:                             ;   in Loop: Header=BB6_49 Depth=1
	s_mov_b64 s[60:61], exec
	v_mbcnt_lo_u32_b32 v0, s60, 0
	v_mbcnt_hi_u32_b32 v0, s61, v0
	v_cmp_eq_u32_e32 vcc, 0, v0
	s_waitcnt vmcnt(0) lgkmcnt(0)
	buffer_wbinvl1_vol
	s_and_saveexec_b64 s[58:59], vcc
	s_cbranch_execz .LBB6_2816
; %bb.2815:                             ;   in Loop: Header=BB6_49 Depth=1
	s_bcnt1_i32_b64 vcc_lo, s[60:61]
	v_mov_b32_e32 v54, vcc_lo
	ds_add_u64 v0, v[54:55]
	s_trap 2
.LBB6_2816:                             ;   in Loop: Header=BB6_49 Depth=1
	s_or_b64 exec, exec, s[58:59]
	s_trap 2
	ds_read_b64 v[0:1], v0
	v_accvgpr_read_b32 v2, a24
	v_accvgpr_read_b32 v4, a8
	;; [unrolled: 1-line block ×3, first 2 shown]
	v_add_co_u32_e32 v2, vcc, v2, v4
	v_addc_co_u32_e32 v3, vcc, 0, v3, vcc
	v_accvgpr_write_b32 a25, v3
	v_accvgpr_write_b32 a24, v2
	s_waitcnt lgkmcnt(0)
	v_cmp_lt_u64_e32 vcc, v[0:1], v[2:3]
	s_and_saveexec_b64 s[58:59], vcc
	s_cbranch_execz .LBB6_2825
; %bb.2817:                             ;   in Loop: Header=BB6_49 Depth=1
	s_mov_b32 s80, 0
	s_mov_b64 s[60:61], 0
                                        ; implicit-def: $sgpr62_sgpr63
                                        ; implicit-def: $sgpr64_sgpr65
	s_branch .LBB6_2819
.LBB6_2818:                             ;   in Loop: Header=BB6_2819 Depth=2
	s_or_b64 exec, exec, s[68:69]
	s_and_b64 vcc, exec, vcc
	s_or_b64 s[60:61], vcc, s[60:61]
	s_andn2_b64 vcc, s[62:63], exec
	s_and_b64 s[62:63], s[64:65], exec
	s_or_b64 s[62:63], vcc, s[62:63]
	s_andn2_b64 exec, exec, s[60:61]
	s_cbranch_execz .LBB6_2823
.LBB6_2819:                             ;   Parent Loop BB6_49 Depth=1
                                        ; =>  This Inner Loop Header: Depth=2
	s_add_i32 s80, s80, 1
	s_cmpk_lg_i32 s80, 0x2710
	s_cselect_b64 s[66:67], -1, 0
	s_and_b64 vcc, exec, s[66:67]
                                        ; implicit-def: $sgpr68_sgpr69
	s_cbranch_vccnz .LBB6_2821
; %bb.2820:                             ;   in Loop: Header=BB6_2819 Depth=2
	s_trap 2
	ds_read_b64 v[0:1], v0
	s_andn2_b64 s[66:67], s[66:67], exec
	s_mov_b32 s80, 0
	s_mov_b64 s[68:69], -1
	s_waitcnt lgkmcnt(0)
	flat_load_dword v0, v[0:1] glc
	s_waitcnt vmcnt(0) lgkmcnt(0)
	buffer_invl2
	buffer_wbinvl1_vol
	v_cmp_eq_u32_e32 vcc, 0, v0
	s_and_b64 vcc, vcc, exec
	s_or_b64 s[66:67], s[66:67], vcc
.LBB6_2821:                             ;   in Loop: Header=BB6_2819 Depth=2
	s_andn2_b64 s[64:65], s[64:65], exec
	s_and_b64 s[68:69], s[68:69], exec
	s_mov_b64 vcc, -1
	s_or_b64 s[64:65], s[64:65], s[68:69]
	s_and_saveexec_b64 s[68:69], s[66:67]
	s_cbranch_execz .LBB6_2818
; %bb.2822:                             ;   in Loop: Header=BB6_2819 Depth=2
	s_sleep 1
	s_trap 2
	ds_read_b64 v[0:1], v0
	v_accvgpr_read_b32 v2, a24
	v_accvgpr_read_b32 v3, a25
	s_andn2_b64 s[64:65], s[64:65], exec
	s_waitcnt lgkmcnt(0)
	v_cmp_ge_u64_e32 vcc, v[0:1], v[2:3]
	s_orn2_b64 vcc, vcc, exec
	s_branch .LBB6_2818
.LBB6_2823:                             ;   in Loop: Header=BB6_49 Depth=1
	s_or_b64 exec, exec, s[60:61]
	s_and_saveexec_b64 vcc, s[62:63]
	s_xor_b64 vcc, exec, vcc
	s_cbranch_execz .LBB6_2825
; %bb.2824:                             ;   in Loop: Header=BB6_49 Depth=1
	ds_write_b32 v0, v20
	s_trap 2
.LBB6_2825:                             ;   in Loop: Header=BB6_49 Depth=1
	s_or_b64 exec, exec, s[58:59]
	;;#ASMSTART
	s_wakeup
	;;#ASMEND
.LBB6_2826:                             ;   in Loop: Header=BB6_49 Depth=1
	s_or_b64 exec, exec, s[56:57]
.LBB6_2827:                             ;   in Loop: Header=BB6_49 Depth=1
	s_andn2_saveexec_b64 s[26:27], s[26:27]
	s_cbranch_execz .LBB6_2829
; %bb.2828:                             ;   in Loop: Header=BB6_49 Depth=1
	s_waitcnt vmcnt(0) lgkmcnt(0)
	buffer_wbinvl1_vol
	s_barrier
.LBB6_2829:                             ;   in Loop: Header=BB6_49 Depth=1
	s_or_b64 exec, exec, s[26:27]
.LBB6_2830:                             ;   in Loop: Header=BB6_49 Depth=1
	s_or_b64 exec, exec, s[24:25]
	v_and_b32_e32 v0, 16, v59
	v_cmp_ne_u32_e32 vcc, 0, v0
	s_and_b64 s[24:25], vcc, s[22:23]
	s_and_saveexec_b64 s[22:23], s[24:25]
	s_cbranch_execz .LBB6_2832
; %bb.2831:                             ;   in Loop: Header=BB6_49 Depth=1
	s_waitcnt vmcnt(0) lgkmcnt(0)
	buffer_wbinvl1_vol
.LBB6_2832:                             ;   in Loop: Header=BB6_49 Depth=1
	s_or_b64 exec, exec, s[22:23]
	v_cmp_ne_u32_e32 vcc, 0, v0
	s_xor_b64 s[22:23], s[20:21], -1
	s_and_b64 s[24:25], vcc, s[22:23]
	s_and_saveexec_b64 s[22:23], s[24:25]
	s_cbranch_execz .LBB6_2834
; %bb.2833:                             ;   in Loop: Header=BB6_49 Depth=1
	v_accvgpr_read_b32 v0, a28
	v_accvgpr_read_b32 v1, a29
	flat_store_dword v[0:1], v20
.LBB6_2834:                             ;   in Loop: Header=BB6_49 Depth=1
	s_or_b64 exec, exec, s[22:23]
	v_and_b32_e32 v0, 48, v59
	v_cmp_ne_u32_e32 vcc, 0, v0
	s_and_saveexec_b64 s[22:23], vcc
	s_cbranch_execz .LBB6_2836
; %bb.2835:                             ;   in Loop: Header=BB6_49 Depth=1
	v_accvgpr_read_b32 v0, a14
	v_accvgpr_read_b32 v2, a16
	;; [unrolled: 1-line block ×3, first 2 shown]
	v_add_co_u32_e32 v2, vcc, 1, v2
	v_addc_co_u32_e32 v3, vcc, 0, v3, vcc
	v_accvgpr_read_b32 v1, a15
	v_accvgpr_write_b32 a17, v3
	v_accvgpr_write_b32 a16, v2
	;; [unrolled: 1-line block ×4, first 2 shown]
	v_accvgpr_read_b32 v0, a18
	v_accvgpr_read_b32 v1, a19
	flat_store_dwordx2 v[0:1], v[2:3]
.LBB6_2836:                             ;   in Loop: Header=BB6_49 Depth=1
	s_or_b64 exec, exec, s[22:23]
	v_mov_b32_e32 v0, v14
.LBB6_2837:                             ;   in Loop: Header=BB6_49 Depth=1
	s_or_b64 exec, exec, s[54:55]
	s_and_saveexec_b64 s[24:25], s[52:53]
	s_cbranch_execz .LBB6_48
; %bb.2838:                             ;   in Loop: Header=BB6_49 Depth=1
	v_and_b32_e32 v1, 12, v59
	v_cmp_ne_u32_e32 vcc, 0, v1
	s_mov_b64 s[26:27], -1
	s_and_saveexec_b64 s[22:23], vcc
	s_cbranch_execz .LBB6_2850
; %bb.2839:                             ;   in Loop: Header=BB6_49 Depth=1
	v_and_b32_e32 v2, 8, v59
	v_add_co_u32_e32 v4, vcc, v36, v2
	v_accvgpr_read_b32 v6, a14
	v_addc_co_u32_e32 v5, vcc, 0, v37, vcc
	v_accvgpr_read_b32 v8, a16
	v_accvgpr_read_b32 v9, a17
	v_add_co_u32_e32 v10, vcc, 1, v8
	v_addc_co_u32_e32 v11, vcc, 0, v9, vcc
	v_cmp_lt_u64_e32 vcc, v[4:5], v[10:11]
	v_mov_b32_e32 v1, 1
	v_accvgpr_read_b32 v7, a15
	s_and_saveexec_b64 s[26:27], vcc
	s_cbranch_execz .LBB6_2849
; %bb.2840:                             ;   in Loop: Header=BB6_49 Depth=1
	s_mov_b64 s[52:53], 0
	v_mov_b32_e32 v1, 0
                                        ; implicit-def: $sgpr54_sgpr55
	s_branch .LBB6_2844
.LBB6_2841:                             ;   in Loop: Header=BB6_2844 Depth=2
	s_or_b64 exec, exec, s[62:63]
	v_mov_b32_e32 v3, 0
	s_orn2_b64 s[60:61], s[60:61], exec
.LBB6_2842:                             ;   in Loop: Header=BB6_2844 Depth=2
	s_or_b64 exec, exec, s[58:59]
	s_andn2_b64 vcc, s[54:55], exec
	s_and_b64 s[54:55], s[60:61], exec
	s_or_b64 s[54:55], vcc, s[54:55]
	v_mov_b32_e32 v1, v3
.LBB6_2843:                             ;   in Loop: Header=BB6_2844 Depth=2
	s_or_b64 exec, exec, s[56:57]
	s_waitcnt vmcnt(0) lgkmcnt(0)
	v_add_co_u32_e32 v4, vcc, v36, v2
	v_addc_co_u32_e32 v5, vcc, 0, v37, vcc
	v_cmp_ge_u64_e32 vcc, v[4:5], v[10:11]
	s_xor_b64 s[56:57], s[54:55], -1
	s_or_b64 vcc, s[56:57], vcc
	s_and_b64 vcc, exec, vcc
	s_or_b64 s[52:53], vcc, s[52:53]
	s_andn2_b64 exec, exec, s[52:53]
	s_cbranch_execz .LBB6_2848
.LBB6_2844:                             ;   Parent Loop BB6_49 Depth=1
                                        ; =>  This Inner Loop Header: Depth=2
	v_accvgpr_read_b32 v4, a18
	v_accvgpr_read_b32 v5, a19
	s_sleep 1
	flat_load_dwordx2 v[36:37], v[4:5] glc
	v_and_b32_e32 v3, 64, v59
	v_cmp_eq_u32_e32 vcc, 0, v3
	s_andn2_b64 s[54:55], s[54:55], exec
	s_and_saveexec_b64 s[56:57], vcc
	s_cbranch_execz .LBB6_2843
; %bb.2845:                             ;   in Loop: Header=BB6_2844 Depth=2
	v_add_u32_e32 v3, 1, v1
	v_cmp_lt_i32_e32 vcc, s73, v1
	s_mov_b64 s[60:61], -1
	s_and_saveexec_b64 s[58:59], vcc
	s_cbranch_execz .LBB6_2842
; %bb.2846:                             ;   in Loop: Header=BB6_2844 Depth=2
	s_trap 2
	ds_read_b64 v[4:5], v0
	s_waitcnt vmcnt(0) lgkmcnt(0)
	flat_load_dword v1, v[4:5] glc
	s_waitcnt vmcnt(0) lgkmcnt(0)
	buffer_invl2
	buffer_wbinvl1_vol
	v_cmp_ne_u32_e32 vcc, 0, v1
	s_and_saveexec_b64 s[62:63], vcc
	s_cbranch_execz .LBB6_2841
; %bb.2847:                             ;   in Loop: Header=BB6_2844 Depth=2
	v_or_b32_e32 v59, 64, v59
	s_xor_b64 s[60:61], exec, -1
	ds_write_b32 v0, v1
	s_trap 2
	s_branch .LBB6_2841
.LBB6_2848:                             ;   in Loop: Header=BB6_49 Depth=1
	s_or_b64 exec, exec, s[52:53]
	v_and_b32_e32 v1, 12, v59
.LBB6_2849:                             ;   in Loop: Header=BB6_49 Depth=1
	s_or_b64 exec, exec, s[26:27]
	v_cmp_eq_u32_e32 vcc, 0, v1
	s_orn2_b64 s[26:27], vcc, exec
	;;#ASMSTART
	s_wakeup
	;;#ASMEND
.LBB6_2850:                             ;   in Loop: Header=BB6_49 Depth=1
	s_or_b64 exec, exec, s[22:23]
	v_accvgpr_read_b32 v2, a38
	v_sub_u32_e32 v0, v2, v0
	s_xor_b64 s[22:23], s[26:27], -1
	v_min_i32_e32 v2, v14, v0
	s_and_saveexec_b64 s[26:27], s[22:23]
	s_cbranch_execz .LBB6_2862
; %bb.2851:                             ;   in Loop: Header=BB6_49 Depth=1
	v_accvgpr_read_b32 v4, a14
	v_and_b32_e32 v0, 0x108, v59
	v_accvgpr_read_b32 v6, a16
	v_cmp_ne_u32_e32 vcc, s74, v0
	v_and_b32_e32 v10, 7, v6
	v_accvgpr_read_b32 v5, a15
	v_accvgpr_read_b32 v7, a17
	s_and_saveexec_b64 s[22:23], vcc
	s_xor_b64 s[22:23], exec, s[22:23]
	s_andn2_saveexec_b64 s[22:23], s[22:23]
	s_cbranch_execz .LBB6_2853
; %bb.2852:                             ;   in Loop: Header=BB6_49 Depth=1
	v_accvgpr_read_b32 v4, a14
	v_accvgpr_read_b32 v5, a15
	v_mad_u64_u32 v[0:1], vcc, v10, 24, v[4:5]
	v_ashrrev_i32_e32 v3, 31, v2
	v_accvgpr_read_b32 v6, a16
	v_accvgpr_read_b32 v7, a17
	flat_store_dwordx2 v[0:1], v[2:3] offset:8
.LBB6_2853:                             ;   in Loop: Header=BB6_49 Depth=1
	s_or_b64 exec, exec, s[22:23]
	v_and_b32_e32 v0, 0x100, v59
	v_cmp_ne_u32_e32 vcc, 0, v0
	s_mov_b64 s[22:23], -1
                                        ; implicit-def: $vgpr12_vgpr13
	s_and_saveexec_b64 s[52:53], vcc
	s_cbranch_execz .LBB6_2857
; %bb.2854:                             ;   in Loop: Header=BB6_49 Depth=1
	v_accvgpr_read_b32 v4, a14
	v_accvgpr_read_b32 v5, a15
	v_mad_u64_u32 v[14:15], s[22:23], v10, 24, v[4:5]
	v_mov_b32_e32 v0, v15
	v_mad_u64_u32 v[0:1], s[22:23], v55, 24, v[0:1]
	v_mov_b32_e32 v15, v0
	flat_load_dword v0, v[14:15]
	v_accvgpr_read_b32 v6, a16
	v_accvgpr_read_b32 v7, a17
                                        ; implicit-def: $vgpr12_vgpr13
	s_waitcnt vmcnt(0) lgkmcnt(0)
	v_cmp_ne_u32_e32 vcc, 1, v0
	v_cmp_eq_u32_e64 s[22:23], 1, v0
	s_and_saveexec_b64 s[54:55], s[22:23]
	s_cbranch_execz .LBB6_2856
; %bb.2855:                             ;   in Loop: Header=BB6_49 Depth=1
	flat_load_dword v12, v[14:15] offset:4 glc
	s_waitcnt vmcnt(0) lgkmcnt(0)
	v_ashrrev_i32_e32 v13, 31, v12
.LBB6_2856:                             ;   in Loop: Header=BB6_49 Depth=1
	s_or_b64 exec, exec, s[54:55]
	s_orn2_b64 s[22:23], vcc, exec
.LBB6_2857:                             ;   in Loop: Header=BB6_49 Depth=1
	s_or_b64 exec, exec, s[52:53]
	s_and_saveexec_b64 vcc, s[22:23]
; %bb.2858:                             ;   in Loop: Header=BB6_49 Depth=1
	v_accvgpr_read_b32 v4, a20
	v_accvgpr_read_b32 v1, a9
	v_mul_lo_u32 v0, v55, v4
	v_mul_lo_u32 v1, v10, v1
	v_mad_u64_u32 v[12:13], s[22:23], v10, v4, 0
	v_add3_u32 v13, v13, v1, v0
; %bb.2859:                             ;   in Loop: Header=BB6_49 Depth=1
	s_or_b64 exec, exec, vcc
	v_accvgpr_read_b32 v0, a22
	v_accvgpr_read_b32 v1, a23
	v_add_co_u32_e32 v0, vcc, v0, v12
	v_addc_co_u32_e32 v1, vcc, v1, v13, vcc
	s_trap 2
	ds_write_b64 v0, v[0:1]
	v_and_b32_e32 v0, 0x2000, v59
	v_cmp_ne_u32_e32 vcc, 0, v0
	s_and_saveexec_b64 s[22:23], vcc
	s_cbranch_execz .LBB6_2861
; %bb.2860:                             ;   in Loop: Header=BB6_49 Depth=1
	ds_read_b64 v[0:1], v0 offset:584
	s_waitcnt lgkmcnt(0)
	v_add_co_u32_e32 v0, vcc, 1, v0
	v_addc_co_u32_e32 v1, vcc, 0, v1, vcc
	ds_write_b64 v0, v[0:1] offset:584
.LBB6_2861:                             ;   in Loop: Header=BB6_49 Depth=1
	s_or_b64 exec, exec, s[22:23]
	v_accvgpr_read_b32 v4, a14
	v_accvgpr_read_b32 v6, a16
	;; [unrolled: 1-line block ×3, first 2 shown]
	v_add_co_u32_e32 v6, vcc, 1, v6
	v_addc_co_u32_e32 v7, vcc, 0, v7, vcc
	v_accvgpr_read_b32 v5, a15
	v_accvgpr_write_b32 a17, v7
	v_accvgpr_write_b32 a16, v6
	;; [unrolled: 1-line block ×4, first 2 shown]
.LBB6_2862:                             ;   in Loop: Header=BB6_49 Depth=1
	s_or_b64 exec, exec, s[26:27]
	s_and_saveexec_b64 s[22:23], s[12:13]
	s_cbranch_execz .LBB6_2881
; %bb.2863:                             ;   in Loop: Header=BB6_49 Depth=1
	s_and_saveexec_b64 s[26:27], s[38:39]
	s_xor_b64 s[26:27], exec, s[26:27]
	s_cbranch_execz .LBB6_2878
; %bb.2864:                             ;   in Loop: Header=BB6_49 Depth=1
	s_and_saveexec_b64 s[52:53], s[14:15]
	s_cbranch_execz .LBB6_2877
; %bb.2865:                             ;   in Loop: Header=BB6_49 Depth=1
	s_mov_b64 s[56:57], exec
	v_mbcnt_lo_u32_b32 v0, s56, 0
	v_mbcnt_hi_u32_b32 v0, s57, v0
	v_cmp_eq_u32_e32 vcc, 0, v0
	s_waitcnt vmcnt(0) lgkmcnt(0)
	buffer_wbinvl1_vol
	s_and_saveexec_b64 s[54:55], vcc
	s_cbranch_execz .LBB6_2867
; %bb.2866:                             ;   in Loop: Header=BB6_49 Depth=1
	s_bcnt1_i32_b64 vcc_lo, s[56:57]
	v_mov_b32_e32 v54, vcc_lo
	ds_add_u64 v0, v[54:55]
	s_trap 2
.LBB6_2867:                             ;   in Loop: Header=BB6_49 Depth=1
	s_or_b64 exec, exec, s[54:55]
	s_trap 2
	ds_read_b64 v[0:1], v0
	v_accvgpr_read_b32 v4, a24
	v_accvgpr_read_b32 v6, a8
	;; [unrolled: 1-line block ×3, first 2 shown]
	v_add_co_u32_e32 v4, vcc, v4, v6
	v_addc_co_u32_e32 v5, vcc, 0, v5, vcc
	v_accvgpr_write_b32 a25, v5
	v_accvgpr_write_b32 a24, v4
	s_waitcnt lgkmcnt(0)
	v_cmp_lt_u64_e32 vcc, v[0:1], v[4:5]
	s_and_saveexec_b64 s[54:55], vcc
	s_cbranch_execz .LBB6_2876
; %bb.2868:                             ;   in Loop: Header=BB6_49 Depth=1
	s_mov_b32 s66, 0
	s_mov_b64 s[56:57], 0
                                        ; implicit-def: $sgpr58_sgpr59
                                        ; implicit-def: $sgpr60_sgpr61
	s_branch .LBB6_2870
.LBB6_2869:                             ;   in Loop: Header=BB6_2870 Depth=2
	s_or_b64 exec, exec, s[64:65]
	s_and_b64 vcc, exec, vcc
	s_or_b64 s[56:57], vcc, s[56:57]
	s_andn2_b64 vcc, s[58:59], exec
	s_and_b64 s[58:59], s[60:61], exec
	s_or_b64 s[58:59], vcc, s[58:59]
	s_andn2_b64 exec, exec, s[56:57]
	s_cbranch_execz .LBB6_2874
.LBB6_2870:                             ;   Parent Loop BB6_49 Depth=1
                                        ; =>  This Inner Loop Header: Depth=2
	s_add_i32 s66, s66, 1
	s_cmpk_lg_i32 s66, 0x2710
	s_cselect_b64 s[62:63], -1, 0
	s_and_b64 vcc, exec, s[62:63]
                                        ; implicit-def: $sgpr64_sgpr65
	s_cbranch_vccnz .LBB6_2872
; %bb.2871:                             ;   in Loop: Header=BB6_2870 Depth=2
	s_trap 2
	ds_read_b64 v[0:1], v0
	s_andn2_b64 s[62:63], s[62:63], exec
	s_mov_b32 s66, 0
	s_mov_b64 s[64:65], -1
	s_waitcnt lgkmcnt(0)
	flat_load_dword v0, v[0:1] glc
	s_waitcnt vmcnt(0) lgkmcnt(0)
	buffer_invl2
	buffer_wbinvl1_vol
	v_cmp_eq_u32_e32 vcc, 0, v0
	s_and_b64 vcc, vcc, exec
	s_or_b64 s[62:63], s[62:63], vcc
.LBB6_2872:                             ;   in Loop: Header=BB6_2870 Depth=2
	s_andn2_b64 s[60:61], s[60:61], exec
	s_and_b64 s[64:65], s[64:65], exec
	s_mov_b64 vcc, -1
	s_or_b64 s[60:61], s[60:61], s[64:65]
	s_and_saveexec_b64 s[64:65], s[62:63]
	s_cbranch_execz .LBB6_2869
; %bb.2873:                             ;   in Loop: Header=BB6_2870 Depth=2
	s_sleep 1
	s_trap 2
	ds_read_b64 v[0:1], v0
	v_accvgpr_read_b32 v4, a24
	v_accvgpr_read_b32 v5, a25
	s_andn2_b64 s[60:61], s[60:61], exec
	s_waitcnt lgkmcnt(0)
	v_cmp_ge_u64_e32 vcc, v[0:1], v[4:5]
	s_orn2_b64 vcc, vcc, exec
	s_branch .LBB6_2869
.LBB6_2874:                             ;   in Loop: Header=BB6_49 Depth=1
	s_or_b64 exec, exec, s[56:57]
	s_and_saveexec_b64 vcc, s[58:59]
	s_xor_b64 vcc, exec, vcc
	s_cbranch_execz .LBB6_2876
; %bb.2875:                             ;   in Loop: Header=BB6_49 Depth=1
	ds_write_b32 v0, v20
	s_trap 2
.LBB6_2876:                             ;   in Loop: Header=BB6_49 Depth=1
	s_or_b64 exec, exec, s[54:55]
	;;#ASMSTART
	s_wakeup
	;;#ASMEND
.LBB6_2877:                             ;   in Loop: Header=BB6_49 Depth=1
	s_or_b64 exec, exec, s[52:53]
.LBB6_2878:                             ;   in Loop: Header=BB6_49 Depth=1
	s_andn2_saveexec_b64 s[26:27], s[26:27]
	s_cbranch_execz .LBB6_2880
; %bb.2879:                             ;   in Loop: Header=BB6_49 Depth=1
	s_waitcnt vmcnt(0) lgkmcnt(0)
	buffer_wbinvl1_vol
	s_barrier
.LBB6_2880:                             ;   in Loop: Header=BB6_49 Depth=1
	s_or_b64 exec, exec, s[26:27]
.LBB6_2881:                             ;   in Loop: Header=BB6_49 Depth=1
	s_or_b64 exec, exec, s[22:23]
	s_trap 2
	ds_read_b32 v1, v0
	v_cmp_lt_i32_e32 vcc, 0, v2
	v_and_b32_e32 v0, 16, v59
	s_waitcnt lgkmcnt(0)
	v_readfirstlane_b32 s22, v1
	s_cmp_eq_u32 s22, 0
	s_cselect_b64 s[22:23], -1, 0
	s_and_b64 s[22:23], vcc, s[22:23]
	v_cmp_ne_u32_e32 vcc, 0, v0
	s_and_b64 s[26:27], vcc, s[22:23]
	s_and_saveexec_b64 s[22:23], s[26:27]
	s_cbranch_execz .LBB6_2883
; %bb.2882:                             ;   in Loop: Header=BB6_49 Depth=1
	s_waitcnt vmcnt(0)
	buffer_wbinvl1_vol
.LBB6_2883:                             ;   in Loop: Header=BB6_49 Depth=1
	s_or_b64 exec, exec, s[22:23]
	v_cmp_ne_u32_e32 vcc, 0, v0
	s_xor_b64 s[22:23], s[20:21], -1
	s_and_b64 s[26:27], vcc, s[22:23]
	s_and_saveexec_b64 s[22:23], s[26:27]
	s_cbranch_execz .LBB6_2885
; %bb.2884:                             ;   in Loop: Header=BB6_49 Depth=1
	v_accvgpr_read_b32 v0, a28
	v_accvgpr_read_b32 v1, a29
	flat_store_dword v[0:1], v20
.LBB6_2885:                             ;   in Loop: Header=BB6_49 Depth=1
	s_or_b64 exec, exec, s[22:23]
	v_and_b32_e32 v0, 48, v59
	v_cmp_ne_u32_e32 vcc, 0, v0
	s_and_saveexec_b64 s[22:23], vcc
	s_cbranch_execz .LBB6_47
; %bb.2886:                             ;   in Loop: Header=BB6_49 Depth=1
	v_accvgpr_read_b32 v0, a14
	v_accvgpr_read_b32 v2, a16
	;; [unrolled: 1-line block ×3, first 2 shown]
	v_add_co_u32_e32 v2, vcc, 1, v2
	v_addc_co_u32_e32 v3, vcc, 0, v3, vcc
	v_accvgpr_read_b32 v1, a15
	v_accvgpr_write_b32 a17, v3
	v_accvgpr_write_b32 a16, v2
	;; [unrolled: 1-line block ×4, first 2 shown]
	v_accvgpr_read_b32 v0, a18
	v_accvgpr_read_b32 v1, a19
	flat_store_dwordx2 v[0:1], v[2:3]
	s_branch .LBB6_47
.LBB6_2887:
	s_or_b64 exec, exec, s[40:41]
	v_accvgpr_read_b32 v41, a17
	v_accvgpr_read_b32 v40, a16
	;; [unrolled: 1-line block ×4, first 2 shown]
.LBB6_2888:
	s_or_b64 exec, exec, s[36:37]
                                        ; implicit-def: $vgpr60_vgpr61
                                        ; implicit-def: $vgpr32_vgpr33
                                        ; implicit-def: $agpr20
                                        ; implicit-def: $vgpr36_vgpr37
                                        ; implicit-def: $agpr22_agpr23
                                        ; implicit-def: $agpr18_agpr19
                                        ; implicit-def: $vgpr58
                                        ; implicit-def: $vgpr1
                                        ; implicit-def: $agpr26_agpr27
.LBB6_2889:
	s_andn2_saveexec_b64 s[24:25], s[34:35]
	s_cbranch_execz .LBB6_5726
; %bb.2890:
	v_pk_mov_b32 v[2:3], 0, 0
	v_accvgpr_write_b32 a25, v3
	v_accvgpr_write_b32 a24, v2
	s_and_saveexec_b64 s[26:27], s[6:7]
	s_cbranch_execz .LBB6_5725
; %bb.2891:
	s_waitcnt vmcnt(0)
	v_accvgpr_read_b32 v0, a2
	v_cmp_ne_u32_sdwa s[34:35], v0, v46 src0_sel:WORD_0 src1_sel:DWORD
	v_and_b32_e32 v0, 63, v31
	v_cmp_eq_u32_e64 s[12:13], 0, v0
	v_ashrrev_i32_e32 v0, 31, v58
	v_lshrrev_b32_e32 v0, 26, v0
	v_add_u32_e32 v0, v58, v0
	v_ashrrev_i32_e32 v62, 6, v0
	v_and_b32_e32 v0, 0xffffffc0, v0
	v_sub_u32_e32 v3, v58, v0
	v_lshlrev_b32_e32 v0, 11, v62
	v_lshl_add_u32 v0, v3, 4, v0
	v_lshrrev_b32_e32 v2, 6, v46
	v_cmp_le_i32_e64 s[14:15], v3, v1
	s_waitcnt lgkmcnt(0)
	v_accvgpr_write_b32 a28, v0
	v_ashrrev_i32_e32 v1, 31, v0
	v_mov_b32_e32 v0, 0xfffff800
	v_lshl_add_u32 v0, v2, 11, v0
	s_movk_i32 s18, 0x800
	v_accvgpr_write_b32 a21, v1
	v_ashrrev_i32_e32 v1, 31, v0
	v_add_co_u32_e64 v0, s[18:19], s18, v0
	v_accvgpr_write_b32 a29, v0
	v_addc_co_u32_e64 v0, s[18:19], 0, v1, s[18:19]
	v_lshlrev_b32_e32 v51, 10, v2
	v_accvgpr_write_b32 a14, v38
	s_ashr_i32 s6, s70, 31
	v_accvgpr_write_b32 a30, v0
	v_add_u32_e32 v0, 0xfffffc00, v51
	s_movk_i32 s18, 0x400
	v_accvgpr_write_b32 a15, v39
	v_accvgpr_write_b32 a16, v40
	;; [unrolled: 1-line block ×4, first 2 shown]
	s_lshr_b32 s6, s6, 24
	v_ashrrev_i32_e32 v1, 31, v0
	v_add_co_u32_e64 v41, s[18:19], s18, v0
	v_and_b32_e32 v0, 0xffffffc0, v46
	v_pk_mov_b32 v[42:43], 0, 0
	v_accvgpr_write_b32 a7, v61
	s_add_i32 s6, s70, s6
	v_cmp_eq_u32_e32 vcc, 64, v46
	v_cmp_gt_i32_e64 s[16:17], 1, v3
	v_accvgpr_write_b32 a9, v3
	v_accvgpr_write_b32 a8, v2
	v_addc_co_u32_e64 v60, s[18:19], 0, v1, s[18:19]
	v_ashrrev_i32_e32 v1, 31, v0
	s_mov_b32 s44, -1
	v_accvgpr_write_b32 a24, v42
	v_accvgpr_read_b32 v2, a26
	v_accvgpr_write_b32 a3, v59
	s_ashr_i32 s66, s6, 8
	v_cmp_ge_i32_e64 s[6:7], v58, v46
	v_cmp_ne_u32_e64 s[10:11], 64, v46
	v_accvgpr_write_b32 a0, v31
	v_mov_b32_e32 v53, 0
	s_movk_i32 s67, 0xffc0
	v_mov_b32_e32 v39, v46
	v_accvgpr_write_b32 a32, v0
	v_accvgpr_write_b32 a33, v1
	s_mov_b64 s[36:37], 0
	s_movk_i32 s68, 0x270e
	s_xor_b64 s[38:39], vcc, -1
	s_movk_i32 s69, 0x80
	s_movk_i32 s71, 0x7f
	s_brev_b32 s72, 1
	s_mov_b64 s[40:41], 0x7f800000
	s_mov_b64 s[42:43], 0x43e00001
	s_movk_i32 s73, 0x7a
	s_mov_b32 s45, 0xffffff
	s_mov_b64 s[46:47], 0xffffff
	s_mov_b32 s74, 0xc0c0500
	v_bfrev_b32_e32 v61, 60
	v_accvgpr_write_b32 a25, v43
	v_accvgpr_write_b32 a1, v58
	v_accvgpr_read_b32 v3, a27
	v_accvgpr_write_b32 a31, v51
	s_trap 2
	s_branch .LBB6_2894
.LBB6_2892:                             ;   in Loop: Header=BB6_2894 Depth=1
	s_or_b64 exec, exec, s[18:19]
.LBB6_2893:                             ;   in Loop: Header=BB6_2894 Depth=1
	s_or_b64 exec, exec, s[20:21]
	v_accvgpr_read_b32 v2, a26
	v_add_co_u32_e32 v42, vcc, v42, v2
	v_accvgpr_read_b32 v33, a5
	v_addc_co_u32_e32 v43, vcc, 0, v43, vcc
	v_accvgpr_read_b32 v32, a4
	v_cmp_ge_u64_e32 vcc, v[42:43], v[32:33]
	v_accvgpr_read_b32 v3, a27
	s_or_b64 s[36:37], vcc, s[36:37]
	s_andn2_b64 exec, exec, s[36:37]
	s_cbranch_execz .LBB6_5724
.LBB6_2894:                             ; =>This Loop Header: Depth=1
                                        ;     Child Loop BB6_2905 Depth 2
                                        ;     Child Loop BB6_2927 Depth 2
	;; [unrolled: 1-line block ×10, first 2 shown]
	v_sub_co_u32_e32 v0, vcc, v32, v42
	v_subb_co_u32_e32 v1, vcc, v33, v43, vcc
	v_cmp_lt_u64_e32 vcc, v[2:3], v[0:1]
	v_cndmask_b32_e32 v8, v0, v2, vcc
	v_cndmask_b32_e64 v9, v1, 0, vcc
	v_add_u32_e32 v0, 15, v8
	v_accvgpr_write_b32 a4, v32
	v_and_b32_e32 v0, 0x7ffffff0, v0
	v_cmp_eq_u64_e32 vcc, 0, v[8:9]
	v_accvgpr_write_b32 a5, v33
	v_max_i32_e32 v54, s66, v0
	s_or_b64 s[48:49], s[6:7], vcc
	v_mov_b32_e32 v0, v53
	s_xor_b64 s[18:19], s[48:49], -1
	s_mov_b64 s[50:51], exec
	s_and_b64 s[18:19], s[50:51], s[18:19]
	v_mov_b32_e32 v33, 0xffffff82
	v_mov_b32_e32 v32, 0x78
	s_mov_b64 exec, s[18:19]
	s_cbranch_execz .LBB6_5678
; %bb.2895:                             ;   in Loop: Header=BB6_2894 Depth=1
	s_and_saveexec_b64 s[18:19], s[4:5]
	s_cbranch_execz .LBB6_2897
; %bb.2896:                             ;   in Loop: Header=BB6_2894 Depth=1
	s_trap 2
	ds_read2_b64 v[0:3], v0 offset1:1
	v_accvgpr_read_b32 v4, a6
	v_accvgpr_read_b32 v5, a7
	v_add_co_u32_e32 v6, vcc, v42, v4
	v_addc_co_u32_e32 v7, vcc, v43, v5, vcc
	s_waitcnt lgkmcnt(0)
	ds_read_b64 v[4:5], v0
	v_add_co_u32_e32 v0, vcc, v0, v6
	v_addc_co_u32_e32 v1, vcc, v1, v7, vcc
	ds_write_b64 v0, v[0:1]
	v_add_co_u32_e32 v0, vcc, v2, v6
	v_addc_co_u32_e32 v1, vcc, v3, v7, vcc
	ds_write_b64 v0, v[0:1]
	s_waitcnt lgkmcnt(0)
	v_add_co_u32_e32 v0, vcc, v4, v6
	v_addc_co_u32_e32 v1, vcc, v5, v7, vcc
	v_cmp_ne_u64_e32 vcc, 0, v[4:5]
	v_cndmask_b32_e32 v1, 0, v1, vcc
	v_cndmask_b32_e32 v0, 0, v0, vcc
	ds_write_b64 v0, v[0:1]
.LBB6_2897:                             ;   in Loop: Header=BB6_2894 Depth=1
	s_or_b64 exec, exec, s[18:19]
	v_accvgpr_read_b32 v0, a3
	v_and_b32_e32 v0, 4, v0
	v_cmp_ne_u32_e32 vcc, 0, v0
	s_mov_b64 s[20:21], -1
	s_and_saveexec_b64 s[18:19], vcc
	s_cbranch_execnz .LBB6_2900
; %bb.2898:                             ;   in Loop: Header=BB6_2894 Depth=1
	s_or_b64 exec, exec, s[18:19]
	s_xor_b64 s[18:19], s[20:21], -1
	s_and_saveexec_b64 s[20:21], s[18:19]
	s_cbranch_execnz .LBB6_2911
.LBB6_2899:                             ;   in Loop: Header=BB6_2894 Depth=1
	s_or_b64 exec, exec, s[20:21]
	s_and_saveexec_b64 s[18:19], s[10:11]
	s_cbranch_execnz .LBB6_2920
	s_branch .LBB6_2938
.LBB6_2900:                             ;   in Loop: Header=BB6_2894 Depth=1
	v_accvgpr_read_b32 v0, a14
	v_accvgpr_read_b32 v2, a16
	;; [unrolled: 1-line block ×3, first 2 shown]
	v_add_co_u32_e32 v2, vcc, 1, v2
	v_addc_co_u32_e32 v3, vcc, 0, v3, vcc
	v_cmp_lt_u64_e32 vcc, v[36:37], v[2:3]
	v_mov_b32_e32 v0, 1
	v_accvgpr_read_b32 v1, a15
	s_and_saveexec_b64 s[20:21], vcc
	s_cbranch_execz .LBB6_2910
; %bb.2901:                             ;   in Loop: Header=BB6_2894 Depth=1
	s_mov_b64 s[22:23], 0
	v_mov_b32_e32 v0, 0
                                        ; implicit-def: $sgpr52_sgpr53
	s_branch .LBB6_2905
.LBB6_2902:                             ;   in Loop: Header=BB6_2905 Depth=2
	s_or_b64 exec, exec, s[60:61]
	v_mov_b32_e32 v1, 0
	s_orn2_b64 s[58:59], s[58:59], exec
.LBB6_2903:                             ;   in Loop: Header=BB6_2905 Depth=2
	s_or_b64 exec, exec, s[56:57]
	s_andn2_b64 vcc, s[52:53], exec
	s_and_b64 s[52:53], s[58:59], exec
	s_or_b64 s[52:53], vcc, s[52:53]
	v_mov_b32_e32 v0, v1
.LBB6_2904:                             ;   in Loop: Header=BB6_2905 Depth=2
	s_or_b64 exec, exec, s[54:55]
	s_waitcnt vmcnt(0) lgkmcnt(0)
	v_cmp_ge_u64_e32 vcc, v[36:37], v[2:3]
	s_xor_b64 s[54:55], s[52:53], -1
	s_or_b64 vcc, s[54:55], vcc
	s_and_b64 vcc, exec, vcc
	s_or_b64 s[22:23], vcc, s[22:23]
	s_andn2_b64 exec, exec, s[22:23]
	s_cbranch_execz .LBB6_2909
.LBB6_2905:                             ;   Parent Loop BB6_2894 Depth=1
                                        ; =>  This Inner Loop Header: Depth=2
	v_accvgpr_read_b32 v4, a18
	v_accvgpr_read_b32 v5, a19
	s_sleep 1
	flat_load_dwordx2 v[36:37], v[4:5] glc
	v_accvgpr_read_b32 v1, a3
	v_and_b32_e32 v1, 64, v1
	v_cmp_eq_u32_e32 vcc, 0, v1
	s_andn2_b64 s[52:53], s[52:53], exec
	s_and_saveexec_b64 s[54:55], vcc
	s_cbranch_execz .LBB6_2904
; %bb.2906:                             ;   in Loop: Header=BB6_2905 Depth=2
	v_add_u32_e32 v1, 1, v0
	v_cmp_lt_i32_e32 vcc, s68, v0
	s_mov_b64 s[58:59], -1
	s_and_saveexec_b64 s[56:57], vcc
	s_cbranch_execz .LBB6_2903
; %bb.2907:                             ;   in Loop: Header=BB6_2905 Depth=2
	s_trap 2
	ds_read_b64 v[0:1], v0
	s_waitcnt vmcnt(0) lgkmcnt(0)
	flat_load_dword v0, v[0:1] glc
	s_waitcnt vmcnt(0) lgkmcnt(0)
	buffer_invl2
	buffer_wbinvl1_vol
	v_cmp_ne_u32_e32 vcc, 0, v0
	s_and_saveexec_b64 s[60:61], vcc
	s_cbranch_execz .LBB6_2902
; %bb.2908:                             ;   in Loop: Header=BB6_2905 Depth=2
	v_accvgpr_read_b32 v1, a3
	v_or_b32_e32 v1, 64, v1
	v_accvgpr_write_b32 a3, v1
	s_xor_b64 s[58:59], exec, -1
	ds_write_b32 v0, v0
	s_trap 2
	s_branch .LBB6_2902
.LBB6_2909:                             ;   in Loop: Header=BB6_2894 Depth=1
	s_or_b64 exec, exec, s[22:23]
	v_accvgpr_read_b32 v0, a3
	v_and_b32_e32 v0, 4, v0
.LBB6_2910:                             ;   in Loop: Header=BB6_2894 Depth=1
	s_or_b64 exec, exec, s[20:21]
	v_cmp_eq_u32_e32 vcc, 0, v0
	s_orn2_b64 s[20:21], vcc, exec
	;;#ASMSTART
	s_wakeup
	;;#ASMEND
	s_or_b64 exec, exec, s[18:19]
	s_xor_b64 s[18:19], s[20:21], -1
	s_and_saveexec_b64 s[20:21], s[18:19]
	s_cbranch_execz .LBB6_2899
.LBB6_2911:                             ;   in Loop: Header=BB6_2894 Depth=1
	v_accvgpr_read_b32 v0, a3
	v_and_b32_e32 v0, 0x100, v0
	v_cmp_ne_u32_e32 vcc, 0, v0
	v_accvgpr_read_b32 v0, a14
	v_accvgpr_read_b32 v2, a16
	;; [unrolled: 1-line block ×3, first 2 shown]
	v_and_b32_e32 v0, 7, v2
	s_mov_b64 s[18:19], -1
	v_accvgpr_read_b32 v1, a15
                                        ; implicit-def: $vgpr2_vgpr3
	s_and_saveexec_b64 s[22:23], vcc
	s_cbranch_execz .LBB6_2915
; %bb.2912:                             ;   in Loop: Header=BB6_2894 Depth=1
	v_accvgpr_read_b32 v2, a14
	v_accvgpr_read_b32 v3, a15
	v_mad_u64_u32 v[10:11], s[18:19], v0, 24, v[2:3]
	flat_load_dword v1, v[10:11]
	v_accvgpr_read_b32 v4, a16
	v_accvgpr_read_b32 v5, a17
                                        ; implicit-def: $vgpr2_vgpr3
	s_waitcnt vmcnt(0) lgkmcnt(0)
	v_cmp_ne_u32_e32 vcc, 1, v1
	v_cmp_eq_u32_e64 s[18:19], 1, v1
	s_and_saveexec_b64 s[52:53], s[18:19]
	s_cbranch_execz .LBB6_2914
; %bb.2913:                             ;   in Loop: Header=BB6_2894 Depth=1
	flat_load_dword v2, v[10:11] offset:4 glc
	s_waitcnt vmcnt(0) lgkmcnt(0)
	v_ashrrev_i32_e32 v3, 31, v2
.LBB6_2914:                             ;   in Loop: Header=BB6_2894 Depth=1
	s_or_b64 exec, exec, s[52:53]
	s_orn2_b64 s[18:19], vcc, exec
.LBB6_2915:                             ;   in Loop: Header=BB6_2894 Depth=1
	s_or_b64 exec, exec, s[22:23]
	s_and_saveexec_b64 s[22:23], s[18:19]
; %bb.2916:                             ;   in Loop: Header=BB6_2894 Depth=1
	v_accvgpr_read_b32 v2, a20
	v_mad_i64_i32 v[2:3], s[18:19], v0, v2, 0
; %bb.2917:                             ;   in Loop: Header=BB6_2894 Depth=1
	s_or_b64 exec, exec, s[22:23]
	v_accvgpr_read_b32 v0, a22
	v_accvgpr_read_b32 v1, a23
	v_add_co_u32_e32 v0, vcc, v0, v2
	v_addc_co_u32_e32 v1, vcc, v1, v3, vcc
	ds_write_b64 v0, v[0:1] offset:728
	v_accvgpr_read_b32 v0, a3
	v_and_b32_e32 v0, 0x2000, v0
	v_cmp_ne_u32_e32 vcc, 0, v0
	s_and_saveexec_b64 s[18:19], vcc
	s_cbranch_execz .LBB6_2919
; %bb.2918:                             ;   in Loop: Header=BB6_2894 Depth=1
	ds_read_b64 v[0:1], v0 offset:584
	s_waitcnt lgkmcnt(0)
	v_add_co_u32_e32 v0, vcc, 1, v0
	v_addc_co_u32_e32 v1, vcc, 0, v1, vcc
	ds_write_b64 v0, v[0:1] offset:584
.LBB6_2919:                             ;   in Loop: Header=BB6_2894 Depth=1
	s_or_b64 exec, exec, s[18:19]
	v_accvgpr_read_b32 v0, a14
	v_accvgpr_read_b32 v2, a16
	;; [unrolled: 1-line block ×3, first 2 shown]
	v_add_co_u32_e32 v2, vcc, 1, v2
	v_addc_co_u32_e32 v3, vcc, 0, v3, vcc
	v_accvgpr_read_b32 v1, a15
	v_accvgpr_write_b32 a17, v3
	v_accvgpr_write_b32 a16, v2
	;; [unrolled: 1-line block ×4, first 2 shown]
	s_or_b64 exec, exec, s[20:21]
	s_and_saveexec_b64 s[18:19], s[10:11]
	s_cbranch_execz .LBB6_2938
.LBB6_2920:                             ;   in Loop: Header=BB6_2894 Depth=1
	s_and_saveexec_b64 s[20:21], s[34:35]
	s_xor_b64 s[20:21], exec, s[20:21]
	s_cbranch_execz .LBB6_2935
; %bb.2921:                             ;   in Loop: Header=BB6_2894 Depth=1
	s_and_saveexec_b64 s[22:23], s[12:13]
	s_cbranch_execz .LBB6_2934
; %bb.2922:                             ;   in Loop: Header=BB6_2894 Depth=1
	s_mov_b64 s[54:55], exec
	v_mbcnt_lo_u32_b32 v0, s54, 0
	v_mbcnt_hi_u32_b32 v0, s55, v0
	v_cmp_eq_u32_e32 vcc, 0, v0
	s_waitcnt vmcnt(0) lgkmcnt(0)
	buffer_wbinvl1_vol
	s_and_saveexec_b64 s[52:53], vcc
	s_cbranch_execz .LBB6_2924
; %bb.2923:                             ;   in Loop: Header=BB6_2894 Depth=1
	s_bcnt1_i32_b64 vcc_lo, s[54:55]
	v_mov_b32_e32 v52, vcc_lo
	ds_add_u64 v0, v[52:53]
	s_trap 2
.LBB6_2924:                             ;   in Loop: Header=BB6_2894 Depth=1
	s_or_b64 exec, exec, s[52:53]
	s_trap 2
	ds_read_b64 v[0:1], v0
	v_accvgpr_read_b32 v2, a24
	v_accvgpr_read_b32 v4, a8
	;; [unrolled: 1-line block ×3, first 2 shown]
	v_add_co_u32_e32 v2, vcc, v2, v4
	v_addc_co_u32_e32 v3, vcc, 0, v3, vcc
	v_accvgpr_write_b32 a25, v3
	v_accvgpr_write_b32 a24, v2
	s_waitcnt lgkmcnt(0)
	v_cmp_lt_u64_e32 vcc, v[0:1], v[2:3]
	s_and_saveexec_b64 s[52:53], vcc
	s_cbranch_execz .LBB6_2933
; %bb.2925:                             ;   in Loop: Header=BB6_2894 Depth=1
	s_mov_b32 s64, 0
	s_mov_b64 s[54:55], 0
                                        ; implicit-def: $sgpr56_sgpr57
                                        ; implicit-def: $sgpr58_sgpr59
	s_branch .LBB6_2927
.LBB6_2926:                             ;   in Loop: Header=BB6_2927 Depth=2
	s_or_b64 exec, exec, s[62:63]
	s_and_b64 vcc, exec, vcc
	s_or_b64 s[54:55], vcc, s[54:55]
	s_andn2_b64 vcc, s[56:57], exec
	s_and_b64 s[56:57], s[58:59], exec
	s_or_b64 s[56:57], vcc, s[56:57]
	s_andn2_b64 exec, exec, s[54:55]
	s_cbranch_execz .LBB6_2931
.LBB6_2927:                             ;   Parent Loop BB6_2894 Depth=1
                                        ; =>  This Inner Loop Header: Depth=2
	s_add_i32 s64, s64, 1
	s_cmpk_lg_i32 s64, 0x2710
	s_cselect_b64 s[60:61], -1, 0
	s_and_b64 vcc, exec, s[60:61]
                                        ; implicit-def: $sgpr62_sgpr63
	s_cbranch_vccnz .LBB6_2929
; %bb.2928:                             ;   in Loop: Header=BB6_2927 Depth=2
	s_trap 2
	ds_read_b64 v[0:1], v0
	s_andn2_b64 s[60:61], s[60:61], exec
	s_mov_b32 s64, 0
	s_mov_b64 s[62:63], -1
	s_waitcnt lgkmcnt(0)
	flat_load_dword v0, v[0:1] glc
	s_waitcnt vmcnt(0) lgkmcnt(0)
	buffer_invl2
	buffer_wbinvl1_vol
	v_cmp_eq_u32_e32 vcc, 0, v0
	s_and_b64 vcc, vcc, exec
	s_or_b64 s[60:61], s[60:61], vcc
.LBB6_2929:                             ;   in Loop: Header=BB6_2927 Depth=2
	s_andn2_b64 s[58:59], s[58:59], exec
	s_and_b64 s[62:63], s[62:63], exec
	s_mov_b64 vcc, -1
	s_or_b64 s[58:59], s[58:59], s[62:63]
	s_and_saveexec_b64 s[62:63], s[60:61]
	s_cbranch_execz .LBB6_2926
; %bb.2930:                             ;   in Loop: Header=BB6_2927 Depth=2
	s_sleep 1
	s_trap 2
	ds_read_b64 v[0:1], v0
	v_accvgpr_read_b32 v2, a24
	v_accvgpr_read_b32 v3, a25
	s_andn2_b64 s[58:59], s[58:59], exec
	s_waitcnt lgkmcnt(0)
	v_cmp_ge_u64_e32 vcc, v[0:1], v[2:3]
	s_orn2_b64 vcc, vcc, exec
	s_branch .LBB6_2926
.LBB6_2931:                             ;   in Loop: Header=BB6_2894 Depth=1
	s_or_b64 exec, exec, s[54:55]
	s_and_saveexec_b64 vcc, s[56:57]
	s_xor_b64 vcc, exec, vcc
	s_cbranch_execz .LBB6_2933
; %bb.2932:                             ;   in Loop: Header=BB6_2894 Depth=1
	v_mov_b32_e32 v0, 1
	ds_write_b32 v0, v0
	s_trap 2
.LBB6_2933:                             ;   in Loop: Header=BB6_2894 Depth=1
	s_or_b64 exec, exec, s[52:53]
	;;#ASMSTART
	s_wakeup
	;;#ASMEND
.LBB6_2934:                             ;   in Loop: Header=BB6_2894 Depth=1
	s_or_b64 exec, exec, s[22:23]
.LBB6_2935:                             ;   in Loop: Header=BB6_2894 Depth=1
	s_andn2_saveexec_b64 s[20:21], s[20:21]
	s_cbranch_execz .LBB6_2937
; %bb.2936:                             ;   in Loop: Header=BB6_2894 Depth=1
	s_waitcnt vmcnt(0) lgkmcnt(0)
	buffer_wbinvl1_vol
	s_barrier
.LBB6_2937:                             ;   in Loop: Header=BB6_2894 Depth=1
	s_or_b64 exec, exec, s[20:21]
.LBB6_2938:                             ;   in Loop: Header=BB6_2894 Depth=1
	s_or_b64 exec, exec, s[18:19]
	s_trap 2
	ds_read_b32 v0, v0
	v_accvgpr_read_b32 v1, a3
	v_and_b32_e32 v1, 0x4000, v1
	v_cmp_ne_u32_e32 vcc, 0, v1
	s_and_b64 s[20:21], s[38:39], vcc
	s_and_saveexec_b64 s[18:19], s[20:21]
	s_cbranch_execz .LBB6_2957
; %bb.2939:                             ;   in Loop: Header=BB6_2894 Depth=1
	s_and_saveexec_b64 s[20:21], s[34:35]
	s_xor_b64 s[20:21], exec, s[20:21]
	s_cbranch_execz .LBB6_2954
; %bb.2940:                             ;   in Loop: Header=BB6_2894 Depth=1
	s_and_saveexec_b64 s[22:23], s[12:13]
	s_cbranch_execz .LBB6_2953
; %bb.2941:                             ;   in Loop: Header=BB6_2894 Depth=1
	s_mov_b64 s[54:55], exec
	v_mbcnt_lo_u32_b32 v1, s54, 0
	v_mbcnt_hi_u32_b32 v1, s55, v1
	v_cmp_eq_u32_e32 vcc, 0, v1
	s_waitcnt vmcnt(0) lgkmcnt(0)
	buffer_wbinvl1_vol
	s_and_saveexec_b64 s[52:53], vcc
	s_cbranch_execz .LBB6_2943
; %bb.2942:                             ;   in Loop: Header=BB6_2894 Depth=1
	s_bcnt1_i32_b64 vcc_lo, s[54:55]
	v_mov_b32_e32 v52, vcc_lo
	ds_add_u64 v0, v[52:53]
	s_trap 2
.LBB6_2943:                             ;   in Loop: Header=BB6_2894 Depth=1
	s_or_b64 exec, exec, s[52:53]
	s_trap 2
	ds_read_b64 v[2:3], v0
	v_accvgpr_read_b32 v4, a24
	v_accvgpr_read_b32 v6, a8
	;; [unrolled: 1-line block ×3, first 2 shown]
	v_add_co_u32_e32 v4, vcc, v4, v6
	v_addc_co_u32_e32 v5, vcc, 0, v5, vcc
	v_accvgpr_write_b32 a25, v5
	v_accvgpr_write_b32 a24, v4
	s_waitcnt lgkmcnt(0)
	v_cmp_lt_u64_e32 vcc, v[2:3], v[4:5]
	s_and_saveexec_b64 s[52:53], vcc
	s_cbranch_execz .LBB6_2952
; %bb.2944:                             ;   in Loop: Header=BB6_2894 Depth=1
	s_mov_b32 s64, 0
	s_mov_b64 s[54:55], 0
                                        ; implicit-def: $sgpr56_sgpr57
                                        ; implicit-def: $sgpr58_sgpr59
	s_branch .LBB6_2946
.LBB6_2945:                             ;   in Loop: Header=BB6_2946 Depth=2
	s_or_b64 exec, exec, s[62:63]
	s_and_b64 vcc, exec, vcc
	s_or_b64 s[54:55], vcc, s[54:55]
	s_andn2_b64 vcc, s[56:57], exec
	s_and_b64 s[56:57], s[58:59], exec
	s_or_b64 s[56:57], vcc, s[56:57]
	s_andn2_b64 exec, exec, s[54:55]
	s_cbranch_execz .LBB6_2950
.LBB6_2946:                             ;   Parent Loop BB6_2894 Depth=1
                                        ; =>  This Inner Loop Header: Depth=2
	s_add_i32 s64, s64, 1
	s_cmpk_lg_i32 s64, 0x2710
	s_cselect_b64 s[60:61], -1, 0
	s_and_b64 vcc, exec, s[60:61]
                                        ; implicit-def: $sgpr62_sgpr63
	s_cbranch_vccnz .LBB6_2948
; %bb.2947:                             ;   in Loop: Header=BB6_2946 Depth=2
	s_trap 2
	ds_read_b64 v[2:3], v0
	s_andn2_b64 s[60:61], s[60:61], exec
	s_mov_b32 s64, 0
	s_mov_b64 s[62:63], -1
	s_waitcnt lgkmcnt(0)
	flat_load_dword v1, v[2:3] glc
	s_waitcnt vmcnt(0) lgkmcnt(0)
	buffer_invl2
	buffer_wbinvl1_vol
	v_cmp_eq_u32_e32 vcc, 0, v1
	s_and_b64 vcc, vcc, exec
	s_or_b64 s[60:61], s[60:61], vcc
.LBB6_2948:                             ;   in Loop: Header=BB6_2946 Depth=2
	s_andn2_b64 s[58:59], s[58:59], exec
	s_and_b64 s[62:63], s[62:63], exec
	s_mov_b64 vcc, -1
	s_or_b64 s[58:59], s[58:59], s[62:63]
	s_and_saveexec_b64 s[62:63], s[60:61]
	s_cbranch_execz .LBB6_2945
; %bb.2949:                             ;   in Loop: Header=BB6_2946 Depth=2
	s_sleep 1
	s_trap 2
	ds_read_b64 v[2:3], v0
	v_accvgpr_read_b32 v4, a24
	v_accvgpr_read_b32 v5, a25
	s_andn2_b64 s[58:59], s[58:59], exec
	s_waitcnt lgkmcnt(0)
	v_cmp_ge_u64_e32 vcc, v[2:3], v[4:5]
	s_orn2_b64 vcc, vcc, exec
	s_branch .LBB6_2945
.LBB6_2950:                             ;   in Loop: Header=BB6_2894 Depth=1
	s_or_b64 exec, exec, s[54:55]
	s_and_saveexec_b64 vcc, s[56:57]
	s_xor_b64 vcc, exec, vcc
	s_cbranch_execz .LBB6_2952
; %bb.2951:                             ;   in Loop: Header=BB6_2894 Depth=1
	v_mov_b32_e32 v1, 1
	ds_write_b32 v0, v1
	s_trap 2
.LBB6_2952:                             ;   in Loop: Header=BB6_2894 Depth=1
	s_or_b64 exec, exec, s[52:53]
	;;#ASMSTART
	s_wakeup
	;;#ASMEND
.LBB6_2953:                             ;   in Loop: Header=BB6_2894 Depth=1
	s_or_b64 exec, exec, s[22:23]
.LBB6_2954:                             ;   in Loop: Header=BB6_2894 Depth=1
	s_andn2_saveexec_b64 s[20:21], s[20:21]
	s_cbranch_execz .LBB6_2956
; %bb.2955:                             ;   in Loop: Header=BB6_2894 Depth=1
	s_waitcnt vmcnt(0) lgkmcnt(0)
	buffer_wbinvl1_vol
	s_barrier
.LBB6_2956:                             ;   in Loop: Header=BB6_2894 Depth=1
	s_or_b64 exec, exec, s[20:21]
.LBB6_2957:                             ;   in Loop: Header=BB6_2894 Depth=1
	s_or_b64 exec, exec, s[18:19]
	s_trap 2
	s_waitcnt lgkmcnt(0)
	ds_read_b64 v[2:3], v0
	v_min_u32_e32 v54, v54, v8
	s_waitcnt lgkmcnt(0)
	v_readfirstlane_b32 s18, v2
	v_readfirstlane_b32 s19, v3
	s_cmp_eq_u64 s[18:19], 0
	s_cselect_b64 s[18:19], -1, 0
	s_or_b64 s[20:21], s[18:19], s[18:19]
	s_mov_b64 s[18:19], 0
	s_and_b64 vcc, exec, s[20:21]
	s_cbranch_vccnz .LBB6_5654
; %bb.2958:                             ;   in Loop: Header=BB6_2894 Depth=1
	s_trap 2
	ds_read_b64 v[2:3], v0
	s_mov_b64 s[20:21], -1
	s_waitcnt lgkmcnt(0)
	v_readfirstlane_b32 s64, v2
	s_and_saveexec_b64 s[18:19], s[14:15]
	s_cbranch_execz .LBB6_2960
; %bb.2959:                             ;   in Loop: Header=BB6_2894 Depth=1
	ds_read_b32 v1, v0 offset:720
	s_waitcnt lgkmcnt(0)
	v_and_b32_e32 v1, 15, v1
	v_cmp_eq_u32_e32 vcc, 0, v1
	s_orn2_b64 s[20:21], vcc, exec
.LBB6_2960:                             ;   in Loop: Header=BB6_2894 Depth=1
	s_or_b64 exec, exec, s[18:19]
	s_and_saveexec_b64 s[18:19], s[16:17]
	s_cbranch_execz .LBB6_2962
; %bb.2961:                             ;   in Loop: Header=BB6_2894 Depth=1
	ds_read_b32 v1, v0 offset:784
	s_waitcnt lgkmcnt(0)
	v_and_b32_e32 v1, 15, v1
	v_cmp_eq_u32_e32 vcc, 0, v1
	s_and_b64 s[22:23], s[20:21], vcc
	s_andn2_b64 s[20:21], s[20:21], exec
	s_and_b64 s[22:23], s[22:23], exec
	s_or_b64 s[20:21], s[20:21], s[22:23]
.LBB6_2962:                             ;   in Loop: Header=BB6_2894 Depth=1
	s_or_b64 exec, exec, s[18:19]
	v_cmp_eq_u32_e32 vcc, 0, v0
	s_xor_b64 s[20:21], s[20:21], -1
	v_cndmask_b32_e32 v55, 0, v54, vcc
	v_cndmask_b32_e64 v0, 0, 1, s[20:21]
	v_mov_b32_e32 v17, 0
	s_mov_b64 s[18:19], -1
	;;#ASMSTART
	;;#ASMEND
	v_cmp_ne_u32_e32 vcc, 0, v0
	v_mov_b32_e32 v18, v55
	v_mov_b32_e32 v19, v58
	;; [unrolled: 1-line block ×3, first 2 shown]
	v_accvgpr_write_b32 a34, v8
	s_cbranch_vccz .LBB6_2964
; %bb.2963:                             ;   in Loop: Header=BB6_2894 Depth=1
	s_and_saveexec_b64 s[52:53], s[18:19]
	s_cbranch_execnz .LBB6_4897
	s_branch .LBB6_5653
.LBB6_2964:                             ;   in Loop: Header=BB6_2894 Depth=1
	v_lshrrev_b32_e32 v0, 11, v55
	v_sub_u32_e32 v0, v0, v62
	v_cmp_lt_i32_e32 vcc, 0, v0
	s_and_saveexec_b64 s[22:23], vcc
	s_cbranch_execz .LBB6_4248
; %bb.2965:                             ;   in Loop: Header=BB6_2894 Depth=1
	s_trap 2
	ds_read_b128 v[2:5], v0
	ds_read_b64 v[6:7], v0
	v_accvgpr_read_b32 v8, a28
	v_accvgpr_read_b32 v1, a21
	s_bitcmp1_b32 s64, 0
	s_waitcnt lgkmcnt(0)
	v_add_co_u32_e32 v46, vcc, v2, v8
	v_addc_co_u32_e32 v47, vcc, v3, v1, vcc
	v_add_co_u32_e32 v56, vcc, v4, v8
	v_addc_co_u32_e32 v57, vcc, v5, v1, vcc
	s_waitcnt lgkmcnt(0)
	v_add_co_u32_e32 v58, vcc, v6, v8
	v_accvgpr_write_b32 a36, v55
	v_accvgpr_write_b32 a35, v54
	v_addc_co_u32_e32 v59, vcc, v7, v1, vcc
	s_mov_b64 s[52:53], 0
	s_cselect_b64 s[54:55], -1, 0
	s_branch .LBB6_2967
.LBB6_2966:                             ;   in Loop: Header=BB6_2967 Depth=2
	s_or_b64 exec, exec, s[18:19]
	v_lshlrev_b32_e32 v3, 8, v30
	v_perm_b32 v3, v3, v35, s74
	v_lshl_or_b32 v3, v31, 16, v3
	v_lshl_or_b32 v7, v23, 24, v3
	v_and_b32_e32 v3, 0xff, v55
	v_lshlrev_b32_e32 v8, 8, v45
	v_lshlrev_b32_e32 v6, 24, v34
	v_lshlrev_b32_e32 v3, 16, v3
	v_perm_b32 v8, v8, v29, s74
	v_or3_b32 v6, v6, v3, v8
	v_and_b32_e32 v3, 0xff, v50
	v_lshlrev_b32_e32 v9, 8, v40
	v_lshlrev_b32_e32 v8, 24, v44
	;; [unrolled: 1-line block ×3, first 2 shown]
	v_perm_b32 v9, v9, v28, s74
	v_or3_b32 v8, v8, v3, v9
	v_lshlrev_b32_e32 v3, 8, v22
	v_perm_b32 v3, v3, v54, s74
	v_lshl_or_b32 v3, v26, 16, v3
	v_lshl_or_b32 v9, v21, 24, v3
	v_lshlrev_b32_e32 v3, 8, v19
	v_perm_b32 v3, v3, v51, s74
	v_lshl_or_b32 v3, v20, 16, v3
	v_lshl_or_b32 v17, v15, 24, v3
	v_and_b32_e32 v3, 0xff, v27
	v_lshlrev_b32_e32 v10, 8, v25
	v_lshlrev_b32_e32 v1, 24, v1
	;; [unrolled: 1-line block ×3, first 2 shown]
	v_perm_b32 v10, v10, v24, s74
	v_or3_b32 v16, v1, v3, v10
	v_and_b32_e32 v1, 0xff, v49
	v_lshlrev_b32_e32 v3, 24, v4
	v_lshlrev_b32_e32 v4, 8, v48
	;; [unrolled: 1-line block ×3, first 2 shown]
	v_perm_b32 v4, v4, v18, s74
	v_or3_b32 v18, v3, v1, v4
	v_lshlrev_b32_e32 v1, 8, v11
	v_perm_b32 v1, v1, v5, s74
	v_lshl_or_b32 v1, v14, 16, v1
	v_lshl_or_b32 v19, v2, 24, v1
	v_accvgpr_read_b32 v1, a29
	v_add_co_u32_e32 v46, vcc, v46, v1
	v_accvgpr_read_b32 v3, a30
	v_addc_co_u32_e32 v47, vcc, v47, v3, vcc
	v_add_co_u32_e32 v56, vcc, v56, v1
	v_accvgpr_read_b32 v2, a8
	v_addc_co_u32_e32 v57, vcc, v57, v3, vcc
	v_sub_u32_e32 v0, v0, v2
	v_cmp_gt_i32_e32 vcc, 1, v0
	global_store_dwordx4 v[58:59], v[6:9], off glc slc
	global_store_dwordx4 v[58:59], v[16:19], off offset:1024 glc slc
	s_or_b64 s[52:53], vcc, s[52:53]
	v_add_co_u32_e32 v58, vcc, v58, v1
	v_addc_co_u32_e32 v59, vcc, v59, v3, vcc
	s_andn2_b64 exec, exec, s[52:53]
	s_cbranch_execz .LBB6_4247
.LBB6_2967:                             ;   Parent Loop BB6_2894 Depth=1
                                        ; =>  This Inner Loop Header: Depth=2
	global_load_dwordx4 v[22:25], v[46:47], off glc slc
	global_load_dwordx4 v[14:17], v[46:47], off offset:1024 glc slc
	global_load_dwordx4 v[18:21], v[56:57], off glc slc
	global_load_dwordx4 v[10:13], v[56:57], off offset:1024 glc slc
	s_and_b64 vcc, exec, s[54:55]
	s_waitcnt vmcnt(0)
	v_cmp_ne_u16_sdwa s[18:19], v22, v53 src0_sel:BYTE_0 src1_sel:DWORD
	s_cbranch_vccz .LBB6_2981
; %bb.2968:                             ;   in Loop: Header=BB6_2967 Depth=2
	v_mov_b32_e32 v2, 0
	v_mov_b32_e32 v1, 0
	s_and_saveexec_b64 s[20:21], s[18:19]
	s_cbranch_execz .LBB6_2974
; %bb.2969:                             ;   in Loop: Header=BB6_2967 Depth=2
	v_cmp_ne_u16_sdwa vcc, v22, s69 src0_sel:BYTE_0 src1_sel:DWORD
	v_bfrev_b32_e32 v1, 1
	s_and_saveexec_b64 s[56:57], vcc
	s_cbranch_execz .LBB6_2973
; %bb.2970:                             ;   in Loop: Header=BB6_2967 Depth=2
	v_and_b32_e32 v3, 0x7f, v22
	v_cmp_ne_u32_e32 vcc, s71, v3
	v_mov_b32_e32 v1, 0x7f800001
	s_and_saveexec_b64 s[58:59], vcc
	s_cbranch_execz .LBB6_2972
; %bb.2971:                             ;   in Loop: Header=BB6_2967 Depth=2
	v_and_b32_e32 v1, 7, v22
	v_ffbh_u32_e32 v1, v1
	v_min_u32_e32 v1, 32, v1
	v_subrev_u32_e32 v5, 28, v1
	v_cmp_gt_u32_e32 vcc, 8, v3
	v_lshrrev_b32_e32 v4, 3, v3
	v_sub_u32_e32 v1, 29, v1
	v_cndmask_b32_e32 v3, 0, v5, vcc
	v_cndmask_b32_e32 v1, v4, v1, vcc
	v_lshlrev_b64 v[4:5], v3, v[22:23]
	v_lshlrev_b32_e32 v3, 20, v4
	v_lshlrev_b32_e32 v4, 24, v22
	v_and_b32_e32 v3, 0x700000, v3
	v_and_b32_e32 v4, 0x80000000, v4
	v_lshl_add_u32 v1, v1, 23, v61
	v_or3_b32 v1, v4, v1, v3
.LBB6_2972:                             ;   in Loop: Header=BB6_2967 Depth=2
	s_or_b64 exec, exec, s[58:59]
.LBB6_2973:                             ;   in Loop: Header=BB6_2967 Depth=2
	s_or_b64 exec, exec, s[56:57]
.LBB6_2974:                             ;   in Loop: Header=BB6_2967 Depth=2
	s_or_b64 exec, exec, s[20:21]
	s_waitcnt vmcnt(1)
	v_cmp_ne_u16_sdwa vcc, v18, v53 src0_sel:BYTE_0 src1_sel:DWORD
	s_and_saveexec_b64 s[20:21], vcc
	s_cbranch_execz .LBB6_2980
; %bb.2975:                             ;   in Loop: Header=BB6_2967 Depth=2
	v_cmp_ne_u16_sdwa vcc, v18, s69 src0_sel:BYTE_0 src1_sel:DWORD
	v_bfrev_b32_e32 v2, 1
	s_and_saveexec_b64 s[56:57], vcc
	s_cbranch_execz .LBB6_2979
; %bb.2976:                             ;   in Loop: Header=BB6_2967 Depth=2
	v_and_b32_e32 v3, 0x7f, v18
	v_cmp_ne_u32_e32 vcc, s71, v3
	v_mov_b32_e32 v2, 0x7f800001
	s_and_saveexec_b64 s[58:59], vcc
	s_cbranch_execz .LBB6_2978
; %bb.2977:                             ;   in Loop: Header=BB6_2967 Depth=2
	v_and_b32_e32 v2, 7, v18
	v_ffbh_u32_e32 v2, v2
	v_min_u32_e32 v2, 32, v2
	v_lshrrev_b32_e32 v4, 3, v3
	v_subrev_u32_e32 v5, 28, v2
	v_sub_u32_e32 v2, 29, v2
	v_cmp_gt_u32_e32 vcc, 8, v3
	v_cndmask_b32_e32 v4, v4, v2, vcc
	v_cndmask_b32_e32 v2, 0, v5, vcc
	v_lshlrev_b64 v[2:3], v2, v[18:19]
	v_lshlrev_b32_e32 v2, 20, v2
	v_lshlrev_b32_e32 v3, 24, v18
	v_and_b32_e32 v2, 0x700000, v2
	v_and_b32_e32 v3, 0x80000000, v3
	v_lshl_add_u32 v4, v4, 23, v61
	v_or3_b32 v2, v3, v4, v2
.LBB6_2978:                             ;   in Loop: Header=BB6_2967 Depth=2
	s_or_b64 exec, exec, s[58:59]
.LBB6_2979:                             ;   in Loop: Header=BB6_2967 Depth=2
	s_or_b64 exec, exec, s[56:57]
.LBB6_2980:                             ;   in Loop: Header=BB6_2967 Depth=2
	s_or_b64 exec, exec, s[20:21]
	v_max_f32_e32 v2, v2, v2
	v_max_f32_e32 v1, v1, v1
	;; [unrolled: 1-line block ×3, first 2 shown]
	s_branch .LBB6_2995
.LBB6_2981:                             ;   in Loop: Header=BB6_2967 Depth=2
                                        ; implicit-def: $vgpr2
	s_cbranch_execz .LBB6_2995
; %bb.2982:                             ;   in Loop: Header=BB6_2967 Depth=2
	v_mov_b32_e32 v2, 0
	v_mov_b32_e32 v1, 0
	s_and_saveexec_b64 s[20:21], s[18:19]
	s_cbranch_execz .LBB6_2988
; %bb.2983:                             ;   in Loop: Header=BB6_2967 Depth=2
	v_cmp_ne_u16_sdwa vcc, v22, s69 src0_sel:BYTE_0 src1_sel:DWORD
	v_bfrev_b32_e32 v1, 1
	s_and_saveexec_b64 s[18:19], vcc
	s_cbranch_execz .LBB6_2987
; %bb.2984:                             ;   in Loop: Header=BB6_2967 Depth=2
	v_and_b32_e32 v3, 0x7f, v22
	v_cmp_ne_u32_e32 vcc, s71, v3
	v_mov_b32_e32 v1, 0x7f800001
	s_and_saveexec_b64 s[56:57], vcc
	s_cbranch_execz .LBB6_2986
; %bb.2985:                             ;   in Loop: Header=BB6_2967 Depth=2
	v_and_b32_e32 v1, 7, v22
	v_ffbh_u32_e32 v1, v1
	v_min_u32_e32 v1, 32, v1
	v_subrev_u32_e32 v5, 28, v1
	v_cmp_gt_u32_e32 vcc, 8, v3
	v_lshrrev_b32_e32 v4, 3, v3
	v_sub_u32_e32 v1, 29, v1
	v_cndmask_b32_e32 v3, 0, v5, vcc
	v_cndmask_b32_e32 v1, v4, v1, vcc
	v_lshlrev_b64 v[4:5], v3, v[22:23]
	v_lshlrev_b32_e32 v3, 20, v4
	v_lshlrev_b32_e32 v4, 24, v22
	v_and_b32_e32 v3, 0x700000, v3
	v_and_b32_e32 v4, 0x80000000, v4
	v_lshl_add_u32 v1, v1, 23, v61
	v_or3_b32 v1, v4, v1, v3
.LBB6_2986:                             ;   in Loop: Header=BB6_2967 Depth=2
	s_or_b64 exec, exec, s[56:57]
.LBB6_2987:                             ;   in Loop: Header=BB6_2967 Depth=2
	s_or_b64 exec, exec, s[18:19]
.LBB6_2988:                             ;   in Loop: Header=BB6_2967 Depth=2
	s_or_b64 exec, exec, s[20:21]
	s_waitcnt vmcnt(1)
	v_cmp_ne_u16_sdwa s[20:21], v18, v53 src0_sel:BYTE_0 src1_sel:DWORD
	s_and_saveexec_b64 s[18:19], s[20:21]
	s_cbranch_execz .LBB6_2994
; %bb.2989:                             ;   in Loop: Header=BB6_2967 Depth=2
	v_cmp_ne_u16_sdwa vcc, v18, s69 src0_sel:BYTE_0 src1_sel:DWORD
	v_bfrev_b32_e32 v2, 1
	s_and_saveexec_b64 s[20:21], vcc
	s_cbranch_execz .LBB6_2993
; %bb.2990:                             ;   in Loop: Header=BB6_2967 Depth=2
	v_and_b32_e32 v3, 0x7f, v18
	v_cmp_ne_u32_e32 vcc, s71, v3
	v_mov_b32_e32 v2, 0x7f800001
	s_and_saveexec_b64 s[56:57], vcc
	s_cbranch_execz .LBB6_2992
; %bb.2991:                             ;   in Loop: Header=BB6_2967 Depth=2
	v_and_b32_e32 v2, 7, v18
	v_ffbh_u32_e32 v2, v2
	v_min_u32_e32 v2, 32, v2
	v_lshrrev_b32_e32 v4, 3, v3
	v_subrev_u32_e32 v5, 28, v2
	v_sub_u32_e32 v2, 29, v2
	v_cmp_gt_u32_e32 vcc, 8, v3
	v_cndmask_b32_e32 v4, v4, v2, vcc
	v_cndmask_b32_e32 v2, 0, v5, vcc
	v_lshlrev_b64 v[2:3], v2, v[18:19]
	v_lshlrev_b32_e32 v2, 20, v2
	v_lshlrev_b32_e32 v3, 24, v18
	v_and_b32_e32 v2, 0x700000, v2
	v_and_b32_e32 v3, 0x80000000, v3
	v_lshl_add_u32 v4, v4, 23, v61
	v_or3_b32 v2, v3, v4, v2
.LBB6_2992:                             ;   in Loop: Header=BB6_2967 Depth=2
	s_or_b64 exec, exec, s[56:57]
.LBB6_2993:                             ;   in Loop: Header=BB6_2967 Depth=2
	s_or_b64 exec, exec, s[20:21]
.LBB6_2994:                             ;   in Loop: Header=BB6_2967 Depth=2
	s_or_b64 exec, exec, s[18:19]
	v_max_f32_e32 v2, v2, v2
	v_max_f32_e32 v1, v1, v1
	v_min_f32_e32 v2, v1, v2
.LBB6_2995:                             ;   in Loop: Header=BB6_2967 Depth=2
	v_and_b32_sdwa v1, v2, s69 dst_sel:DWORD dst_unused:UNUSED_PAD src0_sel:BYTE_3 src1_sel:DWORD
	v_and_b32_e32 v4, 0x7f800000, v2
	v_mov_b32_e32 v5, v53
	v_and_b32_e32 v52, 0x7fffff, v2
	v_or_b32_e32 v29, 0x7e, v1
	v_cmp_ne_u64_e32 vcc, s[40:41], v[4:5]
	s_and_saveexec_b64 s[18:19], vcc
	s_xor_b64 s[20:21], exec, s[18:19]
	s_cbranch_execz .LBB6_3005
; %bb.2996:                             ;   in Loop: Header=BB6_2967 Depth=2
	v_and_b32_e32 v4, 0x7fffffff, v2
	v_mov_b32_e32 v5, v53
	v_cmp_gt_u64_e32 vcc, s[42:43], v[4:5]
	s_and_saveexec_b64 s[56:57], vcc
	s_cbranch_execz .LBB6_3004
; %bb.2997:                             ;   in Loop: Header=BB6_2967 Depth=2
	v_cmp_ne_u32_e32 vcc, 0, v2
	v_mov_b32_e32 v29, 0
	s_and_saveexec_b64 s[58:59], vcc
	s_cbranch_execz .LBB6_3003
; %bb.2998:                             ;   in Loop: Header=BB6_2967 Depth=2
	v_bfe_u32 v2, v2, 23, 8
	v_sub_u32_e32 v4, 0x79, v2
	v_cmp_gt_u32_e32 vcc, s73, v2
	v_cndmask_b32_e32 v4, 0, v4, vcc
	v_cmp_eq_u32_e32 vcc, 0, v2
	v_or_b32_e32 v5, 0x800000, v52
	v_cndmask_b32_e32 v4, v4, v32, vcc
	v_add_u32_e32 v3, 0xffffff81, v2
	v_cndmask_b32_e32 v52, v5, v52, vcc
	v_add_u32_e32 v2, 20, v4
	v_cndmask_b32_e32 v26, v3, v33, vcc
	v_lshlrev_b64 v[2:3], v2, -1
	v_add_u32_e32 v5, 19, v4
	v_lshrrev_b64 v[8:9], v4, v[52:53]
	v_not_b32_e32 v3, v3
	v_not_b32_e32 v2, v2
	v_lshlrev_b64 v[6:7], v5, 1
	v_lshrrev_b32_e32 v5, 23, v8
	v_and_b32_e32 v3, 0, v3
	v_and_b32_e32 v2, v52, v2
	v_add3_u32 v26, v4, v26, v5
	v_bfe_u32 v4, v8, 20, 1
	v_add_u32_e32 v4, -1, v4
	v_cmp_eq_u64_e32 vcc, v[2:3], v[6:7]
	v_cndmask_b32_e32 v2, 0, v4, vcc
	v_add_u32_e32 v2, v2, v8
	v_and_b32_e32 v2, 0xfffff, v2
	v_add_co_u32_e32 v2, vcc, v2, v8
	v_add_u32_e32 v5, 6, v26
	v_addc_co_u32_e32 v3, vcc, 0, v9, vcc
	v_cmp_ne_u32_e32 vcc, 0, v5
                                        ; implicit-def: $vgpr4
	s_and_saveexec_b64 s[18:19], vcc
	s_xor_b64 s[18:19], exec, s[18:19]
; %bb.2999:                             ;   in Loop: Header=BB6_2967 Depth=2
	v_add_u32_e32 v4, 7, v26
	v_cmp_lt_u64_e32 vcc, s[46:47], v[2:3]
	v_cndmask_b32_e32 v4, v5, v4, vcc
	v_cndmask_b32_e64 v5, 0, 1, vcc
	v_lshrrev_b64 v[2:3], v5, v[2:3]
; %bb.3000:                             ;   in Loop: Header=BB6_2967 Depth=2
	s_andn2_saveexec_b64 s[18:19], s[18:19]
; %bb.3001:                             ;   in Loop: Header=BB6_2967 Depth=2
	v_bfe_u32 v4, v2, 23, 1
; %bb.3002:                             ;   in Loop: Header=BB6_2967 Depth=2
	s_or_b64 exec, exec, s[18:19]
	v_lshrrev_b64 v[2:3], 20, v[2:3]
	v_cmp_gt_i32_e32 vcc, 16, v4
	v_cndmask_b32_e32 v3, 0, v3, vcc
	v_cndmask_b32_e32 v2, 7, v2, vcc
	v_cmp_eq_u64_e64 s[18:19], 0, v[2:3]
	v_min_i32_e32 v3, 15, v4
	v_cmp_eq_u32_e32 vcc, 0, v4
	v_lshlrev_b32_e32 v3, 3, v3
	v_and_or_b32 v2, v2, 7, v3
	s_and_b64 s[18:19], vcc, s[18:19]
	v_cndmask_b32_e64 v2, v2, 0, s[18:19]
	v_or_b32_e32 v29, v2, v1
.LBB6_3003:                             ;   in Loop: Header=BB6_2967 Depth=2
	s_or_b64 exec, exec, s[58:59]
.LBB6_3004:                             ;   in Loop: Header=BB6_2967 Depth=2
	s_or_b64 exec, exec, s[56:57]
                                        ; implicit-def: $vgpr2
.LBB6_3005:                             ;   in Loop: Header=BB6_2967 Depth=2
	s_andn2_saveexec_b64 s[18:19], s[20:21]
; %bb.3006:                             ;   in Loop: Header=BB6_2967 Depth=2
	v_or_b32_sdwa v1, v2, s71 dst_sel:DWORD dst_unused:UNUSED_PAD src0_sel:BYTE_3 src1_sel:DWORD
	v_cmp_eq_u64_e32 vcc, 0, v[52:53]
	v_cndmask_b32_e32 v29, v1, v29, vcc
; %bb.3007:                             ;   in Loop: Header=BB6_2967 Depth=2
	s_or_b64 exec, exec, s[18:19]
	v_lshrrev_b16_e32 v28, 8, v22
	s_waitcnt vmcnt(1)
	v_lshrrev_b16_e32 v2, 8, v18
	v_cmp_ne_u16_e64 s[18:19], 0, v28
	s_and_b64 vcc, exec, s[54:55]
	s_cbranch_vccz .LBB6_3021
; %bb.3008:                             ;   in Loop: Header=BB6_2967 Depth=2
	v_mov_b32_e32 v3, 0
	v_mov_b32_e32 v1, 0
	s_and_saveexec_b64 s[20:21], s[18:19]
	s_cbranch_execz .LBB6_3014
; %bb.3009:                             ;   in Loop: Header=BB6_2967 Depth=2
	v_cmp_ne_u16_e32 vcc, s69, v28
	v_bfrev_b32_e32 v1, 1
	s_and_saveexec_b64 s[56:57], vcc
	s_cbranch_execz .LBB6_3013
; %bb.3010:                             ;   in Loop: Header=BB6_2967 Depth=2
	v_and_b32_e32 v4, 0x7f, v28
	v_cmp_ne_u32_e32 vcc, s71, v4
	v_mov_b32_e32 v1, 0x7f800001
	s_and_saveexec_b64 s[58:59], vcc
	s_cbranch_execz .LBB6_3012
; %bb.3011:                             ;   in Loop: Header=BB6_2967 Depth=2
	v_and_b32_e32 v1, 7, v28
	v_ffbh_u32_e32 v6, v1
	v_min_u32_e32 v8, 32, v6
	v_subrev_u32_e32 v6, 28, v8
	v_lshlrev_b64 v[6:7], v6, v[28:29]
	v_lshrrev_b32_e32 v5, 3, v4
	v_sub_u32_e32 v7, 29, v8
	v_and_b32_e32 v6, 7, v6
	v_cmp_gt_u32_e32 vcc, 8, v4
	v_cndmask_b32_e32 v4, v5, v7, vcc
	v_cndmask_b32_e32 v1, v1, v6, vcc
	v_lshlrev_b32_e32 v5, 16, v22
	v_lshlrev_b32_e32 v1, 20, v1
	v_and_b32_e32 v5, 0x80000000, v5
	v_lshl_add_u32 v4, v4, 23, v61
	v_or3_b32 v1, v5, v4, v1
.LBB6_3012:                             ;   in Loop: Header=BB6_2967 Depth=2
	s_or_b64 exec, exec, s[58:59]
.LBB6_3013:                             ;   in Loop: Header=BB6_2967 Depth=2
	s_or_b64 exec, exec, s[56:57]
.LBB6_3014:                             ;   in Loop: Header=BB6_2967 Depth=2
	s_or_b64 exec, exec, s[20:21]
	v_cmp_ne_u16_e32 vcc, 0, v2
	s_and_saveexec_b64 s[20:21], vcc
	s_cbranch_execz .LBB6_3020
; %bb.3015:                             ;   in Loop: Header=BB6_2967 Depth=2
	v_cmp_ne_u16_e32 vcc, s69, v2
	v_bfrev_b32_e32 v3, 1
	s_and_saveexec_b64 s[56:57], vcc
	s_cbranch_execz .LBB6_3019
; %bb.3016:                             ;   in Loop: Header=BB6_2967 Depth=2
	v_and_b32_e32 v4, 0x7f, v2
	v_cmp_ne_u32_e32 vcc, s71, v4
	v_mov_b32_e32 v3, 0x7f800001
	s_and_saveexec_b64 s[58:59], vcc
	s_cbranch_execz .LBB6_3018
; %bb.3017:                             ;   in Loop: Header=BB6_2967 Depth=2
	v_and_b32_e32 v3, 7, v2
	v_ffbh_u32_e32 v6, v3
	v_min_u32_e32 v8, 32, v6
	v_subrev_u32_e32 v6, 28, v8
	v_lshlrev_b64 v[6:7], v6, v[2:3]
	v_lshrrev_b32_e32 v5, 3, v4
	v_sub_u32_e32 v7, 29, v8
	v_and_b32_e32 v6, 7, v6
	v_cmp_gt_u32_e32 vcc, 8, v4
	v_cndmask_b32_e32 v4, v5, v7, vcc
	v_cndmask_b32_e32 v3, v3, v6, vcc
	v_lshlrev_b32_e32 v5, 16, v18
	v_lshlrev_b32_e32 v3, 20, v3
	v_and_b32_e32 v5, 0x80000000, v5
	v_lshl_add_u32 v4, v4, 23, v61
	v_or3_b32 v3, v5, v4, v3
.LBB6_3018:                             ;   in Loop: Header=BB6_2967 Depth=2
	s_or_b64 exec, exec, s[58:59]
.LBB6_3019:                             ;   in Loop: Header=BB6_2967 Depth=2
	s_or_b64 exec, exec, s[56:57]
.LBB6_3020:                             ;   in Loop: Header=BB6_2967 Depth=2
	s_or_b64 exec, exec, s[20:21]
	v_max_f32_e32 v3, v3, v3
	v_max_f32_e32 v1, v1, v1
	;; [unrolled: 1-line block ×3, first 2 shown]
	s_branch .LBB6_3035
.LBB6_3021:                             ;   in Loop: Header=BB6_2967 Depth=2
                                        ; implicit-def: $vgpr3
	s_cbranch_execz .LBB6_3035
; %bb.3022:                             ;   in Loop: Header=BB6_2967 Depth=2
	v_mov_b32_e32 v3, 0
	v_mov_b32_e32 v1, 0
	s_and_saveexec_b64 s[20:21], s[18:19]
	s_cbranch_execz .LBB6_3028
; %bb.3023:                             ;   in Loop: Header=BB6_2967 Depth=2
	v_cmp_ne_u16_e32 vcc, s69, v28
	v_bfrev_b32_e32 v1, 1
	s_and_saveexec_b64 s[18:19], vcc
	s_cbranch_execz .LBB6_3027
; %bb.3024:                             ;   in Loop: Header=BB6_2967 Depth=2
	v_and_b32_e32 v4, 0x7f, v28
	v_cmp_ne_u32_e32 vcc, s71, v4
	v_mov_b32_e32 v1, 0x7f800001
	s_and_saveexec_b64 s[56:57], vcc
	s_cbranch_execz .LBB6_3026
; %bb.3025:                             ;   in Loop: Header=BB6_2967 Depth=2
	v_and_b32_e32 v1, 7, v28
	v_ffbh_u32_e32 v6, v1
	v_min_u32_e32 v8, 32, v6
	v_subrev_u32_e32 v6, 28, v8
	v_lshlrev_b64 v[6:7], v6, v[28:29]
	v_lshrrev_b32_e32 v5, 3, v4
	v_sub_u32_e32 v7, 29, v8
	v_and_b32_e32 v6, 7, v6
	v_cmp_gt_u32_e32 vcc, 8, v4
	v_cndmask_b32_e32 v4, v5, v7, vcc
	v_cndmask_b32_e32 v1, v1, v6, vcc
	v_lshlrev_b32_e32 v5, 16, v22
	v_lshlrev_b32_e32 v1, 20, v1
	v_and_b32_e32 v5, 0x80000000, v5
	v_lshl_add_u32 v4, v4, 23, v61
	v_or3_b32 v1, v5, v4, v1
.LBB6_3026:                             ;   in Loop: Header=BB6_2967 Depth=2
	s_or_b64 exec, exec, s[56:57]
.LBB6_3027:                             ;   in Loop: Header=BB6_2967 Depth=2
	s_or_b64 exec, exec, s[18:19]
.LBB6_3028:                             ;   in Loop: Header=BB6_2967 Depth=2
	s_or_b64 exec, exec, s[20:21]
	v_cmp_ne_u16_e32 vcc, 0, v2
	s_and_saveexec_b64 s[18:19], vcc
	s_cbranch_execz .LBB6_3034
; %bb.3029:                             ;   in Loop: Header=BB6_2967 Depth=2
	v_cmp_ne_u16_e32 vcc, s69, v2
	v_bfrev_b32_e32 v3, 1
	s_and_saveexec_b64 s[20:21], vcc
	s_cbranch_execz .LBB6_3033
; %bb.3030:                             ;   in Loop: Header=BB6_2967 Depth=2
	v_and_b32_e32 v4, 0x7f, v2
	v_cmp_ne_u32_e32 vcc, s71, v4
	v_mov_b32_e32 v3, 0x7f800001
	s_and_saveexec_b64 s[56:57], vcc
	s_cbranch_execz .LBB6_3032
; %bb.3031:                             ;   in Loop: Header=BB6_2967 Depth=2
	v_and_b32_e32 v5, 7, v2
	v_ffbh_u32_e32 v3, v5
	v_min_u32_e32 v7, 32, v3
	v_subrev_u32_e32 v3, 28, v7
	v_lshlrev_b64 v[2:3], v3, v[2:3]
	v_lshrrev_b32_e32 v6, 3, v4
	v_sub_u32_e32 v3, 29, v7
	v_and_b32_e32 v2, 7, v2
	v_cmp_gt_u32_e32 vcc, 8, v4
	v_cndmask_b32_e32 v3, v6, v3, vcc
	v_cndmask_b32_e32 v2, v5, v2, vcc
	v_lshlrev_b32_e32 v4, 16, v18
	v_lshlrev_b32_e32 v2, 20, v2
	v_and_b32_e32 v4, 0x80000000, v4
	v_lshl_add_u32 v3, v3, 23, v61
	v_or3_b32 v3, v4, v3, v2
.LBB6_3032:                             ;   in Loop: Header=BB6_2967 Depth=2
	s_or_b64 exec, exec, s[56:57]
.LBB6_3033:                             ;   in Loop: Header=BB6_2967 Depth=2
	s_or_b64 exec, exec, s[20:21]
.LBB6_3034:                             ;   in Loop: Header=BB6_2967 Depth=2
	s_or_b64 exec, exec, s[18:19]
	v_max_f32_e32 v2, v3, v3
	v_max_f32_e32 v1, v1, v1
	v_min_f32_e32 v3, v1, v2
.LBB6_3035:                             ;   in Loop: Header=BB6_2967 Depth=2
	v_and_b32_sdwa v1, v3, s69 dst_sel:DWORD dst_unused:UNUSED_PAD src0_sel:BYTE_3 src1_sel:DWORD
	v_and_b32_e32 v4, 0x7f800000, v3
	v_mov_b32_e32 v5, v53
	v_and_b32_e32 v52, 0x7fffff, v3
	v_or_b32_e32 v45, 0x7e, v1
	v_cmp_ne_u64_e32 vcc, s[40:41], v[4:5]
	s_and_saveexec_b64 s[18:19], vcc
	s_xor_b64 s[20:21], exec, s[18:19]
	s_cbranch_execz .LBB6_3045
; %bb.3036:                             ;   in Loop: Header=BB6_2967 Depth=2
	v_and_b32_e32 v4, 0x7fffffff, v3
	v_mov_b32_e32 v5, v53
	v_cmp_gt_u64_e32 vcc, s[42:43], v[4:5]
	s_and_saveexec_b64 s[56:57], vcc
	s_cbranch_execz .LBB6_3044
; %bb.3037:                             ;   in Loop: Header=BB6_2967 Depth=2
	v_cmp_ne_u32_e32 vcc, 0, v3
	v_mov_b32_e32 v45, 0
	s_and_saveexec_b64 s[58:59], vcc
	s_cbranch_execz .LBB6_3043
; %bb.3038:                             ;   in Loop: Header=BB6_2967 Depth=2
	v_bfe_u32 v2, v3, 23, 8
	v_sub_u32_e32 v4, 0x79, v2
	v_cmp_gt_u32_e32 vcc, s73, v2
	v_cndmask_b32_e32 v4, 0, v4, vcc
	v_cmp_eq_u32_e32 vcc, 0, v2
	v_or_b32_e32 v5, 0x800000, v52
	v_cndmask_b32_e32 v4, v4, v32, vcc
	v_add_u32_e32 v3, 0xffffff81, v2
	v_cndmask_b32_e32 v52, v5, v52, vcc
	v_add_u32_e32 v2, 20, v4
	v_cndmask_b32_e32 v26, v3, v33, vcc
	v_lshlrev_b64 v[2:3], v2, -1
	v_add_u32_e32 v5, 19, v4
	v_lshrrev_b64 v[8:9], v4, v[52:53]
	v_not_b32_e32 v3, v3
	v_not_b32_e32 v2, v2
	v_lshlrev_b64 v[6:7], v5, 1
	v_lshrrev_b32_e32 v5, 23, v8
	v_and_b32_e32 v3, 0, v3
	v_and_b32_e32 v2, v52, v2
	v_add3_u32 v26, v4, v26, v5
	v_bfe_u32 v4, v8, 20, 1
	v_add_u32_e32 v4, -1, v4
	v_cmp_eq_u64_e32 vcc, v[2:3], v[6:7]
	v_cndmask_b32_e32 v2, 0, v4, vcc
	v_add_u32_e32 v2, v2, v8
	v_and_b32_e32 v2, 0xfffff, v2
	v_add_co_u32_e32 v2, vcc, v2, v8
	v_add_u32_e32 v5, 6, v26
	v_addc_co_u32_e32 v3, vcc, 0, v9, vcc
	v_cmp_ne_u32_e32 vcc, 0, v5
                                        ; implicit-def: $vgpr4
	s_and_saveexec_b64 s[18:19], vcc
	s_xor_b64 s[18:19], exec, s[18:19]
; %bb.3039:                             ;   in Loop: Header=BB6_2967 Depth=2
	v_add_u32_e32 v4, 7, v26
	v_cmp_lt_u64_e32 vcc, s[46:47], v[2:3]
	v_cndmask_b32_e32 v4, v5, v4, vcc
	v_cndmask_b32_e64 v5, 0, 1, vcc
	v_lshrrev_b64 v[2:3], v5, v[2:3]
; %bb.3040:                             ;   in Loop: Header=BB6_2967 Depth=2
	s_andn2_saveexec_b64 s[18:19], s[18:19]
; %bb.3041:                             ;   in Loop: Header=BB6_2967 Depth=2
	v_bfe_u32 v4, v2, 23, 1
; %bb.3042:                             ;   in Loop: Header=BB6_2967 Depth=2
	s_or_b64 exec, exec, s[18:19]
	v_lshrrev_b64 v[2:3], 20, v[2:3]
	v_cmp_gt_i32_e32 vcc, 16, v4
	v_cndmask_b32_e32 v3, 0, v3, vcc
	v_cndmask_b32_e32 v2, 7, v2, vcc
	v_cmp_eq_u64_e64 s[18:19], 0, v[2:3]
	v_min_i32_e32 v3, 15, v4
	v_cmp_eq_u32_e32 vcc, 0, v4
	v_lshlrev_b32_e32 v3, 3, v3
	v_and_or_b32 v2, v2, 7, v3
	s_and_b64 s[18:19], vcc, s[18:19]
	v_cndmask_b32_e64 v2, v2, 0, s[18:19]
	v_or_b32_e32 v45, v2, v1
.LBB6_3043:                             ;   in Loop: Header=BB6_2967 Depth=2
	s_or_b64 exec, exec, s[58:59]
.LBB6_3044:                             ;   in Loop: Header=BB6_2967 Depth=2
	s_or_b64 exec, exec, s[56:57]
                                        ; implicit-def: $vgpr3
.LBB6_3045:                             ;   in Loop: Header=BB6_2967 Depth=2
	s_andn2_saveexec_b64 s[18:19], s[20:21]
; %bb.3046:                             ;   in Loop: Header=BB6_2967 Depth=2
	v_or_b32_sdwa v1, v3, s71 dst_sel:DWORD dst_unused:UNUSED_PAD src0_sel:BYTE_3 src1_sel:DWORD
	v_cmp_eq_u64_e32 vcc, 0, v[52:53]
	v_cndmask_b32_e32 v45, v1, v45, vcc
; %bb.3047:                             ;   in Loop: Header=BB6_2967 Depth=2
	s_or_b64 exec, exec, s[18:19]
	v_lshrrev_b32_e32 v28, 16, v22
	v_lshrrev_b32_e32 v2, 16, v18
	v_cmp_ne_u16_sdwa s[18:19], v28, v53 src0_sel:BYTE_0 src1_sel:DWORD
	s_and_b64 vcc, exec, s[54:55]
	s_cbranch_vccz .LBB6_3061
; %bb.3048:                             ;   in Loop: Header=BB6_2967 Depth=2
	v_mov_b32_e32 v3, 0
	v_mov_b32_e32 v1, 0
	s_and_saveexec_b64 s[20:21], s[18:19]
	s_cbranch_execz .LBB6_3054
; %bb.3049:                             ;   in Loop: Header=BB6_2967 Depth=2
	v_cmp_ne_u16_sdwa vcc, v28, s69 src0_sel:BYTE_0 src1_sel:DWORD
	v_bfrev_b32_e32 v1, 1
	s_and_saveexec_b64 s[56:57], vcc
	s_cbranch_execz .LBB6_3053
; %bb.3050:                             ;   in Loop: Header=BB6_2967 Depth=2
	v_bfe_u32 v4, v22, 16, 7
	v_cmp_ne_u32_e32 vcc, s71, v4
	v_mov_b32_e32 v1, 0x7f800001
	s_and_saveexec_b64 s[58:59], vcc
	s_cbranch_execz .LBB6_3052
; %bb.3051:                             ;   in Loop: Header=BB6_2967 Depth=2
	v_and_b32_e32 v1, 7, v28
	v_ffbh_u32_e32 v6, v1
	v_min_u32_e32 v8, 32, v6
	v_subrev_u32_e32 v6, 28, v8
	v_lshlrev_b64 v[6:7], v6, v[28:29]
	v_lshrrev_b32_e32 v5, 3, v4
	v_sub_u32_e32 v7, 29, v8
	v_and_b32_e32 v6, 7, v6
	v_cmp_gt_u32_e32 vcc, 8, v4
	v_cndmask_b32_e32 v4, v5, v7, vcc
	v_cndmask_b32_e32 v1, v1, v6, vcc
	v_lshlrev_b32_e32 v5, 24, v28
	v_lshlrev_b32_e32 v1, 20, v1
	v_and_b32_e32 v5, 0x80000000, v5
	v_lshl_add_u32 v4, v4, 23, v61
	v_or3_b32 v1, v5, v4, v1
.LBB6_3052:                             ;   in Loop: Header=BB6_2967 Depth=2
	s_or_b64 exec, exec, s[58:59]
.LBB6_3053:                             ;   in Loop: Header=BB6_2967 Depth=2
	s_or_b64 exec, exec, s[56:57]
.LBB6_3054:                             ;   in Loop: Header=BB6_2967 Depth=2
	s_or_b64 exec, exec, s[20:21]
	v_cmp_ne_u16_sdwa vcc, v2, v53 src0_sel:BYTE_0 src1_sel:DWORD
	s_and_saveexec_b64 s[20:21], vcc
	s_cbranch_execz .LBB6_3060
; %bb.3055:                             ;   in Loop: Header=BB6_2967 Depth=2
	v_cmp_ne_u16_sdwa vcc, v2, s69 src0_sel:BYTE_0 src1_sel:DWORD
	v_bfrev_b32_e32 v3, 1
	s_and_saveexec_b64 s[56:57], vcc
	s_cbranch_execz .LBB6_3059
; %bb.3056:                             ;   in Loop: Header=BB6_2967 Depth=2
	v_bfe_u32 v4, v18, 16, 7
	v_cmp_ne_u32_e32 vcc, s71, v4
	v_mov_b32_e32 v3, 0x7f800001
	s_and_saveexec_b64 s[58:59], vcc
	s_cbranch_execz .LBB6_3058
; %bb.3057:                             ;   in Loop: Header=BB6_2967 Depth=2
	v_and_b32_e32 v3, 7, v2
	v_ffbh_u32_e32 v6, v3
	v_min_u32_e32 v8, 32, v6
	v_subrev_u32_e32 v6, 28, v8
	v_lshlrev_b64 v[6:7], v6, v[2:3]
	v_lshrrev_b32_e32 v5, 3, v4
	v_sub_u32_e32 v7, 29, v8
	v_and_b32_e32 v6, 7, v6
	v_cmp_gt_u32_e32 vcc, 8, v4
	v_cndmask_b32_e32 v4, v5, v7, vcc
	v_cndmask_b32_e32 v3, v3, v6, vcc
	v_lshlrev_b32_e32 v5, 24, v2
	v_lshlrev_b32_e32 v3, 20, v3
	v_and_b32_e32 v5, 0x80000000, v5
	v_lshl_add_u32 v4, v4, 23, v61
	v_or3_b32 v3, v5, v4, v3
.LBB6_3058:                             ;   in Loop: Header=BB6_2967 Depth=2
	s_or_b64 exec, exec, s[58:59]
.LBB6_3059:                             ;   in Loop: Header=BB6_2967 Depth=2
	s_or_b64 exec, exec, s[56:57]
.LBB6_3060:                             ;   in Loop: Header=BB6_2967 Depth=2
	s_or_b64 exec, exec, s[20:21]
	v_max_f32_e32 v3, v3, v3
	v_max_f32_e32 v1, v1, v1
	;; [unrolled: 1-line block ×3, first 2 shown]
	s_branch .LBB6_3075
.LBB6_3061:                             ;   in Loop: Header=BB6_2967 Depth=2
                                        ; implicit-def: $vgpr3
	s_cbranch_execz .LBB6_3075
; %bb.3062:                             ;   in Loop: Header=BB6_2967 Depth=2
	v_mov_b32_e32 v3, 0
	v_mov_b32_e32 v1, 0
	s_and_saveexec_b64 s[20:21], s[18:19]
	s_cbranch_execz .LBB6_3068
; %bb.3063:                             ;   in Loop: Header=BB6_2967 Depth=2
	v_cmp_ne_u16_sdwa vcc, v28, s69 src0_sel:BYTE_0 src1_sel:DWORD
	v_bfrev_b32_e32 v1, 1
	s_and_saveexec_b64 s[18:19], vcc
	s_cbranch_execz .LBB6_3067
; %bb.3064:                             ;   in Loop: Header=BB6_2967 Depth=2
	v_bfe_u32 v4, v22, 16, 7
	v_cmp_ne_u32_e32 vcc, s71, v4
	v_mov_b32_e32 v1, 0x7f800001
	s_and_saveexec_b64 s[56:57], vcc
	s_cbranch_execz .LBB6_3066
; %bb.3065:                             ;   in Loop: Header=BB6_2967 Depth=2
	v_and_b32_e32 v1, 7, v28
	v_ffbh_u32_e32 v6, v1
	v_min_u32_e32 v8, 32, v6
	v_subrev_u32_e32 v6, 28, v8
	v_lshlrev_b64 v[6:7], v6, v[28:29]
	v_lshrrev_b32_e32 v5, 3, v4
	v_sub_u32_e32 v7, 29, v8
	v_and_b32_e32 v6, 7, v6
	v_cmp_gt_u32_e32 vcc, 8, v4
	v_cndmask_b32_e32 v4, v5, v7, vcc
	v_cndmask_b32_e32 v1, v1, v6, vcc
	v_lshlrev_b32_e32 v5, 24, v28
	v_lshlrev_b32_e32 v1, 20, v1
	v_and_b32_e32 v5, 0x80000000, v5
	v_lshl_add_u32 v4, v4, 23, v61
	v_or3_b32 v1, v5, v4, v1
.LBB6_3066:                             ;   in Loop: Header=BB6_2967 Depth=2
	s_or_b64 exec, exec, s[56:57]
.LBB6_3067:                             ;   in Loop: Header=BB6_2967 Depth=2
	s_or_b64 exec, exec, s[18:19]
.LBB6_3068:                             ;   in Loop: Header=BB6_2967 Depth=2
	s_or_b64 exec, exec, s[20:21]
	v_cmp_ne_u16_sdwa s[20:21], v2, v53 src0_sel:BYTE_0 src1_sel:DWORD
	s_and_saveexec_b64 s[18:19], s[20:21]
	s_cbranch_execz .LBB6_3074
; %bb.3069:                             ;   in Loop: Header=BB6_2967 Depth=2
	v_cmp_ne_u16_sdwa vcc, v2, s69 src0_sel:BYTE_0 src1_sel:DWORD
	v_bfrev_b32_e32 v3, 1
	s_and_saveexec_b64 s[20:21], vcc
	s_cbranch_execz .LBB6_3073
; %bb.3070:                             ;   in Loop: Header=BB6_2967 Depth=2
	v_bfe_u32 v4, v18, 16, 7
	v_cmp_ne_u32_e32 vcc, s71, v4
	v_mov_b32_e32 v3, 0x7f800001
	s_and_saveexec_b64 s[56:57], vcc
	s_cbranch_execz .LBB6_3072
; %bb.3071:                             ;   in Loop: Header=BB6_2967 Depth=2
	v_and_b32_e32 v3, 7, v2
	v_ffbh_u32_e32 v6, v3
	v_min_u32_e32 v8, 32, v6
	v_subrev_u32_e32 v6, 28, v8
	v_lshlrev_b64 v[6:7], v6, v[2:3]
	v_lshrrev_b32_e32 v5, 3, v4
	v_sub_u32_e32 v7, 29, v8
	v_and_b32_e32 v6, 7, v6
	v_cmp_gt_u32_e32 vcc, 8, v4
	v_cndmask_b32_e32 v4, v5, v7, vcc
	v_cndmask_b32_e32 v3, v3, v6, vcc
	v_lshlrev_b32_e32 v2, 24, v2
	v_lshlrev_b32_e32 v3, 20, v3
	v_and_b32_e32 v2, 0x80000000, v2
	v_lshl_add_u32 v4, v4, 23, v61
	v_or3_b32 v3, v2, v4, v3
.LBB6_3072:                             ;   in Loop: Header=BB6_2967 Depth=2
	s_or_b64 exec, exec, s[56:57]
.LBB6_3073:                             ;   in Loop: Header=BB6_2967 Depth=2
	s_or_b64 exec, exec, s[20:21]
.LBB6_3074:                             ;   in Loop: Header=BB6_2967 Depth=2
	s_or_b64 exec, exec, s[18:19]
	v_max_f32_e32 v2, v3, v3
	v_max_f32_e32 v1, v1, v1
	v_min_f32_e32 v3, v1, v2
.LBB6_3075:                             ;   in Loop: Header=BB6_2967 Depth=2
	v_and_b32_sdwa v1, v3, s69 dst_sel:DWORD dst_unused:UNUSED_PAD src0_sel:BYTE_3 src1_sel:DWORD
	v_and_b32_e32 v4, 0x7f800000, v3
	v_mov_b32_e32 v5, v53
	v_and_b32_e32 v52, 0x7fffff, v3
	v_or_b32_e32 v55, 0x7e, v1
	v_cmp_ne_u64_e32 vcc, s[40:41], v[4:5]
	s_and_saveexec_b64 s[18:19], vcc
	s_xor_b64 s[20:21], exec, s[18:19]
	s_cbranch_execz .LBB6_3085
; %bb.3076:                             ;   in Loop: Header=BB6_2967 Depth=2
	v_and_b32_e32 v4, 0x7fffffff, v3
	v_mov_b32_e32 v5, v53
	v_cmp_gt_u64_e32 vcc, s[42:43], v[4:5]
	s_and_saveexec_b64 s[56:57], vcc
	s_cbranch_execz .LBB6_3084
; %bb.3077:                             ;   in Loop: Header=BB6_2967 Depth=2
	v_cmp_ne_u32_e32 vcc, 0, v3
	v_mov_b32_e32 v55, 0
	s_and_saveexec_b64 s[58:59], vcc
	s_cbranch_execz .LBB6_3083
; %bb.3078:                             ;   in Loop: Header=BB6_2967 Depth=2
	v_bfe_u32 v2, v3, 23, 8
	v_sub_u32_e32 v4, 0x79, v2
	v_cmp_gt_u32_e32 vcc, s73, v2
	v_cndmask_b32_e32 v4, 0, v4, vcc
	v_cmp_eq_u32_e32 vcc, 0, v2
	v_or_b32_e32 v5, 0x800000, v52
	v_cndmask_b32_e32 v4, v4, v32, vcc
	v_add_u32_e32 v3, 0xffffff81, v2
	v_cndmask_b32_e32 v52, v5, v52, vcc
	v_add_u32_e32 v2, 20, v4
	v_cndmask_b32_e32 v26, v3, v33, vcc
	v_lshlrev_b64 v[2:3], v2, -1
	v_add_u32_e32 v5, 19, v4
	v_lshrrev_b64 v[8:9], v4, v[52:53]
	v_not_b32_e32 v3, v3
	v_not_b32_e32 v2, v2
	v_lshlrev_b64 v[6:7], v5, 1
	v_lshrrev_b32_e32 v5, 23, v8
	v_and_b32_e32 v3, 0, v3
	v_and_b32_e32 v2, v52, v2
	v_add3_u32 v26, v4, v26, v5
	v_bfe_u32 v4, v8, 20, 1
	v_add_u32_e32 v4, -1, v4
	v_cmp_eq_u64_e32 vcc, v[2:3], v[6:7]
	v_cndmask_b32_e32 v2, 0, v4, vcc
	v_add_u32_e32 v2, v2, v8
	v_and_b32_e32 v2, 0xfffff, v2
	v_add_co_u32_e32 v2, vcc, v2, v8
	v_add_u32_e32 v5, 6, v26
	v_addc_co_u32_e32 v3, vcc, 0, v9, vcc
	v_cmp_ne_u32_e32 vcc, 0, v5
                                        ; implicit-def: $vgpr4
	s_and_saveexec_b64 s[18:19], vcc
	s_xor_b64 s[18:19], exec, s[18:19]
; %bb.3079:                             ;   in Loop: Header=BB6_2967 Depth=2
	v_add_u32_e32 v4, 7, v26
	v_cmp_lt_u64_e32 vcc, s[46:47], v[2:3]
	v_cndmask_b32_e32 v4, v5, v4, vcc
	v_cndmask_b32_e64 v5, 0, 1, vcc
	v_lshrrev_b64 v[2:3], v5, v[2:3]
; %bb.3080:                             ;   in Loop: Header=BB6_2967 Depth=2
	s_andn2_saveexec_b64 s[18:19], s[18:19]
; %bb.3081:                             ;   in Loop: Header=BB6_2967 Depth=2
	v_bfe_u32 v4, v2, 23, 1
; %bb.3082:                             ;   in Loop: Header=BB6_2967 Depth=2
	s_or_b64 exec, exec, s[18:19]
	v_lshrrev_b64 v[2:3], 20, v[2:3]
	v_cmp_gt_i32_e32 vcc, 16, v4
	v_cndmask_b32_e32 v3, 0, v3, vcc
	v_cndmask_b32_e32 v2, 7, v2, vcc
	v_cmp_eq_u64_e64 s[18:19], 0, v[2:3]
	v_min_i32_e32 v3, 15, v4
	v_cmp_eq_u32_e32 vcc, 0, v4
	v_lshlrev_b32_e32 v3, 3, v3
	v_and_or_b32 v2, v2, 7, v3
	s_and_b64 s[18:19], vcc, s[18:19]
	v_cndmask_b32_e64 v2, v2, 0, s[18:19]
	v_or_b32_e32 v55, v2, v1
.LBB6_3083:                             ;   in Loop: Header=BB6_2967 Depth=2
	s_or_b64 exec, exec, s[58:59]
.LBB6_3084:                             ;   in Loop: Header=BB6_2967 Depth=2
	s_or_b64 exec, exec, s[56:57]
                                        ; implicit-def: $vgpr3
.LBB6_3085:                             ;   in Loop: Header=BB6_2967 Depth=2
	s_andn2_saveexec_b64 s[18:19], s[20:21]
; %bb.3086:                             ;   in Loop: Header=BB6_2967 Depth=2
	v_or_b32_sdwa v1, v3, s71 dst_sel:DWORD dst_unused:UNUSED_PAD src0_sel:BYTE_3 src1_sel:DWORD
	v_cmp_eq_u64_e32 vcc, 0, v[52:53]
	v_cndmask_b32_e32 v55, v1, v55, vcc
; %bb.3087:                             ;   in Loop: Header=BB6_2967 Depth=2
	s_or_b64 exec, exec, s[18:19]
	v_lshrrev_b32_e32 v28, 24, v22
	v_lshrrev_b32_e32 v2, 24, v18
	v_cmp_lt_u32_e64 s[18:19], s45, v22
	s_and_b64 vcc, exec, s[54:55]
	s_cbranch_vccz .LBB6_3101
; %bb.3088:                             ;   in Loop: Header=BB6_2967 Depth=2
	v_mov_b32_e32 v3, 0
	v_mov_b32_e32 v1, 0
	s_and_saveexec_b64 s[20:21], s[18:19]
	s_cbranch_execz .LBB6_3094
; %bb.3089:                             ;   in Loop: Header=BB6_2967 Depth=2
	v_cmp_ne_u32_e32 vcc, s69, v28
	v_bfrev_b32_e32 v1, 1
	s_and_saveexec_b64 s[56:57], vcc
	s_cbranch_execz .LBB6_3093
; %bb.3090:                             ;   in Loop: Header=BB6_2967 Depth=2
	v_bfe_u32 v4, v22, 24, 7
	v_cmp_ne_u32_e32 vcc, s71, v4
	v_mov_b32_e32 v1, 0x7f800001
	s_and_saveexec_b64 s[58:59], vcc
	s_cbranch_execz .LBB6_3092
; %bb.3091:                             ;   in Loop: Header=BB6_2967 Depth=2
	v_and_b32_e32 v1, 7, v28
	v_ffbh_u32_e32 v6, v1
	v_min_u32_e32 v8, 32, v6
	v_subrev_u32_e32 v6, 28, v8
	v_lshlrev_b64 v[6:7], v6, v[28:29]
	v_lshrrev_b32_e32 v5, 3, v4
	v_sub_u32_e32 v7, 29, v8
	v_and_b32_e32 v6, 7, v6
	v_cmp_gt_u32_e32 vcc, 8, v4
	v_cndmask_b32_e32 v4, v5, v7, vcc
	v_cndmask_b32_e32 v1, v1, v6, vcc
	v_lshlrev_b32_e32 v5, 24, v28
	v_lshlrev_b32_e32 v1, 20, v1
	v_and_b32_e32 v5, 0x80000000, v5
	v_lshl_add_u32 v4, v4, 23, v61
	v_or3_b32 v1, v5, v4, v1
.LBB6_3092:                             ;   in Loop: Header=BB6_2967 Depth=2
	s_or_b64 exec, exec, s[58:59]
.LBB6_3093:                             ;   in Loop: Header=BB6_2967 Depth=2
	s_or_b64 exec, exec, s[56:57]
.LBB6_3094:                             ;   in Loop: Header=BB6_2967 Depth=2
	s_or_b64 exec, exec, s[20:21]
	v_cmp_lt_u32_e32 vcc, s45, v18
	s_and_saveexec_b64 s[20:21], vcc
	s_cbranch_execz .LBB6_3100
; %bb.3095:                             ;   in Loop: Header=BB6_2967 Depth=2
	v_cmp_ne_u32_e32 vcc, s69, v2
	v_bfrev_b32_e32 v3, 1
	s_and_saveexec_b64 s[56:57], vcc
	s_cbranch_execz .LBB6_3099
; %bb.3096:                             ;   in Loop: Header=BB6_2967 Depth=2
	v_bfe_u32 v4, v18, 24, 7
	v_cmp_ne_u32_e32 vcc, s71, v4
	v_mov_b32_e32 v3, 0x7f800001
	s_and_saveexec_b64 s[58:59], vcc
	s_cbranch_execz .LBB6_3098
; %bb.3097:                             ;   in Loop: Header=BB6_2967 Depth=2
	v_and_b32_e32 v3, 7, v2
	v_ffbh_u32_e32 v6, v3
	v_min_u32_e32 v8, 32, v6
	v_subrev_u32_e32 v6, 28, v8
	v_lshlrev_b64 v[6:7], v6, v[2:3]
	v_lshrrev_b32_e32 v5, 3, v4
	v_sub_u32_e32 v7, 29, v8
	v_and_b32_e32 v6, 7, v6
	v_cmp_gt_u32_e32 vcc, 8, v4
	v_cndmask_b32_e32 v4, v5, v7, vcc
	v_cndmask_b32_e32 v3, v3, v6, vcc
	v_lshlrev_b32_e32 v5, 24, v2
	v_lshlrev_b32_e32 v3, 20, v3
	v_and_b32_e32 v5, 0x80000000, v5
	v_lshl_add_u32 v4, v4, 23, v61
	v_or3_b32 v3, v5, v4, v3
.LBB6_3098:                             ;   in Loop: Header=BB6_2967 Depth=2
	s_or_b64 exec, exec, s[58:59]
.LBB6_3099:                             ;   in Loop: Header=BB6_2967 Depth=2
	s_or_b64 exec, exec, s[56:57]
.LBB6_3100:                             ;   in Loop: Header=BB6_2967 Depth=2
	s_or_b64 exec, exec, s[20:21]
	v_max_f32_e32 v3, v3, v3
	v_max_f32_e32 v1, v1, v1
	;; [unrolled: 1-line block ×3, first 2 shown]
	s_branch .LBB6_3115
.LBB6_3101:                             ;   in Loop: Header=BB6_2967 Depth=2
                                        ; implicit-def: $vgpr3
	s_cbranch_execz .LBB6_3115
; %bb.3102:                             ;   in Loop: Header=BB6_2967 Depth=2
	v_mov_b32_e32 v3, 0
	v_mov_b32_e32 v1, 0
	s_and_saveexec_b64 s[20:21], s[18:19]
	s_cbranch_execz .LBB6_3108
; %bb.3103:                             ;   in Loop: Header=BB6_2967 Depth=2
	v_cmp_ne_u32_e32 vcc, s69, v28
	v_bfrev_b32_e32 v1, 1
	s_and_saveexec_b64 s[18:19], vcc
	s_cbranch_execz .LBB6_3107
; %bb.3104:                             ;   in Loop: Header=BB6_2967 Depth=2
	v_bfe_u32 v4, v22, 24, 7
	v_cmp_ne_u32_e32 vcc, s71, v4
	v_mov_b32_e32 v1, 0x7f800001
	s_and_saveexec_b64 s[56:57], vcc
	s_cbranch_execz .LBB6_3106
; %bb.3105:                             ;   in Loop: Header=BB6_2967 Depth=2
	v_and_b32_e32 v1, 7, v28
	v_ffbh_u32_e32 v6, v1
	v_min_u32_e32 v8, 32, v6
	v_subrev_u32_e32 v6, 28, v8
	v_lshlrev_b64 v[6:7], v6, v[28:29]
	v_lshrrev_b32_e32 v5, 3, v4
	v_sub_u32_e32 v7, 29, v8
	v_and_b32_e32 v6, 7, v6
	v_cmp_gt_u32_e32 vcc, 8, v4
	v_cndmask_b32_e32 v4, v5, v7, vcc
	v_cndmask_b32_e32 v1, v1, v6, vcc
	v_lshlrev_b32_e32 v5, 24, v28
	v_lshlrev_b32_e32 v1, 20, v1
	v_and_b32_e32 v5, 0x80000000, v5
	v_lshl_add_u32 v4, v4, 23, v61
	v_or3_b32 v1, v5, v4, v1
.LBB6_3106:                             ;   in Loop: Header=BB6_2967 Depth=2
	s_or_b64 exec, exec, s[56:57]
.LBB6_3107:                             ;   in Loop: Header=BB6_2967 Depth=2
	s_or_b64 exec, exec, s[18:19]
.LBB6_3108:                             ;   in Loop: Header=BB6_2967 Depth=2
	s_or_b64 exec, exec, s[20:21]
	v_cmp_lt_u32_e32 vcc, s45, v18
	s_and_saveexec_b64 s[18:19], vcc
	s_cbranch_execz .LBB6_3114
; %bb.3109:                             ;   in Loop: Header=BB6_2967 Depth=2
	v_cmp_ne_u32_e32 vcc, s69, v2
	v_bfrev_b32_e32 v3, 1
	s_and_saveexec_b64 s[20:21], vcc
	s_cbranch_execz .LBB6_3113
; %bb.3110:                             ;   in Loop: Header=BB6_2967 Depth=2
	v_bfe_u32 v4, v18, 24, 7
	v_cmp_ne_u32_e32 vcc, s71, v4
	v_mov_b32_e32 v3, 0x7f800001
	s_and_saveexec_b64 s[56:57], vcc
	s_cbranch_execz .LBB6_3112
; %bb.3111:                             ;   in Loop: Header=BB6_2967 Depth=2
	v_and_b32_e32 v3, 7, v2
	v_ffbh_u32_e32 v6, v3
	v_min_u32_e32 v8, 32, v6
	v_subrev_u32_e32 v6, 28, v8
	v_lshlrev_b64 v[6:7], v6, v[2:3]
	v_lshrrev_b32_e32 v5, 3, v4
	v_sub_u32_e32 v7, 29, v8
	v_and_b32_e32 v6, 7, v6
	v_cmp_gt_u32_e32 vcc, 8, v4
	v_cndmask_b32_e32 v4, v5, v7, vcc
	v_cndmask_b32_e32 v3, v3, v6, vcc
	v_lshlrev_b32_e32 v2, 24, v2
	v_lshlrev_b32_e32 v3, 20, v3
	v_and_b32_e32 v2, 0x80000000, v2
	v_lshl_add_u32 v4, v4, 23, v61
	v_or3_b32 v3, v2, v4, v3
.LBB6_3112:                             ;   in Loop: Header=BB6_2967 Depth=2
	s_or_b64 exec, exec, s[56:57]
.LBB6_3113:                             ;   in Loop: Header=BB6_2967 Depth=2
	s_or_b64 exec, exec, s[20:21]
.LBB6_3114:                             ;   in Loop: Header=BB6_2967 Depth=2
	s_or_b64 exec, exec, s[18:19]
	v_max_f32_e32 v2, v3, v3
	v_max_f32_e32 v1, v1, v1
	v_min_f32_e32 v3, v1, v2
.LBB6_3115:                             ;   in Loop: Header=BB6_2967 Depth=2
	v_and_b32_sdwa v1, v3, s69 dst_sel:DWORD dst_unused:UNUSED_PAD src0_sel:BYTE_3 src1_sel:DWORD
	v_and_b32_e32 v4, 0x7f800000, v3
	v_mov_b32_e32 v5, v53
	v_and_b32_e32 v52, 0x7fffff, v3
	v_or_b32_e32 v34, 0x7e, v1
	v_cmp_ne_u64_e32 vcc, s[40:41], v[4:5]
	s_and_saveexec_b64 s[18:19], vcc
	s_xor_b64 s[20:21], exec, s[18:19]
	s_cbranch_execz .LBB6_3125
; %bb.3116:                             ;   in Loop: Header=BB6_2967 Depth=2
	v_and_b32_e32 v4, 0x7fffffff, v3
	v_mov_b32_e32 v5, v53
	v_cmp_gt_u64_e32 vcc, s[42:43], v[4:5]
	s_and_saveexec_b64 s[56:57], vcc
	s_cbranch_execz .LBB6_3124
; %bb.3117:                             ;   in Loop: Header=BB6_2967 Depth=2
	v_cmp_ne_u32_e32 vcc, 0, v3
	v_mov_b32_e32 v34, 0
	s_and_saveexec_b64 s[58:59], vcc
	s_cbranch_execz .LBB6_3123
; %bb.3118:                             ;   in Loop: Header=BB6_2967 Depth=2
	v_bfe_u32 v2, v3, 23, 8
	v_sub_u32_e32 v4, 0x79, v2
	v_cmp_gt_u32_e32 vcc, s73, v2
	v_cndmask_b32_e32 v4, 0, v4, vcc
	v_cmp_eq_u32_e32 vcc, 0, v2
	v_or_b32_e32 v5, 0x800000, v52
	v_cndmask_b32_e32 v4, v4, v32, vcc
	v_add_u32_e32 v3, 0xffffff81, v2
	v_cndmask_b32_e32 v52, v5, v52, vcc
	v_add_u32_e32 v2, 20, v4
	v_cndmask_b32_e32 v26, v3, v33, vcc
	v_lshlrev_b64 v[2:3], v2, -1
	v_add_u32_e32 v5, 19, v4
	v_lshrrev_b64 v[8:9], v4, v[52:53]
	v_not_b32_e32 v3, v3
	v_not_b32_e32 v2, v2
	v_lshlrev_b64 v[6:7], v5, 1
	v_lshrrev_b32_e32 v5, 23, v8
	v_and_b32_e32 v3, 0, v3
	v_and_b32_e32 v2, v52, v2
	v_add3_u32 v26, v4, v26, v5
	v_bfe_u32 v4, v8, 20, 1
	v_add_u32_e32 v4, -1, v4
	v_cmp_eq_u64_e32 vcc, v[2:3], v[6:7]
	v_cndmask_b32_e32 v2, 0, v4, vcc
	v_add_u32_e32 v2, v2, v8
	v_and_b32_e32 v2, 0xfffff, v2
	v_add_co_u32_e32 v2, vcc, v2, v8
	v_add_u32_e32 v5, 6, v26
	v_addc_co_u32_e32 v3, vcc, 0, v9, vcc
	v_cmp_ne_u32_e32 vcc, 0, v5
                                        ; implicit-def: $vgpr4
	s_and_saveexec_b64 s[18:19], vcc
	s_xor_b64 s[18:19], exec, s[18:19]
; %bb.3119:                             ;   in Loop: Header=BB6_2967 Depth=2
	v_add_u32_e32 v4, 7, v26
	v_cmp_lt_u64_e32 vcc, s[46:47], v[2:3]
	v_cndmask_b32_e32 v4, v5, v4, vcc
	v_cndmask_b32_e64 v5, 0, 1, vcc
	v_lshrrev_b64 v[2:3], v5, v[2:3]
; %bb.3120:                             ;   in Loop: Header=BB6_2967 Depth=2
	s_andn2_saveexec_b64 s[18:19], s[18:19]
; %bb.3121:                             ;   in Loop: Header=BB6_2967 Depth=2
	v_bfe_u32 v4, v2, 23, 1
; %bb.3122:                             ;   in Loop: Header=BB6_2967 Depth=2
	s_or_b64 exec, exec, s[18:19]
	v_lshrrev_b64 v[2:3], 20, v[2:3]
	v_cmp_gt_i32_e32 vcc, 16, v4
	v_cndmask_b32_e32 v3, 0, v3, vcc
	v_cndmask_b32_e32 v2, 7, v2, vcc
	v_cmp_eq_u64_e64 s[18:19], 0, v[2:3]
	v_min_i32_e32 v3, 15, v4
	v_cmp_eq_u32_e32 vcc, 0, v4
	v_lshlrev_b32_e32 v3, 3, v3
	v_and_or_b32 v2, v2, 7, v3
	s_and_b64 s[18:19], vcc, s[18:19]
	v_cndmask_b32_e64 v2, v2, 0, s[18:19]
	v_or_b32_e32 v34, v2, v1
.LBB6_3123:                             ;   in Loop: Header=BB6_2967 Depth=2
	s_or_b64 exec, exec, s[58:59]
.LBB6_3124:                             ;   in Loop: Header=BB6_2967 Depth=2
	s_or_b64 exec, exec, s[56:57]
                                        ; implicit-def: $vgpr3
.LBB6_3125:                             ;   in Loop: Header=BB6_2967 Depth=2
	s_andn2_saveexec_b64 s[18:19], s[20:21]
; %bb.3126:                             ;   in Loop: Header=BB6_2967 Depth=2
	v_or_b32_sdwa v1, v3, s71 dst_sel:DWORD dst_unused:UNUSED_PAD src0_sel:BYTE_3 src1_sel:DWORD
	v_cmp_eq_u64_e32 vcc, 0, v[52:53]
	v_cndmask_b32_e32 v34, v1, v34, vcc
; %bb.3127:                             ;   in Loop: Header=BB6_2967 Depth=2
	s_or_b64 exec, exec, s[18:19]
	v_mov_b32_e32 v52, v23
	v_mov_b32_e32 v2, v19
	;; [unrolled: 1-line block ×3, first 2 shown]
	v_cmp_ne_u16_sdwa s[18:19], v23, v53 src0_sel:BYTE_0 src1_sel:DWORD
	s_and_b64 vcc, exec, s[54:55]
	s_cbranch_vccz .LBB6_3141
; %bb.3128:                             ;   in Loop: Header=BB6_2967 Depth=2
	v_mov_b32_e32 v4, 0
	v_mov_b32_e32 v1, 0
	s_and_saveexec_b64 s[20:21], s[18:19]
	s_cbranch_execz .LBB6_3134
; %bb.3129:                             ;   in Loop: Header=BB6_2967 Depth=2
	v_cmp_ne_u16_sdwa vcc, v23, s69 src0_sel:BYTE_0 src1_sel:DWORD
	v_bfrev_b32_e32 v1, 1
	s_and_saveexec_b64 s[56:57], vcc
	s_cbranch_execz .LBB6_3133
; %bb.3130:                             ;   in Loop: Header=BB6_2967 Depth=2
	v_and_b32_e32 v5, 0x7f, v23
	v_cmp_ne_u32_e32 vcc, s71, v5
	v_mov_b32_e32 v1, 0x7f800001
	s_and_saveexec_b64 s[58:59], vcc
	s_cbranch_execz .LBB6_3132
; %bb.3131:                             ;   in Loop: Header=BB6_2967 Depth=2
	v_and_b32_e32 v1, 7, v23
	v_ffbh_u32_e32 v1, v1
	v_min_u32_e32 v1, 32, v1
	v_subrev_u32_e32 v7, 28, v1
	v_cmp_gt_u32_e32 vcc, 8, v5
	v_lshrrev_b32_e32 v6, 3, v5
	v_sub_u32_e32 v1, 29, v1
	v_cndmask_b32_e32 v5, 0, v7, vcc
	v_cndmask_b32_e32 v1, v6, v1, vcc
	v_lshlrev_b64 v[6:7], v5, v[52:53]
	v_lshlrev_b32_e32 v5, 20, v6
	v_lshlrev_b32_e32 v6, 24, v52
	v_and_b32_e32 v5, 0x700000, v5
	v_and_b32_e32 v6, 0x80000000, v6
	v_lshl_add_u32 v1, v1, 23, v61
	v_or3_b32 v1, v6, v1, v5
.LBB6_3132:                             ;   in Loop: Header=BB6_2967 Depth=2
	s_or_b64 exec, exec, s[58:59]
.LBB6_3133:                             ;   in Loop: Header=BB6_2967 Depth=2
	s_or_b64 exec, exec, s[56:57]
.LBB6_3134:                             ;   in Loop: Header=BB6_2967 Depth=2
	s_or_b64 exec, exec, s[20:21]
	v_cmp_ne_u16_sdwa vcc, v19, v53 src0_sel:BYTE_0 src1_sel:DWORD
	s_and_saveexec_b64 s[20:21], vcc
	s_cbranch_execz .LBB6_3140
; %bb.3135:                             ;   in Loop: Header=BB6_2967 Depth=2
	v_cmp_ne_u16_sdwa vcc, v19, s69 src0_sel:BYTE_0 src1_sel:DWORD
	v_bfrev_b32_e32 v4, 1
	s_and_saveexec_b64 s[56:57], vcc
	s_cbranch_execz .LBB6_3139
; %bb.3136:                             ;   in Loop: Header=BB6_2967 Depth=2
	v_and_b32_e32 v5, 0x7f, v19
	v_cmp_ne_u32_e32 vcc, s71, v5
	v_mov_b32_e32 v4, 0x7f800001
	s_and_saveexec_b64 s[58:59], vcc
	s_cbranch_execz .LBB6_3138
; %bb.3137:                             ;   in Loop: Header=BB6_2967 Depth=2
	v_and_b32_e32 v4, 7, v19
	v_ffbh_u32_e32 v4, v4
	v_min_u32_e32 v4, 32, v4
	v_lshrrev_b32_e32 v6, 3, v5
	v_subrev_u32_e32 v7, 28, v4
	v_sub_u32_e32 v4, 29, v4
	v_cmp_gt_u32_e32 vcc, 8, v5
	v_cndmask_b32_e32 v6, v6, v4, vcc
	v_cndmask_b32_e32 v4, 0, v7, vcc
	v_lshlrev_b64 v[4:5], v4, v[2:3]
	v_lshlrev_b32_e32 v4, 20, v4
	v_lshlrev_b32_e32 v5, 24, v2
	v_and_b32_e32 v4, 0x700000, v4
	v_and_b32_e32 v5, 0x80000000, v5
	v_lshl_add_u32 v6, v6, 23, v61
	v_or3_b32 v4, v5, v6, v4
.LBB6_3138:                             ;   in Loop: Header=BB6_2967 Depth=2
	s_or_b64 exec, exec, s[58:59]
.LBB6_3139:                             ;   in Loop: Header=BB6_2967 Depth=2
	s_or_b64 exec, exec, s[56:57]
.LBB6_3140:                             ;   in Loop: Header=BB6_2967 Depth=2
	s_or_b64 exec, exec, s[20:21]
	v_max_f32_e32 v4, v4, v4
	v_max_f32_e32 v1, v1, v1
	;; [unrolled: 1-line block ×3, first 2 shown]
	s_branch .LBB6_3155
.LBB6_3141:                             ;   in Loop: Header=BB6_2967 Depth=2
                                        ; implicit-def: $vgpr4
	s_cbranch_execz .LBB6_3155
; %bb.3142:                             ;   in Loop: Header=BB6_2967 Depth=2
	v_mov_b32_e32 v4, 0
	v_mov_b32_e32 v1, 0
	s_and_saveexec_b64 s[20:21], s[18:19]
	s_cbranch_execz .LBB6_3148
; %bb.3143:                             ;   in Loop: Header=BB6_2967 Depth=2
	v_cmp_ne_u16_sdwa vcc, v23, s69 src0_sel:BYTE_0 src1_sel:DWORD
	v_bfrev_b32_e32 v1, 1
	s_and_saveexec_b64 s[18:19], vcc
	s_cbranch_execz .LBB6_3147
; %bb.3144:                             ;   in Loop: Header=BB6_2967 Depth=2
	v_and_b32_e32 v5, 0x7f, v23
	v_cmp_ne_u32_e32 vcc, s71, v5
	v_mov_b32_e32 v1, 0x7f800001
	s_and_saveexec_b64 s[56:57], vcc
	s_cbranch_execz .LBB6_3146
; %bb.3145:                             ;   in Loop: Header=BB6_2967 Depth=2
	v_and_b32_e32 v1, 7, v23
	v_ffbh_u32_e32 v1, v1
	v_min_u32_e32 v1, 32, v1
	v_subrev_u32_e32 v7, 28, v1
	v_cmp_gt_u32_e32 vcc, 8, v5
	v_lshrrev_b32_e32 v6, 3, v5
	v_sub_u32_e32 v1, 29, v1
	v_cndmask_b32_e32 v5, 0, v7, vcc
	v_cndmask_b32_e32 v1, v6, v1, vcc
	v_lshlrev_b64 v[6:7], v5, v[52:53]
	v_lshlrev_b32_e32 v5, 20, v6
	v_lshlrev_b32_e32 v6, 24, v52
	v_and_b32_e32 v5, 0x700000, v5
	v_and_b32_e32 v6, 0x80000000, v6
	v_lshl_add_u32 v1, v1, 23, v61
	v_or3_b32 v1, v6, v1, v5
.LBB6_3146:                             ;   in Loop: Header=BB6_2967 Depth=2
	s_or_b64 exec, exec, s[56:57]
.LBB6_3147:                             ;   in Loop: Header=BB6_2967 Depth=2
	s_or_b64 exec, exec, s[18:19]
.LBB6_3148:                             ;   in Loop: Header=BB6_2967 Depth=2
	s_or_b64 exec, exec, s[20:21]
	v_cmp_ne_u16_sdwa s[20:21], v19, v53 src0_sel:BYTE_0 src1_sel:DWORD
	s_and_saveexec_b64 s[18:19], s[20:21]
	s_cbranch_execz .LBB6_3154
; %bb.3149:                             ;   in Loop: Header=BB6_2967 Depth=2
	v_cmp_ne_u16_sdwa vcc, v19, s69 src0_sel:BYTE_0 src1_sel:DWORD
	v_bfrev_b32_e32 v4, 1
	s_and_saveexec_b64 s[20:21], vcc
	s_cbranch_execz .LBB6_3153
; %bb.3150:                             ;   in Loop: Header=BB6_2967 Depth=2
	v_and_b32_e32 v5, 0x7f, v19
	v_cmp_ne_u32_e32 vcc, s71, v5
	v_mov_b32_e32 v4, 0x7f800001
	s_and_saveexec_b64 s[56:57], vcc
	s_cbranch_execz .LBB6_3152
; %bb.3151:                             ;   in Loop: Header=BB6_2967 Depth=2
	v_and_b32_e32 v4, 7, v19
	v_ffbh_u32_e32 v4, v4
	v_min_u32_e32 v4, 32, v4
	v_lshrrev_b32_e32 v6, 3, v5
	v_subrev_u32_e32 v7, 28, v4
	v_sub_u32_e32 v4, 29, v4
	v_cmp_gt_u32_e32 vcc, 8, v5
	v_cndmask_b32_e32 v6, v6, v4, vcc
	v_cndmask_b32_e32 v4, 0, v7, vcc
	v_lshlrev_b64 v[4:5], v4, v[2:3]
	v_lshlrev_b32_e32 v3, 20, v4
	v_lshlrev_b32_e32 v4, 24, v2
	v_and_b32_e32 v3, 0x700000, v3
	v_and_b32_e32 v4, 0x80000000, v4
	v_lshl_add_u32 v5, v6, 23, v61
	v_or3_b32 v4, v4, v5, v3
.LBB6_3152:                             ;   in Loop: Header=BB6_2967 Depth=2
	s_or_b64 exec, exec, s[56:57]
.LBB6_3153:                             ;   in Loop: Header=BB6_2967 Depth=2
	s_or_b64 exec, exec, s[20:21]
.LBB6_3154:                             ;   in Loop: Header=BB6_2967 Depth=2
	s_or_b64 exec, exec, s[18:19]
	v_max_f32_e32 v3, v4, v4
	v_max_f32_e32 v1, v1, v1
	v_min_f32_e32 v4, v1, v3
.LBB6_3155:                             ;   in Loop: Header=BB6_2967 Depth=2
	v_and_b32_sdwa v1, v4, s69 dst_sel:DWORD dst_unused:UNUSED_PAD src0_sel:BYTE_3 src1_sel:DWORD
	v_and_b32_e32 v6, 0x7f800000, v4
	v_mov_b32_e32 v7, v53
	v_and_b32_e32 v30, 0x7fffff, v4
	v_mov_b32_e32 v31, v53
	v_or_b32_e32 v35, 0x7e, v1
	v_cmp_ne_u64_e32 vcc, s[40:41], v[6:7]
	s_and_saveexec_b64 s[18:19], vcc
	s_xor_b64 s[20:21], exec, s[18:19]
	s_cbranch_execz .LBB6_3165
; %bb.3156:                             ;   in Loop: Header=BB6_2967 Depth=2
	v_and_b32_e32 v6, 0x7fffffff, v4
	v_mov_b32_e32 v7, v53
	v_cmp_gt_u64_e32 vcc, s[42:43], v[6:7]
	s_and_saveexec_b64 s[56:57], vcc
	s_cbranch_execz .LBB6_3164
; %bb.3157:                             ;   in Loop: Header=BB6_2967 Depth=2
	v_cmp_ne_u32_e32 vcc, 0, v4
	v_mov_b32_e32 v35, 0
	s_and_saveexec_b64 s[58:59], vcc
	s_cbranch_execz .LBB6_3163
; %bb.3158:                             ;   in Loop: Header=BB6_2967 Depth=2
	v_bfe_u32 v3, v4, 23, 8
	v_sub_u32_e32 v5, 0x79, v3
	v_cmp_gt_u32_e32 vcc, s73, v3
	v_cndmask_b32_e32 v5, 0, v5, vcc
	v_cmp_eq_u32_e32 vcc, 0, v3
	v_add_u32_e32 v4, 0xffffff81, v3
	v_cndmask_b32_e32 v28, v5, v32, vcc
	v_cndmask_b32_e32 v3, v4, v33, vcc
	v_add_u32_e32 v4, 20, v28
	v_or_b32_e32 v6, 0x800000, v30
	v_lshlrev_b64 v[4:5], v4, -1
	v_cndmask_b32_e32 v30, v6, v30, vcc
	v_not_b32_e32 v4, v4
	v_and_b32_e32 v6, v30, v4
	v_add_u32_e32 v4, 19, v28
	v_lshrrev_b64 v[26:27], v28, v[30:31]
	v_not_b32_e32 v5, v5
	v_lshlrev_b64 v[8:9], v4, 1
	v_lshrrev_b32_e32 v4, 23, v26
	v_and_b32_e32 v7, 0, v5
	v_add3_u32 v5, v28, v3, v4
	v_bfe_u32 v3, v26, 20, 1
	v_add_u32_e32 v3, -1, v3
	v_cmp_eq_u64_e32 vcc, v[6:7], v[8:9]
	v_cndmask_b32_e32 v3, 0, v3, vcc
	v_add_u32_e32 v3, v3, v26
	v_and_b32_e32 v3, 0xfffff, v3
	v_add_co_u32_e32 v30, vcc, v3, v26
	v_add_u32_e32 v4, 6, v5
	v_addc_co_u32_e32 v31, vcc, 0, v27, vcc
	v_cmp_ne_u32_e32 vcc, 0, v4
                                        ; implicit-def: $vgpr3
	s_and_saveexec_b64 s[18:19], vcc
	s_xor_b64 s[18:19], exec, s[18:19]
; %bb.3159:                             ;   in Loop: Header=BB6_2967 Depth=2
	v_add_u32_e32 v3, 7, v5
	v_cmp_lt_u64_e32 vcc, s[46:47], v[30:31]
	v_cndmask_b32_e32 v3, v4, v3, vcc
	v_cndmask_b32_e64 v4, 0, 1, vcc
	v_lshrrev_b64 v[30:31], v4, v[30:31]
; %bb.3160:                             ;   in Loop: Header=BB6_2967 Depth=2
	s_andn2_saveexec_b64 s[18:19], s[18:19]
; %bb.3161:                             ;   in Loop: Header=BB6_2967 Depth=2
	v_bfe_u32 v3, v30, 23, 1
; %bb.3162:                             ;   in Loop: Header=BB6_2967 Depth=2
	s_or_b64 exec, exec, s[18:19]
	v_lshrrev_b64 v[4:5], 20, v[30:31]
	v_cmp_gt_i32_e32 vcc, 16, v3
	v_cndmask_b32_e32 v5, 0, v5, vcc
	v_cndmask_b32_e32 v4, 7, v4, vcc
	v_cmp_eq_u32_e32 vcc, 0, v3
	v_min_i32_e32 v3, 15, v3
	v_cmp_eq_u64_e64 s[18:19], 0, v[4:5]
	v_lshlrev_b32_e32 v3, 3, v3
	v_and_or_b32 v3, v4, 7, v3
	s_and_b64 s[18:19], vcc, s[18:19]
	v_cndmask_b32_e64 v3, v3, 0, s[18:19]
	v_or_b32_e32 v35, v3, v1
.LBB6_3163:                             ;   in Loop: Header=BB6_2967 Depth=2
	s_or_b64 exec, exec, s[58:59]
.LBB6_3164:                             ;   in Loop: Header=BB6_2967 Depth=2
	s_or_b64 exec, exec, s[56:57]
                                        ; implicit-def: $vgpr4
                                        ; implicit-def: $vgpr30_vgpr31
.LBB6_3165:                             ;   in Loop: Header=BB6_2967 Depth=2
	s_andn2_saveexec_b64 s[18:19], s[20:21]
; %bb.3166:                             ;   in Loop: Header=BB6_2967 Depth=2
	v_or_b32_sdwa v1, v4, s71 dst_sel:DWORD dst_unused:UNUSED_PAD src0_sel:BYTE_3 src1_sel:DWORD
	v_cmp_eq_u64_e32 vcc, 0, v[30:31]
	v_cndmask_b32_e32 v35, v1, v35, vcc
; %bb.3167:                             ;   in Loop: Header=BB6_2967 Depth=2
	s_or_b64 exec, exec, s[18:19]
	v_lshrrev_b16_e32 v30, 8, v52
	v_lshrrev_b16_e32 v28, 8, v2
	v_cmp_ne_u16_e64 s[18:19], 0, v30
	s_and_b64 vcc, exec, s[54:55]
	s_cbranch_vccz .LBB6_3181
; %bb.3168:                             ;   in Loop: Header=BB6_2967 Depth=2
	v_mov_b32_e32 v3, 0
	v_mov_b32_e32 v1, 0
	s_and_saveexec_b64 s[20:21], s[18:19]
	s_cbranch_execz .LBB6_3174
; %bb.3169:                             ;   in Loop: Header=BB6_2967 Depth=2
	v_cmp_ne_u16_e32 vcc, s69, v30
	v_bfrev_b32_e32 v1, 1
	s_and_saveexec_b64 s[56:57], vcc
	s_cbranch_execz .LBB6_3173
; %bb.3170:                             ;   in Loop: Header=BB6_2967 Depth=2
	v_and_b32_e32 v4, 0x7f, v30
	v_cmp_ne_u32_e32 vcc, s71, v4
	v_mov_b32_e32 v1, 0x7f800001
	s_and_saveexec_b64 s[58:59], vcc
	s_cbranch_execz .LBB6_3172
; %bb.3171:                             ;   in Loop: Header=BB6_2967 Depth=2
	v_and_b32_e32 v1, 7, v30
	v_ffbh_u32_e32 v6, v1
	v_min_u32_e32 v8, 32, v6
	v_subrev_u32_e32 v6, 28, v8
	v_lshlrev_b64 v[6:7], v6, v[30:31]
	v_lshrrev_b32_e32 v5, 3, v4
	v_sub_u32_e32 v7, 29, v8
	v_and_b32_e32 v6, 7, v6
	v_cmp_gt_u32_e32 vcc, 8, v4
	v_cndmask_b32_e32 v4, v5, v7, vcc
	v_cndmask_b32_e32 v1, v1, v6, vcc
	v_lshlrev_b32_e32 v5, 16, v52
	v_lshlrev_b32_e32 v1, 20, v1
	v_and_b32_e32 v5, 0x80000000, v5
	v_lshl_add_u32 v4, v4, 23, v61
	v_or3_b32 v1, v5, v4, v1
.LBB6_3172:                             ;   in Loop: Header=BB6_2967 Depth=2
	s_or_b64 exec, exec, s[58:59]
.LBB6_3173:                             ;   in Loop: Header=BB6_2967 Depth=2
	s_or_b64 exec, exec, s[56:57]
.LBB6_3174:                             ;   in Loop: Header=BB6_2967 Depth=2
	s_or_b64 exec, exec, s[20:21]
	v_cmp_ne_u16_e32 vcc, 0, v28
	s_and_saveexec_b64 s[20:21], vcc
	s_cbranch_execz .LBB6_3180
; %bb.3175:                             ;   in Loop: Header=BB6_2967 Depth=2
	v_cmp_ne_u16_e32 vcc, s69, v28
	v_bfrev_b32_e32 v3, 1
	s_and_saveexec_b64 s[56:57], vcc
	s_cbranch_execz .LBB6_3179
; %bb.3176:                             ;   in Loop: Header=BB6_2967 Depth=2
	v_and_b32_e32 v4, 0x7f, v28
	v_cmp_ne_u32_e32 vcc, s71, v4
	v_mov_b32_e32 v3, 0x7f800001
	s_and_saveexec_b64 s[58:59], vcc
	s_cbranch_execz .LBB6_3178
; %bb.3177:                             ;   in Loop: Header=BB6_2967 Depth=2
	v_and_b32_e32 v3, 7, v28
	v_ffbh_u32_e32 v6, v3
	v_min_u32_e32 v8, 32, v6
	v_subrev_u32_e32 v6, 28, v8
	v_lshlrev_b64 v[6:7], v6, v[28:29]
	v_lshrrev_b32_e32 v5, 3, v4
	v_sub_u32_e32 v7, 29, v8
	v_and_b32_e32 v6, 7, v6
	v_cmp_gt_u32_e32 vcc, 8, v4
	v_cndmask_b32_e32 v4, v5, v7, vcc
	v_cndmask_b32_e32 v3, v3, v6, vcc
	v_lshlrev_b32_e32 v5, 16, v2
	v_lshlrev_b32_e32 v3, 20, v3
	v_and_b32_e32 v5, 0x80000000, v5
	v_lshl_add_u32 v4, v4, 23, v61
	v_or3_b32 v3, v5, v4, v3
.LBB6_3178:                             ;   in Loop: Header=BB6_2967 Depth=2
	s_or_b64 exec, exec, s[58:59]
.LBB6_3179:                             ;   in Loop: Header=BB6_2967 Depth=2
	s_or_b64 exec, exec, s[56:57]
.LBB6_3180:                             ;   in Loop: Header=BB6_2967 Depth=2
	s_or_b64 exec, exec, s[20:21]
	v_max_f32_e32 v3, v3, v3
	v_max_f32_e32 v1, v1, v1
	;; [unrolled: 1-line block ×3, first 2 shown]
	s_branch .LBB6_3195
.LBB6_3181:                             ;   in Loop: Header=BB6_2967 Depth=2
                                        ; implicit-def: $vgpr3
	s_cbranch_execz .LBB6_3195
; %bb.3182:                             ;   in Loop: Header=BB6_2967 Depth=2
	v_mov_b32_e32 v3, 0
	v_mov_b32_e32 v1, 0
	s_and_saveexec_b64 s[20:21], s[18:19]
	s_cbranch_execz .LBB6_3188
; %bb.3183:                             ;   in Loop: Header=BB6_2967 Depth=2
	v_cmp_ne_u16_e32 vcc, s69, v30
	v_bfrev_b32_e32 v1, 1
	s_and_saveexec_b64 s[18:19], vcc
	s_cbranch_execz .LBB6_3187
; %bb.3184:                             ;   in Loop: Header=BB6_2967 Depth=2
	v_and_b32_e32 v4, 0x7f, v30
	v_cmp_ne_u32_e32 vcc, s71, v4
	v_mov_b32_e32 v1, 0x7f800001
	s_and_saveexec_b64 s[56:57], vcc
	s_cbranch_execz .LBB6_3186
; %bb.3185:                             ;   in Loop: Header=BB6_2967 Depth=2
	v_and_b32_e32 v1, 7, v30
	v_ffbh_u32_e32 v6, v1
	v_min_u32_e32 v8, 32, v6
	v_subrev_u32_e32 v6, 28, v8
	v_lshlrev_b64 v[6:7], v6, v[30:31]
	v_lshrrev_b32_e32 v5, 3, v4
	v_sub_u32_e32 v7, 29, v8
	v_and_b32_e32 v6, 7, v6
	v_cmp_gt_u32_e32 vcc, 8, v4
	v_cndmask_b32_e32 v4, v5, v7, vcc
	v_cndmask_b32_e32 v1, v1, v6, vcc
	v_lshlrev_b32_e32 v5, 16, v52
	v_lshlrev_b32_e32 v1, 20, v1
	v_and_b32_e32 v5, 0x80000000, v5
	v_lshl_add_u32 v4, v4, 23, v61
	v_or3_b32 v1, v5, v4, v1
.LBB6_3186:                             ;   in Loop: Header=BB6_2967 Depth=2
	s_or_b64 exec, exec, s[56:57]
.LBB6_3187:                             ;   in Loop: Header=BB6_2967 Depth=2
	s_or_b64 exec, exec, s[18:19]
.LBB6_3188:                             ;   in Loop: Header=BB6_2967 Depth=2
	s_or_b64 exec, exec, s[20:21]
	v_cmp_ne_u16_e32 vcc, 0, v28
	s_and_saveexec_b64 s[18:19], vcc
	s_cbranch_execz .LBB6_3194
; %bb.3189:                             ;   in Loop: Header=BB6_2967 Depth=2
	v_cmp_ne_u16_e32 vcc, s69, v28
	v_bfrev_b32_e32 v3, 1
	s_and_saveexec_b64 s[20:21], vcc
	s_cbranch_execz .LBB6_3193
; %bb.3190:                             ;   in Loop: Header=BB6_2967 Depth=2
	v_and_b32_e32 v4, 0x7f, v28
	v_cmp_ne_u32_e32 vcc, s71, v4
	v_mov_b32_e32 v3, 0x7f800001
	s_and_saveexec_b64 s[56:57], vcc
	s_cbranch_execz .LBB6_3192
; %bb.3191:                             ;   in Loop: Header=BB6_2967 Depth=2
	v_and_b32_e32 v3, 7, v28
	v_ffbh_u32_e32 v6, v3
	v_min_u32_e32 v8, 32, v6
	v_subrev_u32_e32 v6, 28, v8
	v_lshlrev_b64 v[6:7], v6, v[28:29]
	v_lshrrev_b32_e32 v5, 3, v4
	v_sub_u32_e32 v7, 29, v8
	v_and_b32_e32 v6, 7, v6
	v_cmp_gt_u32_e32 vcc, 8, v4
	v_cndmask_b32_e32 v4, v5, v7, vcc
	v_cndmask_b32_e32 v3, v3, v6, vcc
	v_lshlrev_b32_e32 v2, 16, v2
	v_lshlrev_b32_e32 v3, 20, v3
	v_and_b32_e32 v2, 0x80000000, v2
	v_lshl_add_u32 v4, v4, 23, v61
	v_or3_b32 v3, v2, v4, v3
.LBB6_3192:                             ;   in Loop: Header=BB6_2967 Depth=2
	s_or_b64 exec, exec, s[56:57]
.LBB6_3193:                             ;   in Loop: Header=BB6_2967 Depth=2
	s_or_b64 exec, exec, s[20:21]
.LBB6_3194:                             ;   in Loop: Header=BB6_2967 Depth=2
	s_or_b64 exec, exec, s[18:19]
	v_max_f32_e32 v2, v3, v3
	v_max_f32_e32 v1, v1, v1
	v_min_f32_e32 v3, v1, v2
.LBB6_3195:                             ;   in Loop: Header=BB6_2967 Depth=2
	v_and_b32_sdwa v1, v3, s69 dst_sel:DWORD dst_unused:UNUSED_PAD src0_sel:BYTE_3 src1_sel:DWORD
	v_and_b32_e32 v4, 0x7f800000, v3
	v_mov_b32_e32 v5, v53
	v_and_b32_e32 v52, 0x7fffff, v3
	v_or_b32_e32 v30, 0x7e, v1
	v_cmp_ne_u64_e32 vcc, s[40:41], v[4:5]
	s_and_saveexec_b64 s[18:19], vcc
	s_xor_b64 s[20:21], exec, s[18:19]
	s_cbranch_execz .LBB6_3205
; %bb.3196:                             ;   in Loop: Header=BB6_2967 Depth=2
	v_and_b32_e32 v4, 0x7fffffff, v3
	v_mov_b32_e32 v5, v53
	v_cmp_gt_u64_e32 vcc, s[42:43], v[4:5]
	s_and_saveexec_b64 s[56:57], vcc
	s_cbranch_execz .LBB6_3204
; %bb.3197:                             ;   in Loop: Header=BB6_2967 Depth=2
	v_cmp_ne_u32_e32 vcc, 0, v3
	v_mov_b32_e32 v30, 0
	s_and_saveexec_b64 s[58:59], vcc
	s_cbranch_execz .LBB6_3203
; %bb.3198:                             ;   in Loop: Header=BB6_2967 Depth=2
	v_bfe_u32 v2, v3, 23, 8
	v_sub_u32_e32 v4, 0x79, v2
	v_cmp_gt_u32_e32 vcc, s73, v2
	v_cndmask_b32_e32 v4, 0, v4, vcc
	v_cmp_eq_u32_e32 vcc, 0, v2
	v_or_b32_e32 v5, 0x800000, v52
	v_cndmask_b32_e32 v4, v4, v32, vcc
	v_add_u32_e32 v3, 0xffffff81, v2
	v_cndmask_b32_e32 v52, v5, v52, vcc
	v_add_u32_e32 v2, 20, v4
	v_cndmask_b32_e32 v26, v3, v33, vcc
	v_lshlrev_b64 v[2:3], v2, -1
	v_add_u32_e32 v5, 19, v4
	v_lshrrev_b64 v[8:9], v4, v[52:53]
	v_not_b32_e32 v3, v3
	v_not_b32_e32 v2, v2
	v_lshlrev_b64 v[6:7], v5, 1
	v_lshrrev_b32_e32 v5, 23, v8
	v_and_b32_e32 v3, 0, v3
	v_and_b32_e32 v2, v52, v2
	v_add3_u32 v26, v4, v26, v5
	v_bfe_u32 v4, v8, 20, 1
	v_add_u32_e32 v4, -1, v4
	v_cmp_eq_u64_e32 vcc, v[2:3], v[6:7]
	v_cndmask_b32_e32 v2, 0, v4, vcc
	v_add_u32_e32 v2, v2, v8
	v_and_b32_e32 v2, 0xfffff, v2
	v_add_co_u32_e32 v2, vcc, v2, v8
	v_add_u32_e32 v5, 6, v26
	v_addc_co_u32_e32 v3, vcc, 0, v9, vcc
	v_cmp_ne_u32_e32 vcc, 0, v5
                                        ; implicit-def: $vgpr4
	s_and_saveexec_b64 s[18:19], vcc
	s_xor_b64 s[18:19], exec, s[18:19]
; %bb.3199:                             ;   in Loop: Header=BB6_2967 Depth=2
	v_add_u32_e32 v4, 7, v26
	v_cmp_lt_u64_e32 vcc, s[46:47], v[2:3]
	v_cndmask_b32_e32 v4, v5, v4, vcc
	v_cndmask_b32_e64 v5, 0, 1, vcc
	v_lshrrev_b64 v[2:3], v5, v[2:3]
; %bb.3200:                             ;   in Loop: Header=BB6_2967 Depth=2
	s_andn2_saveexec_b64 s[18:19], s[18:19]
; %bb.3201:                             ;   in Loop: Header=BB6_2967 Depth=2
	v_bfe_u32 v4, v2, 23, 1
; %bb.3202:                             ;   in Loop: Header=BB6_2967 Depth=2
	s_or_b64 exec, exec, s[18:19]
	v_lshrrev_b64 v[2:3], 20, v[2:3]
	v_cmp_gt_i32_e32 vcc, 16, v4
	v_cndmask_b32_e32 v3, 0, v3, vcc
	v_cndmask_b32_e32 v2, 7, v2, vcc
	v_cmp_eq_u64_e64 s[18:19], 0, v[2:3]
	v_min_i32_e32 v3, 15, v4
	v_cmp_eq_u32_e32 vcc, 0, v4
	v_lshlrev_b32_e32 v3, 3, v3
	v_and_or_b32 v2, v2, 7, v3
	s_and_b64 s[18:19], vcc, s[18:19]
	v_cndmask_b32_e64 v2, v2, 0, s[18:19]
	v_or_b32_e32 v30, v2, v1
.LBB6_3203:                             ;   in Loop: Header=BB6_2967 Depth=2
	s_or_b64 exec, exec, s[58:59]
.LBB6_3204:                             ;   in Loop: Header=BB6_2967 Depth=2
	s_or_b64 exec, exec, s[56:57]
                                        ; implicit-def: $vgpr3
.LBB6_3205:                             ;   in Loop: Header=BB6_2967 Depth=2
	s_andn2_saveexec_b64 s[18:19], s[20:21]
; %bb.3206:                             ;   in Loop: Header=BB6_2967 Depth=2
	v_or_b32_sdwa v1, v3, s71 dst_sel:DWORD dst_unused:UNUSED_PAD src0_sel:BYTE_3 src1_sel:DWORD
	v_cmp_eq_u64_e32 vcc, 0, v[52:53]
	v_cndmask_b32_e32 v30, v1, v30, vcc
; %bb.3207:                             ;   in Loop: Header=BB6_2967 Depth=2
	s_or_b64 exec, exec, s[18:19]
	v_lshrrev_b32_e32 v28, 16, v23
	v_lshrrev_b32_e32 v2, 16, v19
	v_cmp_ne_u16_sdwa s[18:19], v28, v53 src0_sel:BYTE_0 src1_sel:DWORD
	s_and_b64 vcc, exec, s[54:55]
	s_cbranch_vccz .LBB6_3221
; %bb.3208:                             ;   in Loop: Header=BB6_2967 Depth=2
	v_mov_b32_e32 v3, 0
	v_mov_b32_e32 v1, 0
	s_and_saveexec_b64 s[20:21], s[18:19]
	s_cbranch_execz .LBB6_3214
; %bb.3209:                             ;   in Loop: Header=BB6_2967 Depth=2
	v_cmp_ne_u16_sdwa vcc, v28, s69 src0_sel:BYTE_0 src1_sel:DWORD
	v_bfrev_b32_e32 v1, 1
	s_and_saveexec_b64 s[56:57], vcc
	s_cbranch_execz .LBB6_3213
; %bb.3210:                             ;   in Loop: Header=BB6_2967 Depth=2
	v_bfe_u32 v4, v23, 16, 7
	v_cmp_ne_u32_e32 vcc, s71, v4
	v_mov_b32_e32 v1, 0x7f800001
	s_and_saveexec_b64 s[58:59], vcc
	s_cbranch_execz .LBB6_3212
; %bb.3211:                             ;   in Loop: Header=BB6_2967 Depth=2
	v_and_b32_e32 v1, 7, v28
	v_ffbh_u32_e32 v6, v1
	v_min_u32_e32 v8, 32, v6
	v_subrev_u32_e32 v6, 28, v8
	v_lshlrev_b64 v[6:7], v6, v[28:29]
	v_lshrrev_b32_e32 v5, 3, v4
	v_sub_u32_e32 v7, 29, v8
	v_and_b32_e32 v6, 7, v6
	v_cmp_gt_u32_e32 vcc, 8, v4
	v_cndmask_b32_e32 v4, v5, v7, vcc
	v_cndmask_b32_e32 v1, v1, v6, vcc
	v_lshlrev_b32_e32 v5, 24, v28
	v_lshlrev_b32_e32 v1, 20, v1
	v_and_b32_e32 v5, 0x80000000, v5
	v_lshl_add_u32 v4, v4, 23, v61
	v_or3_b32 v1, v5, v4, v1
.LBB6_3212:                             ;   in Loop: Header=BB6_2967 Depth=2
	s_or_b64 exec, exec, s[58:59]
.LBB6_3213:                             ;   in Loop: Header=BB6_2967 Depth=2
	s_or_b64 exec, exec, s[56:57]
.LBB6_3214:                             ;   in Loop: Header=BB6_2967 Depth=2
	s_or_b64 exec, exec, s[20:21]
	v_cmp_ne_u16_sdwa vcc, v2, v53 src0_sel:BYTE_0 src1_sel:DWORD
	s_and_saveexec_b64 s[20:21], vcc
	s_cbranch_execz .LBB6_3220
; %bb.3215:                             ;   in Loop: Header=BB6_2967 Depth=2
	v_cmp_ne_u16_sdwa vcc, v2, s69 src0_sel:BYTE_0 src1_sel:DWORD
	v_bfrev_b32_e32 v3, 1
	s_and_saveexec_b64 s[56:57], vcc
	s_cbranch_execz .LBB6_3219
; %bb.3216:                             ;   in Loop: Header=BB6_2967 Depth=2
	v_bfe_u32 v4, v19, 16, 7
	v_cmp_ne_u32_e32 vcc, s71, v4
	v_mov_b32_e32 v3, 0x7f800001
	s_and_saveexec_b64 s[58:59], vcc
	s_cbranch_execz .LBB6_3218
; %bb.3217:                             ;   in Loop: Header=BB6_2967 Depth=2
	v_and_b32_e32 v3, 7, v2
	v_ffbh_u32_e32 v6, v3
	v_min_u32_e32 v8, 32, v6
	v_subrev_u32_e32 v6, 28, v8
	v_lshlrev_b64 v[6:7], v6, v[2:3]
	v_lshrrev_b32_e32 v5, 3, v4
	v_sub_u32_e32 v7, 29, v8
	v_and_b32_e32 v6, 7, v6
	v_cmp_gt_u32_e32 vcc, 8, v4
	v_cndmask_b32_e32 v4, v5, v7, vcc
	v_cndmask_b32_e32 v3, v3, v6, vcc
	v_lshlrev_b32_e32 v5, 24, v2
	v_lshlrev_b32_e32 v3, 20, v3
	v_and_b32_e32 v5, 0x80000000, v5
	v_lshl_add_u32 v4, v4, 23, v61
	v_or3_b32 v3, v5, v4, v3
.LBB6_3218:                             ;   in Loop: Header=BB6_2967 Depth=2
	s_or_b64 exec, exec, s[58:59]
.LBB6_3219:                             ;   in Loop: Header=BB6_2967 Depth=2
	s_or_b64 exec, exec, s[56:57]
.LBB6_3220:                             ;   in Loop: Header=BB6_2967 Depth=2
	s_or_b64 exec, exec, s[20:21]
	v_max_f32_e32 v3, v3, v3
	v_max_f32_e32 v1, v1, v1
	;; [unrolled: 1-line block ×3, first 2 shown]
	s_branch .LBB6_3235
.LBB6_3221:                             ;   in Loop: Header=BB6_2967 Depth=2
                                        ; implicit-def: $vgpr3
	s_cbranch_execz .LBB6_3235
; %bb.3222:                             ;   in Loop: Header=BB6_2967 Depth=2
	v_mov_b32_e32 v3, 0
	v_mov_b32_e32 v1, 0
	s_and_saveexec_b64 s[20:21], s[18:19]
	s_cbranch_execz .LBB6_3228
; %bb.3223:                             ;   in Loop: Header=BB6_2967 Depth=2
	v_cmp_ne_u16_sdwa vcc, v28, s69 src0_sel:BYTE_0 src1_sel:DWORD
	v_bfrev_b32_e32 v1, 1
	s_and_saveexec_b64 s[18:19], vcc
	s_cbranch_execz .LBB6_3227
; %bb.3224:                             ;   in Loop: Header=BB6_2967 Depth=2
	v_bfe_u32 v4, v23, 16, 7
	v_cmp_ne_u32_e32 vcc, s71, v4
	v_mov_b32_e32 v1, 0x7f800001
	s_and_saveexec_b64 s[56:57], vcc
	s_cbranch_execz .LBB6_3226
; %bb.3225:                             ;   in Loop: Header=BB6_2967 Depth=2
	v_and_b32_e32 v1, 7, v28
	v_ffbh_u32_e32 v6, v1
	v_min_u32_e32 v8, 32, v6
	v_subrev_u32_e32 v6, 28, v8
	v_lshlrev_b64 v[6:7], v6, v[28:29]
	v_lshrrev_b32_e32 v5, 3, v4
	v_sub_u32_e32 v7, 29, v8
	v_and_b32_e32 v6, 7, v6
	v_cmp_gt_u32_e32 vcc, 8, v4
	v_cndmask_b32_e32 v4, v5, v7, vcc
	v_cndmask_b32_e32 v1, v1, v6, vcc
	v_lshlrev_b32_e32 v5, 24, v28
	v_lshlrev_b32_e32 v1, 20, v1
	v_and_b32_e32 v5, 0x80000000, v5
	v_lshl_add_u32 v4, v4, 23, v61
	v_or3_b32 v1, v5, v4, v1
.LBB6_3226:                             ;   in Loop: Header=BB6_2967 Depth=2
	s_or_b64 exec, exec, s[56:57]
.LBB6_3227:                             ;   in Loop: Header=BB6_2967 Depth=2
	s_or_b64 exec, exec, s[18:19]
.LBB6_3228:                             ;   in Loop: Header=BB6_2967 Depth=2
	s_or_b64 exec, exec, s[20:21]
	v_cmp_ne_u16_sdwa s[20:21], v2, v53 src0_sel:BYTE_0 src1_sel:DWORD
	s_and_saveexec_b64 s[18:19], s[20:21]
	s_cbranch_execz .LBB6_3234
; %bb.3229:                             ;   in Loop: Header=BB6_2967 Depth=2
	v_cmp_ne_u16_sdwa vcc, v2, s69 src0_sel:BYTE_0 src1_sel:DWORD
	v_bfrev_b32_e32 v3, 1
	s_and_saveexec_b64 s[20:21], vcc
	s_cbranch_execz .LBB6_3233
; %bb.3230:                             ;   in Loop: Header=BB6_2967 Depth=2
	v_bfe_u32 v4, v19, 16, 7
	v_cmp_ne_u32_e32 vcc, s71, v4
	v_mov_b32_e32 v3, 0x7f800001
	s_and_saveexec_b64 s[56:57], vcc
	s_cbranch_execz .LBB6_3232
; %bb.3231:                             ;   in Loop: Header=BB6_2967 Depth=2
	v_and_b32_e32 v3, 7, v2
	v_ffbh_u32_e32 v6, v3
	v_min_u32_e32 v8, 32, v6
	v_subrev_u32_e32 v6, 28, v8
	v_lshlrev_b64 v[6:7], v6, v[2:3]
	v_lshrrev_b32_e32 v5, 3, v4
	v_sub_u32_e32 v7, 29, v8
	v_and_b32_e32 v6, 7, v6
	v_cmp_gt_u32_e32 vcc, 8, v4
	v_cndmask_b32_e32 v4, v5, v7, vcc
	v_cndmask_b32_e32 v3, v3, v6, vcc
	v_lshlrev_b32_e32 v2, 24, v2
	v_lshlrev_b32_e32 v3, 20, v3
	v_and_b32_e32 v2, 0x80000000, v2
	v_lshl_add_u32 v4, v4, 23, v61
	v_or3_b32 v3, v2, v4, v3
.LBB6_3232:                             ;   in Loop: Header=BB6_2967 Depth=2
	s_or_b64 exec, exec, s[56:57]
.LBB6_3233:                             ;   in Loop: Header=BB6_2967 Depth=2
	s_or_b64 exec, exec, s[20:21]
.LBB6_3234:                             ;   in Loop: Header=BB6_2967 Depth=2
	s_or_b64 exec, exec, s[18:19]
	v_max_f32_e32 v2, v3, v3
	v_max_f32_e32 v1, v1, v1
	v_min_f32_e32 v3, v1, v2
.LBB6_3235:                             ;   in Loop: Header=BB6_2967 Depth=2
	v_and_b32_sdwa v1, v3, s69 dst_sel:DWORD dst_unused:UNUSED_PAD src0_sel:BYTE_3 src1_sel:DWORD
	v_and_b32_e32 v4, 0x7f800000, v3
	v_mov_b32_e32 v5, v53
	v_and_b32_e32 v52, 0x7fffff, v3
	v_or_b32_e32 v31, 0x7e, v1
	v_cmp_ne_u64_e32 vcc, s[40:41], v[4:5]
	s_and_saveexec_b64 s[18:19], vcc
	s_xor_b64 s[20:21], exec, s[18:19]
	s_cbranch_execz .LBB6_3245
; %bb.3236:                             ;   in Loop: Header=BB6_2967 Depth=2
	v_and_b32_e32 v4, 0x7fffffff, v3
	v_mov_b32_e32 v5, v53
	v_cmp_gt_u64_e32 vcc, s[42:43], v[4:5]
	s_and_saveexec_b64 s[56:57], vcc
	s_cbranch_execz .LBB6_3244
; %bb.3237:                             ;   in Loop: Header=BB6_2967 Depth=2
	v_cmp_ne_u32_e32 vcc, 0, v3
	v_mov_b32_e32 v31, 0
	s_and_saveexec_b64 s[58:59], vcc
	s_cbranch_execz .LBB6_3243
; %bb.3238:                             ;   in Loop: Header=BB6_2967 Depth=2
	v_bfe_u32 v2, v3, 23, 8
	v_sub_u32_e32 v4, 0x79, v2
	v_cmp_gt_u32_e32 vcc, s73, v2
	v_cndmask_b32_e32 v4, 0, v4, vcc
	v_cmp_eq_u32_e32 vcc, 0, v2
	v_or_b32_e32 v5, 0x800000, v52
	v_cndmask_b32_e32 v4, v4, v32, vcc
	v_add_u32_e32 v3, 0xffffff81, v2
	v_cndmask_b32_e32 v52, v5, v52, vcc
	v_add_u32_e32 v2, 20, v4
	v_cndmask_b32_e32 v26, v3, v33, vcc
	v_lshlrev_b64 v[2:3], v2, -1
	v_add_u32_e32 v5, 19, v4
	v_lshrrev_b64 v[8:9], v4, v[52:53]
	v_not_b32_e32 v3, v3
	v_not_b32_e32 v2, v2
	v_lshlrev_b64 v[6:7], v5, 1
	v_lshrrev_b32_e32 v5, 23, v8
	v_and_b32_e32 v3, 0, v3
	v_and_b32_e32 v2, v52, v2
	v_add3_u32 v26, v4, v26, v5
	v_bfe_u32 v4, v8, 20, 1
	v_add_u32_e32 v4, -1, v4
	v_cmp_eq_u64_e32 vcc, v[2:3], v[6:7]
	v_cndmask_b32_e32 v2, 0, v4, vcc
	v_add_u32_e32 v2, v2, v8
	v_and_b32_e32 v2, 0xfffff, v2
	v_add_co_u32_e32 v2, vcc, v2, v8
	v_add_u32_e32 v5, 6, v26
	v_addc_co_u32_e32 v3, vcc, 0, v9, vcc
	v_cmp_ne_u32_e32 vcc, 0, v5
                                        ; implicit-def: $vgpr4
	s_and_saveexec_b64 s[18:19], vcc
	s_xor_b64 s[18:19], exec, s[18:19]
; %bb.3239:                             ;   in Loop: Header=BB6_2967 Depth=2
	v_add_u32_e32 v4, 7, v26
	v_cmp_lt_u64_e32 vcc, s[46:47], v[2:3]
	v_cndmask_b32_e32 v4, v5, v4, vcc
	v_cndmask_b32_e64 v5, 0, 1, vcc
	v_lshrrev_b64 v[2:3], v5, v[2:3]
; %bb.3240:                             ;   in Loop: Header=BB6_2967 Depth=2
	s_andn2_saveexec_b64 s[18:19], s[18:19]
; %bb.3241:                             ;   in Loop: Header=BB6_2967 Depth=2
	v_bfe_u32 v4, v2, 23, 1
; %bb.3242:                             ;   in Loop: Header=BB6_2967 Depth=2
	s_or_b64 exec, exec, s[18:19]
	v_lshrrev_b64 v[2:3], 20, v[2:3]
	v_cmp_gt_i32_e32 vcc, 16, v4
	v_cndmask_b32_e32 v3, 0, v3, vcc
	v_cndmask_b32_e32 v2, 7, v2, vcc
	v_cmp_eq_u64_e64 s[18:19], 0, v[2:3]
	v_min_i32_e32 v3, 15, v4
	v_lshlrev_b32_e32 v3, 3, v3
	v_cmp_eq_u32_e32 vcc, 0, v4
	v_and_b32_e32 v3, 0xf8, v3
	v_and_or_b32 v2, v2, 7, v3
	s_and_b64 s[18:19], vcc, s[18:19]
	v_cndmask_b32_e64 v2, v2, 0, s[18:19]
	v_or_b32_e32 v31, v2, v1
.LBB6_3243:                             ;   in Loop: Header=BB6_2967 Depth=2
	s_or_b64 exec, exec, s[58:59]
.LBB6_3244:                             ;   in Loop: Header=BB6_2967 Depth=2
	s_or_b64 exec, exec, s[56:57]
                                        ; implicit-def: $vgpr3
.LBB6_3245:                             ;   in Loop: Header=BB6_2967 Depth=2
	s_andn2_saveexec_b64 s[18:19], s[20:21]
; %bb.3246:                             ;   in Loop: Header=BB6_2967 Depth=2
	v_or_b32_sdwa v1, v3, s71 dst_sel:DWORD dst_unused:UNUSED_PAD src0_sel:BYTE_3 src1_sel:DWORD
	v_cmp_eq_u64_e32 vcc, 0, v[52:53]
	v_cndmask_b32_e32 v31, v1, v31, vcc
; %bb.3247:                             ;   in Loop: Header=BB6_2967 Depth=2
	s_or_b64 exec, exec, s[18:19]
	v_lshrrev_b32_e32 v28, 24, v23
	v_lshrrev_b32_e32 v2, 24, v19
	v_cmp_lt_u64_e64 s[18:19], s[44:45], v[22:23]
	s_and_b64 vcc, exec, s[54:55]
	s_cbranch_vccz .LBB6_3261
; %bb.3248:                             ;   in Loop: Header=BB6_2967 Depth=2
	v_mov_b32_e32 v3, 0
	v_mov_b32_e32 v1, 0
	s_and_saveexec_b64 s[20:21], s[18:19]
	s_cbranch_execz .LBB6_3254
; %bb.3249:                             ;   in Loop: Header=BB6_2967 Depth=2
	v_cmp_ne_u32_e32 vcc, s69, v28
	v_bfrev_b32_e32 v1, 1
	s_and_saveexec_b64 s[56:57], vcc
	s_cbranch_execz .LBB6_3253
; %bb.3250:                             ;   in Loop: Header=BB6_2967 Depth=2
	v_bfe_u32 v4, v23, 24, 7
	v_cmp_ne_u32_e32 vcc, s71, v4
	v_mov_b32_e32 v1, 0x7f800001
	s_and_saveexec_b64 s[58:59], vcc
	s_cbranch_execz .LBB6_3252
; %bb.3251:                             ;   in Loop: Header=BB6_2967 Depth=2
	v_and_b32_e32 v1, 7, v28
	v_ffbh_u32_e32 v6, v1
	v_min_u32_e32 v8, 32, v6
	v_subrev_u32_e32 v6, 28, v8
	v_lshlrev_b64 v[6:7], v6, v[28:29]
	v_lshrrev_b32_e32 v5, 3, v4
	v_sub_u32_e32 v7, 29, v8
	v_and_b32_e32 v6, 7, v6
	v_cmp_gt_u32_e32 vcc, 8, v4
	v_cndmask_b32_e32 v4, v5, v7, vcc
	v_cndmask_b32_e32 v1, v1, v6, vcc
	v_lshlrev_b32_e32 v5, 24, v28
	v_lshlrev_b32_e32 v1, 20, v1
	v_and_b32_e32 v5, 0x80000000, v5
	v_lshl_add_u32 v4, v4, 23, v61
	v_or3_b32 v1, v5, v4, v1
.LBB6_3252:                             ;   in Loop: Header=BB6_2967 Depth=2
	s_or_b64 exec, exec, s[58:59]
.LBB6_3253:                             ;   in Loop: Header=BB6_2967 Depth=2
	s_or_b64 exec, exec, s[56:57]
.LBB6_3254:                             ;   in Loop: Header=BB6_2967 Depth=2
	s_or_b64 exec, exec, s[20:21]
	v_cmp_lt_u64_e32 vcc, s[44:45], v[18:19]
	s_and_saveexec_b64 s[20:21], vcc
	s_cbranch_execz .LBB6_3260
; %bb.3255:                             ;   in Loop: Header=BB6_2967 Depth=2
	v_cmp_ne_u32_e32 vcc, s69, v2
	v_bfrev_b32_e32 v3, 1
	s_and_saveexec_b64 s[56:57], vcc
	s_cbranch_execz .LBB6_3259
; %bb.3256:                             ;   in Loop: Header=BB6_2967 Depth=2
	v_bfe_u32 v4, v19, 24, 7
	v_cmp_ne_u32_e32 vcc, s71, v4
	v_mov_b32_e32 v3, 0x7f800001
	s_and_saveexec_b64 s[58:59], vcc
	s_cbranch_execz .LBB6_3258
; %bb.3257:                             ;   in Loop: Header=BB6_2967 Depth=2
	v_and_b32_e32 v3, 7, v2
	v_ffbh_u32_e32 v6, v3
	v_min_u32_e32 v8, 32, v6
	v_subrev_u32_e32 v6, 28, v8
	v_lshlrev_b64 v[6:7], v6, v[2:3]
	v_lshrrev_b32_e32 v5, 3, v4
	v_sub_u32_e32 v7, 29, v8
	v_and_b32_e32 v6, 7, v6
	v_cmp_gt_u32_e32 vcc, 8, v4
	v_cndmask_b32_e32 v4, v5, v7, vcc
	v_cndmask_b32_e32 v3, v3, v6, vcc
	v_lshlrev_b32_e32 v5, 24, v2
	v_lshlrev_b32_e32 v3, 20, v3
	v_and_b32_e32 v5, 0x80000000, v5
	v_lshl_add_u32 v4, v4, 23, v61
	v_or3_b32 v3, v5, v4, v3
.LBB6_3258:                             ;   in Loop: Header=BB6_2967 Depth=2
	s_or_b64 exec, exec, s[58:59]
.LBB6_3259:                             ;   in Loop: Header=BB6_2967 Depth=2
	s_or_b64 exec, exec, s[56:57]
.LBB6_3260:                             ;   in Loop: Header=BB6_2967 Depth=2
	s_or_b64 exec, exec, s[20:21]
	v_max_f32_e32 v3, v3, v3
	v_max_f32_e32 v1, v1, v1
	v_max_f32_e32 v3, v1, v3
	s_branch .LBB6_3275
.LBB6_3261:                             ;   in Loop: Header=BB6_2967 Depth=2
                                        ; implicit-def: $vgpr3
	s_cbranch_execz .LBB6_3275
; %bb.3262:                             ;   in Loop: Header=BB6_2967 Depth=2
	v_mov_b32_e32 v3, 0
	v_mov_b32_e32 v1, 0
	s_and_saveexec_b64 s[20:21], s[18:19]
	s_cbranch_execz .LBB6_3268
; %bb.3263:                             ;   in Loop: Header=BB6_2967 Depth=2
	v_cmp_ne_u32_e32 vcc, s69, v28
	v_bfrev_b32_e32 v1, 1
	s_and_saveexec_b64 s[18:19], vcc
	s_cbranch_execz .LBB6_3267
; %bb.3264:                             ;   in Loop: Header=BB6_2967 Depth=2
	v_bfe_u32 v4, v23, 24, 7
	v_cmp_ne_u32_e32 vcc, s71, v4
	v_mov_b32_e32 v1, 0x7f800001
	s_and_saveexec_b64 s[56:57], vcc
	s_cbranch_execz .LBB6_3266
; %bb.3265:                             ;   in Loop: Header=BB6_2967 Depth=2
	v_and_b32_e32 v1, 7, v28
	v_ffbh_u32_e32 v6, v1
	v_min_u32_e32 v8, 32, v6
	v_subrev_u32_e32 v6, 28, v8
	v_lshlrev_b64 v[6:7], v6, v[28:29]
	v_lshrrev_b32_e32 v5, 3, v4
	v_sub_u32_e32 v7, 29, v8
	v_and_b32_e32 v6, 7, v6
	v_cmp_gt_u32_e32 vcc, 8, v4
	v_cndmask_b32_e32 v4, v5, v7, vcc
	v_cndmask_b32_e32 v1, v1, v6, vcc
	v_lshlrev_b32_e32 v5, 24, v28
	v_lshlrev_b32_e32 v1, 20, v1
	v_and_b32_e32 v5, 0x80000000, v5
	v_lshl_add_u32 v4, v4, 23, v61
	v_or3_b32 v1, v5, v4, v1
.LBB6_3266:                             ;   in Loop: Header=BB6_2967 Depth=2
	s_or_b64 exec, exec, s[56:57]
.LBB6_3267:                             ;   in Loop: Header=BB6_2967 Depth=2
	s_or_b64 exec, exec, s[18:19]
.LBB6_3268:                             ;   in Loop: Header=BB6_2967 Depth=2
	s_or_b64 exec, exec, s[20:21]
	v_cmp_lt_u64_e32 vcc, s[44:45], v[18:19]
	s_and_saveexec_b64 s[18:19], vcc
	s_cbranch_execz .LBB6_3274
; %bb.3269:                             ;   in Loop: Header=BB6_2967 Depth=2
	v_cmp_ne_u32_e32 vcc, s69, v2
	v_bfrev_b32_e32 v3, 1
	s_and_saveexec_b64 s[20:21], vcc
	s_cbranch_execz .LBB6_3273
; %bb.3270:                             ;   in Loop: Header=BB6_2967 Depth=2
	v_bfe_u32 v4, v19, 24, 7
	v_cmp_ne_u32_e32 vcc, s71, v4
	v_mov_b32_e32 v3, 0x7f800001
	s_and_saveexec_b64 s[56:57], vcc
	s_cbranch_execz .LBB6_3272
; %bb.3271:                             ;   in Loop: Header=BB6_2967 Depth=2
	v_and_b32_e32 v3, 7, v2
	v_ffbh_u32_e32 v6, v3
	v_min_u32_e32 v8, 32, v6
	v_subrev_u32_e32 v6, 28, v8
	v_lshlrev_b64 v[6:7], v6, v[2:3]
	v_lshrrev_b32_e32 v5, 3, v4
	v_sub_u32_e32 v7, 29, v8
	v_and_b32_e32 v6, 7, v6
	v_cmp_gt_u32_e32 vcc, 8, v4
	v_cndmask_b32_e32 v4, v5, v7, vcc
	v_cndmask_b32_e32 v3, v3, v6, vcc
	v_lshlrev_b32_e32 v2, 24, v2
	v_lshlrev_b32_e32 v3, 20, v3
	v_and_b32_e32 v2, 0x80000000, v2
	v_lshl_add_u32 v4, v4, 23, v61
	v_or3_b32 v3, v2, v4, v3
.LBB6_3272:                             ;   in Loop: Header=BB6_2967 Depth=2
	s_or_b64 exec, exec, s[56:57]
.LBB6_3273:                             ;   in Loop: Header=BB6_2967 Depth=2
	s_or_b64 exec, exec, s[20:21]
.LBB6_3274:                             ;   in Loop: Header=BB6_2967 Depth=2
	s_or_b64 exec, exec, s[18:19]
	v_max_f32_e32 v2, v3, v3
	v_max_f32_e32 v1, v1, v1
	v_min_f32_e32 v3, v1, v2
.LBB6_3275:                             ;   in Loop: Header=BB6_2967 Depth=2
	v_and_b32_sdwa v1, v3, s69 dst_sel:DWORD dst_unused:UNUSED_PAD src0_sel:BYTE_3 src1_sel:DWORD
	v_and_b32_e32 v4, 0x7f800000, v3
	v_mov_b32_e32 v5, v53
	v_and_b32_e32 v52, 0x7fffff, v3
	v_or_b32_e32 v23, 0x7e, v1
	v_cmp_ne_u64_e32 vcc, s[40:41], v[4:5]
	s_and_saveexec_b64 s[18:19], vcc
	s_xor_b64 s[20:21], exec, s[18:19]
	s_cbranch_execnz .LBB6_3291
; %bb.3276:                             ;   in Loop: Header=BB6_2967 Depth=2
	s_andn2_saveexec_b64 s[18:19], s[20:21]
	s_cbranch_execnz .LBB6_3300
.LBB6_3277:                             ;   in Loop: Header=BB6_2967 Depth=2
	s_or_b64 exec, exec, s[18:19]
	v_cmp_ne_u16_sdwa s[18:19], v24, v53 src0_sel:BYTE_0 src1_sel:DWORD
	s_and_b64 vcc, exec, s[54:55]
	s_cbranch_vccz .LBB6_3301
.LBB6_3278:                             ;   in Loop: Header=BB6_2967 Depth=2
	v_mov_b32_e32 v2, 0
	v_mov_b32_e32 v1, 0
	s_and_saveexec_b64 s[20:21], s[18:19]
	s_cbranch_execz .LBB6_3284
; %bb.3279:                             ;   in Loop: Header=BB6_2967 Depth=2
	v_cmp_ne_u16_sdwa vcc, v24, s69 src0_sel:BYTE_0 src1_sel:DWORD
	v_bfrev_b32_e32 v1, 1
	s_and_saveexec_b64 s[56:57], vcc
	s_cbranch_execz .LBB6_3283
; %bb.3280:                             ;   in Loop: Header=BB6_2967 Depth=2
	v_and_b32_e32 v3, 0x7f, v24
	v_cmp_ne_u32_e32 vcc, s71, v3
	v_mov_b32_e32 v1, 0x7f800001
	s_and_saveexec_b64 s[58:59], vcc
	s_cbranch_execz .LBB6_3282
; %bb.3281:                             ;   in Loop: Header=BB6_2967 Depth=2
	v_and_b32_e32 v1, 7, v24
	v_ffbh_u32_e32 v1, v1
	v_min_u32_e32 v1, 32, v1
	v_subrev_u32_e32 v5, 28, v1
	v_cmp_gt_u32_e32 vcc, 8, v3
	v_lshrrev_b32_e32 v4, 3, v3
	v_sub_u32_e32 v1, 29, v1
	v_cndmask_b32_e32 v3, 0, v5, vcc
	v_cndmask_b32_e32 v1, v4, v1, vcc
	v_lshlrev_b64 v[4:5], v3, v[24:25]
	v_lshlrev_b32_e32 v3, 20, v4
	v_lshlrev_b32_e32 v4, 24, v24
	v_and_b32_e32 v3, 0x700000, v3
	v_and_b32_e32 v4, 0x80000000, v4
	v_lshl_add_u32 v1, v1, 23, v61
	v_or3_b32 v1, v4, v1, v3
.LBB6_3282:                             ;   in Loop: Header=BB6_2967 Depth=2
	s_or_b64 exec, exec, s[58:59]
.LBB6_3283:                             ;   in Loop: Header=BB6_2967 Depth=2
	s_or_b64 exec, exec, s[56:57]
.LBB6_3284:                             ;   in Loop: Header=BB6_2967 Depth=2
	s_or_b64 exec, exec, s[20:21]
	v_cmp_ne_u16_sdwa vcc, v20, v53 src0_sel:BYTE_0 src1_sel:DWORD
	s_and_saveexec_b64 s[20:21], vcc
	s_cbranch_execz .LBB6_3290
; %bb.3285:                             ;   in Loop: Header=BB6_2967 Depth=2
	v_cmp_ne_u16_sdwa vcc, v20, s69 src0_sel:BYTE_0 src1_sel:DWORD
	v_bfrev_b32_e32 v2, 1
	s_and_saveexec_b64 s[56:57], vcc
	s_cbranch_execz .LBB6_3289
; %bb.3286:                             ;   in Loop: Header=BB6_2967 Depth=2
	v_and_b32_e32 v3, 0x7f, v20
	v_cmp_ne_u32_e32 vcc, s71, v3
	v_mov_b32_e32 v2, 0x7f800001
	s_and_saveexec_b64 s[58:59], vcc
	s_cbranch_execz .LBB6_3288
; %bb.3287:                             ;   in Loop: Header=BB6_2967 Depth=2
	v_and_b32_e32 v2, 7, v20
	v_ffbh_u32_e32 v2, v2
	v_min_u32_e32 v2, 32, v2
	v_lshrrev_b32_e32 v4, 3, v3
	v_subrev_u32_e32 v5, 28, v2
	v_sub_u32_e32 v2, 29, v2
	v_cmp_gt_u32_e32 vcc, 8, v3
	v_cndmask_b32_e32 v4, v4, v2, vcc
	v_cndmask_b32_e32 v2, 0, v5, vcc
	v_lshlrev_b64 v[2:3], v2, v[20:21]
	v_lshlrev_b32_e32 v2, 20, v2
	v_lshlrev_b32_e32 v3, 24, v20
	v_and_b32_e32 v2, 0x700000, v2
	v_and_b32_e32 v3, 0x80000000, v3
	v_lshl_add_u32 v4, v4, 23, v61
	v_or3_b32 v2, v3, v4, v2
.LBB6_3288:                             ;   in Loop: Header=BB6_2967 Depth=2
	s_or_b64 exec, exec, s[58:59]
.LBB6_3289:                             ;   in Loop: Header=BB6_2967 Depth=2
	s_or_b64 exec, exec, s[56:57]
.LBB6_3290:                             ;   in Loop: Header=BB6_2967 Depth=2
	s_or_b64 exec, exec, s[20:21]
	v_max_f32_e32 v2, v2, v2
	v_max_f32_e32 v1, v1, v1
	;; [unrolled: 1-line block ×3, first 2 shown]
	s_branch .LBB6_3315
.LBB6_3291:                             ;   in Loop: Header=BB6_2967 Depth=2
	v_and_b32_e32 v4, 0x7fffffff, v3
	v_mov_b32_e32 v5, v53
	v_cmp_gt_u64_e32 vcc, s[42:43], v[4:5]
	s_and_saveexec_b64 s[56:57], vcc
	s_cbranch_execz .LBB6_3299
; %bb.3292:                             ;   in Loop: Header=BB6_2967 Depth=2
	v_cmp_ne_u32_e32 vcc, 0, v3
	v_mov_b32_e32 v23, 0
	s_and_saveexec_b64 s[58:59], vcc
	s_cbranch_execz .LBB6_3298
; %bb.3293:                             ;   in Loop: Header=BB6_2967 Depth=2
	v_bfe_u32 v2, v3, 23, 8
	v_sub_u32_e32 v4, 0x79, v2
	v_cmp_gt_u32_e32 vcc, s73, v2
	v_cndmask_b32_e32 v4, 0, v4, vcc
	v_cmp_eq_u32_e32 vcc, 0, v2
	v_or_b32_e32 v5, 0x800000, v52
	v_cndmask_b32_e32 v4, v4, v32, vcc
	v_add_u32_e32 v3, 0xffffff81, v2
	v_cndmask_b32_e32 v52, v5, v52, vcc
	v_add_u32_e32 v2, 20, v4
	v_cndmask_b32_e32 v18, v3, v33, vcc
	v_lshlrev_b64 v[2:3], v2, -1
	v_add_u32_e32 v5, 19, v4
	v_lshrrev_b64 v[8:9], v4, v[52:53]
	v_not_b32_e32 v3, v3
	v_not_b32_e32 v2, v2
	v_lshlrev_b64 v[6:7], v5, 1
	v_lshrrev_b32_e32 v5, 23, v8
	v_and_b32_e32 v3, 0, v3
	v_and_b32_e32 v2, v52, v2
	v_add3_u32 v18, v4, v18, v5
	v_bfe_u32 v4, v8, 20, 1
	v_add_u32_e32 v4, -1, v4
	v_cmp_eq_u64_e32 vcc, v[2:3], v[6:7]
	v_cndmask_b32_e32 v2, 0, v4, vcc
	v_add_u32_e32 v2, v2, v8
	v_and_b32_e32 v2, 0xfffff, v2
	v_add_co_u32_e32 v2, vcc, v2, v8
	v_add_u32_e32 v5, 6, v18
	v_addc_co_u32_e32 v3, vcc, 0, v9, vcc
	v_cmp_ne_u32_e32 vcc, 0, v5
                                        ; implicit-def: $vgpr4
	s_and_saveexec_b64 s[18:19], vcc
	s_xor_b64 s[18:19], exec, s[18:19]
; %bb.3294:                             ;   in Loop: Header=BB6_2967 Depth=2
	v_add_u32_e32 v4, 7, v18
	v_cmp_lt_u64_e32 vcc, s[46:47], v[2:3]
	v_cndmask_b32_e32 v4, v5, v4, vcc
	v_cndmask_b32_e64 v5, 0, 1, vcc
	v_lshrrev_b64 v[2:3], v5, v[2:3]
; %bb.3295:                             ;   in Loop: Header=BB6_2967 Depth=2
	s_andn2_saveexec_b64 s[18:19], s[18:19]
; %bb.3296:                             ;   in Loop: Header=BB6_2967 Depth=2
	v_bfe_u32 v4, v2, 23, 1
; %bb.3297:                             ;   in Loop: Header=BB6_2967 Depth=2
	s_or_b64 exec, exec, s[18:19]
	v_lshrrev_b64 v[2:3], 20, v[2:3]
	v_cmp_gt_i32_e32 vcc, 16, v4
	v_cndmask_b32_e32 v3, 0, v3, vcc
	v_cndmask_b32_e32 v2, 7, v2, vcc
	v_cmp_eq_u64_e64 s[18:19], 0, v[2:3]
	v_min_i32_e32 v3, 15, v4
	v_lshlrev_b32_e32 v3, 3, v3
	v_cmp_eq_u32_e32 vcc, 0, v4
	v_and_b32_e32 v3, 0xf8, v3
	v_and_or_b32 v2, v2, 7, v3
	s_and_b64 s[18:19], vcc, s[18:19]
	v_cndmask_b32_e64 v2, v2, 0, s[18:19]
	v_or_b32_e32 v23, v2, v1
.LBB6_3298:                             ;   in Loop: Header=BB6_2967 Depth=2
	s_or_b64 exec, exec, s[58:59]
.LBB6_3299:                             ;   in Loop: Header=BB6_2967 Depth=2
	s_or_b64 exec, exec, s[56:57]
                                        ; implicit-def: $vgpr3
	s_andn2_saveexec_b64 s[18:19], s[20:21]
	s_cbranch_execz .LBB6_3277
.LBB6_3300:                             ;   in Loop: Header=BB6_2967 Depth=2
	v_or_b32_sdwa v1, v3, s71 dst_sel:DWORD dst_unused:UNUSED_PAD src0_sel:BYTE_3 src1_sel:DWORD
	v_cmp_eq_u64_e32 vcc, 0, v[52:53]
	v_cndmask_b32_e32 v23, v1, v23, vcc
	s_or_b64 exec, exec, s[18:19]
	v_cmp_ne_u16_sdwa s[18:19], v24, v53 src0_sel:BYTE_0 src1_sel:DWORD
	s_and_b64 vcc, exec, s[54:55]
	s_cbranch_vccnz .LBB6_3278
.LBB6_3301:                             ;   in Loop: Header=BB6_2967 Depth=2
                                        ; implicit-def: $vgpr2
	s_cbranch_execz .LBB6_3315
; %bb.3302:                             ;   in Loop: Header=BB6_2967 Depth=2
	v_mov_b32_e32 v2, 0
	v_mov_b32_e32 v1, 0
	s_and_saveexec_b64 s[20:21], s[18:19]
	s_cbranch_execz .LBB6_3308
; %bb.3303:                             ;   in Loop: Header=BB6_2967 Depth=2
	v_cmp_ne_u16_sdwa vcc, v24, s69 src0_sel:BYTE_0 src1_sel:DWORD
	v_bfrev_b32_e32 v1, 1
	s_and_saveexec_b64 s[18:19], vcc
	s_cbranch_execz .LBB6_3307
; %bb.3304:                             ;   in Loop: Header=BB6_2967 Depth=2
	v_and_b32_e32 v3, 0x7f, v24
	v_cmp_ne_u32_e32 vcc, s71, v3
	v_mov_b32_e32 v1, 0x7f800001
	s_and_saveexec_b64 s[56:57], vcc
	s_cbranch_execz .LBB6_3306
; %bb.3305:                             ;   in Loop: Header=BB6_2967 Depth=2
	v_and_b32_e32 v1, 7, v24
	v_ffbh_u32_e32 v1, v1
	v_min_u32_e32 v1, 32, v1
	v_subrev_u32_e32 v5, 28, v1
	v_cmp_gt_u32_e32 vcc, 8, v3
	v_lshrrev_b32_e32 v4, 3, v3
	v_sub_u32_e32 v1, 29, v1
	v_cndmask_b32_e32 v3, 0, v5, vcc
	v_cndmask_b32_e32 v1, v4, v1, vcc
	v_lshlrev_b64 v[4:5], v3, v[24:25]
	v_lshlrev_b32_e32 v3, 20, v4
	v_lshlrev_b32_e32 v4, 24, v24
	v_and_b32_e32 v3, 0x700000, v3
	v_and_b32_e32 v4, 0x80000000, v4
	v_lshl_add_u32 v1, v1, 23, v61
	v_or3_b32 v1, v4, v1, v3
.LBB6_3306:                             ;   in Loop: Header=BB6_2967 Depth=2
	s_or_b64 exec, exec, s[56:57]
.LBB6_3307:                             ;   in Loop: Header=BB6_2967 Depth=2
	s_or_b64 exec, exec, s[18:19]
.LBB6_3308:                             ;   in Loop: Header=BB6_2967 Depth=2
	s_or_b64 exec, exec, s[20:21]
	v_cmp_ne_u16_sdwa s[20:21], v20, v53 src0_sel:BYTE_0 src1_sel:DWORD
	s_and_saveexec_b64 s[18:19], s[20:21]
	s_cbranch_execz .LBB6_3314
; %bb.3309:                             ;   in Loop: Header=BB6_2967 Depth=2
	v_cmp_ne_u16_sdwa vcc, v20, s69 src0_sel:BYTE_0 src1_sel:DWORD
	v_bfrev_b32_e32 v2, 1
	s_and_saveexec_b64 s[20:21], vcc
	s_cbranch_execz .LBB6_3313
; %bb.3310:                             ;   in Loop: Header=BB6_2967 Depth=2
	v_and_b32_e32 v3, 0x7f, v20
	v_cmp_ne_u32_e32 vcc, s71, v3
	v_mov_b32_e32 v2, 0x7f800001
	s_and_saveexec_b64 s[56:57], vcc
	s_cbranch_execz .LBB6_3312
; %bb.3311:                             ;   in Loop: Header=BB6_2967 Depth=2
	v_and_b32_e32 v2, 7, v20
	v_ffbh_u32_e32 v2, v2
	v_min_u32_e32 v2, 32, v2
	v_lshrrev_b32_e32 v4, 3, v3
	v_subrev_u32_e32 v5, 28, v2
	v_sub_u32_e32 v2, 29, v2
	v_cmp_gt_u32_e32 vcc, 8, v3
	v_cndmask_b32_e32 v4, v4, v2, vcc
	v_cndmask_b32_e32 v2, 0, v5, vcc
	v_lshlrev_b64 v[2:3], v2, v[20:21]
	v_lshlrev_b32_e32 v2, 20, v2
	v_lshlrev_b32_e32 v3, 24, v20
	v_and_b32_e32 v2, 0x700000, v2
	v_and_b32_e32 v3, 0x80000000, v3
	v_lshl_add_u32 v4, v4, 23, v61
	v_or3_b32 v2, v3, v4, v2
.LBB6_3312:                             ;   in Loop: Header=BB6_2967 Depth=2
	s_or_b64 exec, exec, s[56:57]
.LBB6_3313:                             ;   in Loop: Header=BB6_2967 Depth=2
	s_or_b64 exec, exec, s[20:21]
.LBB6_3314:                             ;   in Loop: Header=BB6_2967 Depth=2
	s_or_b64 exec, exec, s[18:19]
	v_max_f32_e32 v2, v2, v2
	v_max_f32_e32 v1, v1, v1
	v_min_f32_e32 v2, v1, v2
.LBB6_3315:                             ;   in Loop: Header=BB6_2967 Depth=2
	v_and_b32_sdwa v1, v2, s69 dst_sel:DWORD dst_unused:UNUSED_PAD src0_sel:BYTE_3 src1_sel:DWORD
	v_and_b32_e32 v4, 0x7f800000, v2
	v_mov_b32_e32 v5, v53
	v_and_b32_e32 v52, 0x7fffff, v2
	v_or_b32_e32 v28, 0x7e, v1
	v_cmp_ne_u64_e32 vcc, s[40:41], v[4:5]
	s_and_saveexec_b64 s[18:19], vcc
	s_xor_b64 s[20:21], exec, s[18:19]
	s_cbranch_execz .LBB6_3325
; %bb.3316:                             ;   in Loop: Header=BB6_2967 Depth=2
	v_and_b32_e32 v4, 0x7fffffff, v2
	v_mov_b32_e32 v5, v53
	v_cmp_gt_u64_e32 vcc, s[42:43], v[4:5]
	s_and_saveexec_b64 s[56:57], vcc
	s_cbranch_execz .LBB6_3324
; %bb.3317:                             ;   in Loop: Header=BB6_2967 Depth=2
	v_cmp_ne_u32_e32 vcc, 0, v2
	v_mov_b32_e32 v28, 0
	s_and_saveexec_b64 s[58:59], vcc
	s_cbranch_execz .LBB6_3323
; %bb.3318:                             ;   in Loop: Header=BB6_2967 Depth=2
	v_bfe_u32 v2, v2, 23, 8
	v_sub_u32_e32 v4, 0x79, v2
	v_cmp_gt_u32_e32 vcc, s73, v2
	v_cndmask_b32_e32 v4, 0, v4, vcc
	v_cmp_eq_u32_e32 vcc, 0, v2
	v_or_b32_e32 v5, 0x800000, v52
	v_cndmask_b32_e32 v4, v4, v32, vcc
	v_add_u32_e32 v3, 0xffffff81, v2
	v_cndmask_b32_e32 v52, v5, v52, vcc
	v_add_u32_e32 v2, 20, v4
	v_cndmask_b32_e32 v18, v3, v33, vcc
	v_lshlrev_b64 v[2:3], v2, -1
	v_add_u32_e32 v5, 19, v4
	v_lshrrev_b64 v[8:9], v4, v[52:53]
	v_not_b32_e32 v3, v3
	v_not_b32_e32 v2, v2
	v_lshlrev_b64 v[6:7], v5, 1
	v_lshrrev_b32_e32 v5, 23, v8
	v_and_b32_e32 v3, 0, v3
	v_and_b32_e32 v2, v52, v2
	v_add3_u32 v18, v4, v18, v5
	v_bfe_u32 v4, v8, 20, 1
	v_add_u32_e32 v4, -1, v4
	v_cmp_eq_u64_e32 vcc, v[2:3], v[6:7]
	v_cndmask_b32_e32 v2, 0, v4, vcc
	v_add_u32_e32 v2, v2, v8
	v_and_b32_e32 v2, 0xfffff, v2
	v_add_co_u32_e32 v2, vcc, v2, v8
	v_add_u32_e32 v5, 6, v18
	v_addc_co_u32_e32 v3, vcc, 0, v9, vcc
	v_cmp_ne_u32_e32 vcc, 0, v5
                                        ; implicit-def: $vgpr4
	s_and_saveexec_b64 s[18:19], vcc
	s_xor_b64 s[18:19], exec, s[18:19]
; %bb.3319:                             ;   in Loop: Header=BB6_2967 Depth=2
	v_add_u32_e32 v4, 7, v18
	v_cmp_lt_u64_e32 vcc, s[46:47], v[2:3]
	v_cndmask_b32_e32 v4, v5, v4, vcc
	v_cndmask_b32_e64 v5, 0, 1, vcc
	v_lshrrev_b64 v[2:3], v5, v[2:3]
; %bb.3320:                             ;   in Loop: Header=BB6_2967 Depth=2
	s_andn2_saveexec_b64 s[18:19], s[18:19]
; %bb.3321:                             ;   in Loop: Header=BB6_2967 Depth=2
	v_bfe_u32 v4, v2, 23, 1
; %bb.3322:                             ;   in Loop: Header=BB6_2967 Depth=2
	s_or_b64 exec, exec, s[18:19]
	v_lshrrev_b64 v[2:3], 20, v[2:3]
	v_cmp_gt_i32_e32 vcc, 16, v4
	v_cndmask_b32_e32 v3, 0, v3, vcc
	v_cndmask_b32_e32 v2, 7, v2, vcc
	v_cmp_eq_u64_e64 s[18:19], 0, v[2:3]
	v_min_i32_e32 v3, 15, v4
	v_cmp_eq_u32_e32 vcc, 0, v4
	v_lshlrev_b32_e32 v3, 3, v3
	v_and_or_b32 v2, v2, 7, v3
	s_and_b64 s[18:19], vcc, s[18:19]
	v_cndmask_b32_e64 v2, v2, 0, s[18:19]
	v_or_b32_e32 v28, v2, v1
.LBB6_3323:                             ;   in Loop: Header=BB6_2967 Depth=2
	s_or_b64 exec, exec, s[58:59]
.LBB6_3324:                             ;   in Loop: Header=BB6_2967 Depth=2
	s_or_b64 exec, exec, s[56:57]
                                        ; implicit-def: $vgpr2
.LBB6_3325:                             ;   in Loop: Header=BB6_2967 Depth=2
	s_andn2_saveexec_b64 s[18:19], s[20:21]
; %bb.3326:                             ;   in Loop: Header=BB6_2967 Depth=2
	v_or_b32_sdwa v1, v2, s71 dst_sel:DWORD dst_unused:UNUSED_PAD src0_sel:BYTE_3 src1_sel:DWORD
	v_cmp_eq_u64_e32 vcc, 0, v[52:53]
	v_cndmask_b32_e32 v28, v1, v28, vcc
; %bb.3327:                             ;   in Loop: Header=BB6_2967 Depth=2
	s_or_b64 exec, exec, s[18:19]
	v_lshrrev_b16_e32 v18, 8, v24
	v_lshrrev_b16_e32 v2, 8, v20
	v_cmp_ne_u16_e64 s[18:19], 0, v18
	s_and_b64 vcc, exec, s[54:55]
	s_cbranch_vccz .LBB6_3341
; %bb.3328:                             ;   in Loop: Header=BB6_2967 Depth=2
	v_mov_b32_e32 v3, 0
	v_mov_b32_e32 v1, 0
	s_and_saveexec_b64 s[20:21], s[18:19]
	s_cbranch_execz .LBB6_3334
; %bb.3329:                             ;   in Loop: Header=BB6_2967 Depth=2
	v_cmp_ne_u16_e32 vcc, s69, v18
	v_bfrev_b32_e32 v1, 1
	s_and_saveexec_b64 s[56:57], vcc
	s_cbranch_execz .LBB6_3333
; %bb.3330:                             ;   in Loop: Header=BB6_2967 Depth=2
	v_and_b32_e32 v4, 0x7f, v18
	v_cmp_ne_u32_e32 vcc, s71, v4
	v_mov_b32_e32 v1, 0x7f800001
	s_and_saveexec_b64 s[58:59], vcc
	s_cbranch_execz .LBB6_3332
; %bb.3331:                             ;   in Loop: Header=BB6_2967 Depth=2
	v_and_b32_e32 v1, 7, v18
	v_ffbh_u32_e32 v6, v1
	v_min_u32_e32 v8, 32, v6
	v_subrev_u32_e32 v6, 28, v8
	v_lshlrev_b64 v[6:7], v6, v[18:19]
	v_lshrrev_b32_e32 v5, 3, v4
	v_sub_u32_e32 v7, 29, v8
	v_and_b32_e32 v6, 7, v6
	v_cmp_gt_u32_e32 vcc, 8, v4
	v_cndmask_b32_e32 v4, v5, v7, vcc
	v_cndmask_b32_e32 v1, v1, v6, vcc
	v_lshlrev_b32_e32 v5, 16, v24
	v_lshlrev_b32_e32 v1, 20, v1
	v_and_b32_e32 v5, 0x80000000, v5
	v_lshl_add_u32 v4, v4, 23, v61
	v_or3_b32 v1, v5, v4, v1
.LBB6_3332:                             ;   in Loop: Header=BB6_2967 Depth=2
	s_or_b64 exec, exec, s[58:59]
.LBB6_3333:                             ;   in Loop: Header=BB6_2967 Depth=2
	s_or_b64 exec, exec, s[56:57]
.LBB6_3334:                             ;   in Loop: Header=BB6_2967 Depth=2
	s_or_b64 exec, exec, s[20:21]
	v_cmp_ne_u16_e32 vcc, 0, v2
	s_and_saveexec_b64 s[20:21], vcc
	s_cbranch_execz .LBB6_3340
; %bb.3335:                             ;   in Loop: Header=BB6_2967 Depth=2
	v_cmp_ne_u16_e32 vcc, s69, v2
	v_bfrev_b32_e32 v3, 1
	s_and_saveexec_b64 s[56:57], vcc
	s_cbranch_execz .LBB6_3339
; %bb.3336:                             ;   in Loop: Header=BB6_2967 Depth=2
	v_and_b32_e32 v4, 0x7f, v2
	v_cmp_ne_u32_e32 vcc, s71, v4
	v_mov_b32_e32 v3, 0x7f800001
	s_and_saveexec_b64 s[58:59], vcc
	s_cbranch_execz .LBB6_3338
; %bb.3337:                             ;   in Loop: Header=BB6_2967 Depth=2
	v_and_b32_e32 v3, 7, v2
	v_ffbh_u32_e32 v6, v3
	v_min_u32_e32 v8, 32, v6
	v_subrev_u32_e32 v6, 28, v8
	v_lshlrev_b64 v[6:7], v6, v[2:3]
	v_lshrrev_b32_e32 v5, 3, v4
	v_sub_u32_e32 v7, 29, v8
	v_and_b32_e32 v6, 7, v6
	v_cmp_gt_u32_e32 vcc, 8, v4
	v_cndmask_b32_e32 v4, v5, v7, vcc
	v_cndmask_b32_e32 v3, v3, v6, vcc
	v_lshlrev_b32_e32 v5, 16, v20
	v_lshlrev_b32_e32 v3, 20, v3
	v_and_b32_e32 v5, 0x80000000, v5
	v_lshl_add_u32 v4, v4, 23, v61
	v_or3_b32 v3, v5, v4, v3
.LBB6_3338:                             ;   in Loop: Header=BB6_2967 Depth=2
	s_or_b64 exec, exec, s[58:59]
.LBB6_3339:                             ;   in Loop: Header=BB6_2967 Depth=2
	s_or_b64 exec, exec, s[56:57]
.LBB6_3340:                             ;   in Loop: Header=BB6_2967 Depth=2
	s_or_b64 exec, exec, s[20:21]
	v_max_f32_e32 v3, v3, v3
	v_max_f32_e32 v1, v1, v1
	;; [unrolled: 1-line block ×3, first 2 shown]
	s_branch .LBB6_3355
.LBB6_3341:                             ;   in Loop: Header=BB6_2967 Depth=2
                                        ; implicit-def: $vgpr3
	s_cbranch_execz .LBB6_3355
; %bb.3342:                             ;   in Loop: Header=BB6_2967 Depth=2
	v_mov_b32_e32 v3, 0
	v_mov_b32_e32 v1, 0
	s_and_saveexec_b64 s[20:21], s[18:19]
	s_cbranch_execz .LBB6_3348
; %bb.3343:                             ;   in Loop: Header=BB6_2967 Depth=2
	v_cmp_ne_u16_e32 vcc, s69, v18
	v_bfrev_b32_e32 v1, 1
	s_and_saveexec_b64 s[18:19], vcc
	s_cbranch_execz .LBB6_3347
; %bb.3344:                             ;   in Loop: Header=BB6_2967 Depth=2
	v_and_b32_e32 v4, 0x7f, v18
	v_cmp_ne_u32_e32 vcc, s71, v4
	v_mov_b32_e32 v1, 0x7f800001
	s_and_saveexec_b64 s[56:57], vcc
	s_cbranch_execz .LBB6_3346
; %bb.3345:                             ;   in Loop: Header=BB6_2967 Depth=2
	v_and_b32_e32 v1, 7, v18
	v_ffbh_u32_e32 v6, v1
	v_min_u32_e32 v8, 32, v6
	v_subrev_u32_e32 v6, 28, v8
	v_lshlrev_b64 v[6:7], v6, v[18:19]
	v_lshrrev_b32_e32 v5, 3, v4
	v_sub_u32_e32 v7, 29, v8
	v_and_b32_e32 v6, 7, v6
	v_cmp_gt_u32_e32 vcc, 8, v4
	v_cndmask_b32_e32 v4, v5, v7, vcc
	v_cndmask_b32_e32 v1, v1, v6, vcc
	v_lshlrev_b32_e32 v5, 16, v24
	v_lshlrev_b32_e32 v1, 20, v1
	v_and_b32_e32 v5, 0x80000000, v5
	v_lshl_add_u32 v4, v4, 23, v61
	v_or3_b32 v1, v5, v4, v1
.LBB6_3346:                             ;   in Loop: Header=BB6_2967 Depth=2
	s_or_b64 exec, exec, s[56:57]
.LBB6_3347:                             ;   in Loop: Header=BB6_2967 Depth=2
	s_or_b64 exec, exec, s[18:19]
.LBB6_3348:                             ;   in Loop: Header=BB6_2967 Depth=2
	s_or_b64 exec, exec, s[20:21]
	v_cmp_ne_u16_e32 vcc, 0, v2
	s_and_saveexec_b64 s[18:19], vcc
	s_cbranch_execz .LBB6_3354
; %bb.3349:                             ;   in Loop: Header=BB6_2967 Depth=2
	v_cmp_ne_u16_e32 vcc, s69, v2
	v_bfrev_b32_e32 v3, 1
	s_and_saveexec_b64 s[20:21], vcc
	s_cbranch_execz .LBB6_3353
; %bb.3350:                             ;   in Loop: Header=BB6_2967 Depth=2
	v_and_b32_e32 v4, 0x7f, v2
	v_cmp_ne_u32_e32 vcc, s71, v4
	v_mov_b32_e32 v3, 0x7f800001
	s_and_saveexec_b64 s[56:57], vcc
	s_cbranch_execz .LBB6_3352
; %bb.3351:                             ;   in Loop: Header=BB6_2967 Depth=2
	v_and_b32_e32 v5, 7, v2
	v_ffbh_u32_e32 v3, v5
	v_min_u32_e32 v7, 32, v3
	v_subrev_u32_e32 v3, 28, v7
	v_lshlrev_b64 v[2:3], v3, v[2:3]
	v_lshrrev_b32_e32 v6, 3, v4
	v_sub_u32_e32 v3, 29, v7
	v_and_b32_e32 v2, 7, v2
	v_cmp_gt_u32_e32 vcc, 8, v4
	v_cndmask_b32_e32 v3, v6, v3, vcc
	v_cndmask_b32_e32 v2, v5, v2, vcc
	v_lshlrev_b32_e32 v4, 16, v20
	v_lshlrev_b32_e32 v2, 20, v2
	v_and_b32_e32 v4, 0x80000000, v4
	v_lshl_add_u32 v3, v3, 23, v61
	v_or3_b32 v3, v4, v3, v2
.LBB6_3352:                             ;   in Loop: Header=BB6_2967 Depth=2
	s_or_b64 exec, exec, s[56:57]
.LBB6_3353:                             ;   in Loop: Header=BB6_2967 Depth=2
	s_or_b64 exec, exec, s[20:21]
.LBB6_3354:                             ;   in Loop: Header=BB6_2967 Depth=2
	s_or_b64 exec, exec, s[18:19]
	v_max_f32_e32 v2, v3, v3
	v_max_f32_e32 v1, v1, v1
	v_min_f32_e32 v3, v1, v2
.LBB6_3355:                             ;   in Loop: Header=BB6_2967 Depth=2
	v_and_b32_sdwa v1, v3, s69 dst_sel:DWORD dst_unused:UNUSED_PAD src0_sel:BYTE_3 src1_sel:DWORD
	v_and_b32_e32 v4, 0x7f800000, v3
	v_mov_b32_e32 v5, v53
	v_and_b32_e32 v52, 0x7fffff, v3
	v_or_b32_e32 v40, 0x7e, v1
	v_cmp_ne_u64_e32 vcc, s[40:41], v[4:5]
	s_and_saveexec_b64 s[18:19], vcc
	s_xor_b64 s[20:21], exec, s[18:19]
	s_cbranch_execz .LBB6_3365
; %bb.3356:                             ;   in Loop: Header=BB6_2967 Depth=2
	v_and_b32_e32 v4, 0x7fffffff, v3
	v_mov_b32_e32 v5, v53
	v_cmp_gt_u64_e32 vcc, s[42:43], v[4:5]
	s_and_saveexec_b64 s[56:57], vcc
	s_cbranch_execz .LBB6_3364
; %bb.3357:                             ;   in Loop: Header=BB6_2967 Depth=2
	v_cmp_ne_u32_e32 vcc, 0, v3
	v_mov_b32_e32 v40, 0
	s_and_saveexec_b64 s[58:59], vcc
	s_cbranch_execz .LBB6_3363
; %bb.3358:                             ;   in Loop: Header=BB6_2967 Depth=2
	v_bfe_u32 v2, v3, 23, 8
	v_sub_u32_e32 v4, 0x79, v2
	v_cmp_gt_u32_e32 vcc, s73, v2
	v_cndmask_b32_e32 v4, 0, v4, vcc
	v_cmp_eq_u32_e32 vcc, 0, v2
	v_or_b32_e32 v5, 0x800000, v52
	v_cndmask_b32_e32 v4, v4, v32, vcc
	v_add_u32_e32 v3, 0xffffff81, v2
	v_cndmask_b32_e32 v52, v5, v52, vcc
	v_add_u32_e32 v2, 20, v4
	v_cndmask_b32_e32 v18, v3, v33, vcc
	v_lshlrev_b64 v[2:3], v2, -1
	v_add_u32_e32 v5, 19, v4
	v_lshrrev_b64 v[8:9], v4, v[52:53]
	v_not_b32_e32 v3, v3
	v_not_b32_e32 v2, v2
	v_lshlrev_b64 v[6:7], v5, 1
	v_lshrrev_b32_e32 v5, 23, v8
	v_and_b32_e32 v3, 0, v3
	v_and_b32_e32 v2, v52, v2
	v_add3_u32 v18, v4, v18, v5
	v_bfe_u32 v4, v8, 20, 1
	v_add_u32_e32 v4, -1, v4
	v_cmp_eq_u64_e32 vcc, v[2:3], v[6:7]
	v_cndmask_b32_e32 v2, 0, v4, vcc
	v_add_u32_e32 v2, v2, v8
	v_and_b32_e32 v2, 0xfffff, v2
	v_add_co_u32_e32 v2, vcc, v2, v8
	v_add_u32_e32 v5, 6, v18
	v_addc_co_u32_e32 v3, vcc, 0, v9, vcc
	v_cmp_ne_u32_e32 vcc, 0, v5
                                        ; implicit-def: $vgpr4
	s_and_saveexec_b64 s[18:19], vcc
	s_xor_b64 s[18:19], exec, s[18:19]
; %bb.3359:                             ;   in Loop: Header=BB6_2967 Depth=2
	v_add_u32_e32 v4, 7, v18
	v_cmp_lt_u64_e32 vcc, s[46:47], v[2:3]
	v_cndmask_b32_e32 v4, v5, v4, vcc
	v_cndmask_b32_e64 v5, 0, 1, vcc
	v_lshrrev_b64 v[2:3], v5, v[2:3]
; %bb.3360:                             ;   in Loop: Header=BB6_2967 Depth=2
	s_andn2_saveexec_b64 s[18:19], s[18:19]
; %bb.3361:                             ;   in Loop: Header=BB6_2967 Depth=2
	v_bfe_u32 v4, v2, 23, 1
; %bb.3362:                             ;   in Loop: Header=BB6_2967 Depth=2
	s_or_b64 exec, exec, s[18:19]
	v_lshrrev_b64 v[2:3], 20, v[2:3]
	v_cmp_gt_i32_e32 vcc, 16, v4
	v_cndmask_b32_e32 v3, 0, v3, vcc
	v_cndmask_b32_e32 v2, 7, v2, vcc
	v_cmp_eq_u64_e64 s[18:19], 0, v[2:3]
	v_min_i32_e32 v3, 15, v4
	v_cmp_eq_u32_e32 vcc, 0, v4
	v_lshlrev_b32_e32 v3, 3, v3
	v_and_or_b32 v2, v2, 7, v3
	s_and_b64 s[18:19], vcc, s[18:19]
	v_cndmask_b32_e64 v2, v2, 0, s[18:19]
	v_or_b32_e32 v40, v2, v1
.LBB6_3363:                             ;   in Loop: Header=BB6_2967 Depth=2
	s_or_b64 exec, exec, s[58:59]
.LBB6_3364:                             ;   in Loop: Header=BB6_2967 Depth=2
	s_or_b64 exec, exec, s[56:57]
                                        ; implicit-def: $vgpr3
.LBB6_3365:                             ;   in Loop: Header=BB6_2967 Depth=2
	s_andn2_saveexec_b64 s[18:19], s[20:21]
; %bb.3366:                             ;   in Loop: Header=BB6_2967 Depth=2
	v_or_b32_sdwa v1, v3, s71 dst_sel:DWORD dst_unused:UNUSED_PAD src0_sel:BYTE_3 src1_sel:DWORD
	v_cmp_eq_u64_e32 vcc, 0, v[52:53]
	v_cndmask_b32_e32 v40, v1, v40, vcc
; %bb.3367:                             ;   in Loop: Header=BB6_2967 Depth=2
	s_or_b64 exec, exec, s[18:19]
	v_lshrrev_b32_e32 v18, 16, v24
	v_lshrrev_b32_e32 v2, 16, v20
	v_cmp_ne_u16_sdwa s[18:19], v18, v53 src0_sel:BYTE_0 src1_sel:DWORD
	s_and_b64 vcc, exec, s[54:55]
	s_cbranch_vccz .LBB6_3381
; %bb.3368:                             ;   in Loop: Header=BB6_2967 Depth=2
	v_mov_b32_e32 v3, 0
	v_mov_b32_e32 v1, 0
	s_and_saveexec_b64 s[20:21], s[18:19]
	s_cbranch_execz .LBB6_3374
; %bb.3369:                             ;   in Loop: Header=BB6_2967 Depth=2
	v_cmp_ne_u16_sdwa vcc, v18, s69 src0_sel:BYTE_0 src1_sel:DWORD
	v_bfrev_b32_e32 v1, 1
	s_and_saveexec_b64 s[56:57], vcc
	s_cbranch_execz .LBB6_3373
; %bb.3370:                             ;   in Loop: Header=BB6_2967 Depth=2
	v_bfe_u32 v4, v24, 16, 7
	v_cmp_ne_u32_e32 vcc, s71, v4
	v_mov_b32_e32 v1, 0x7f800001
	s_and_saveexec_b64 s[58:59], vcc
	s_cbranch_execz .LBB6_3372
; %bb.3371:                             ;   in Loop: Header=BB6_2967 Depth=2
	v_and_b32_e32 v1, 7, v18
	v_ffbh_u32_e32 v6, v1
	v_min_u32_e32 v8, 32, v6
	v_subrev_u32_e32 v6, 28, v8
	v_lshlrev_b64 v[6:7], v6, v[18:19]
	v_lshrrev_b32_e32 v5, 3, v4
	v_sub_u32_e32 v7, 29, v8
	v_and_b32_e32 v6, 7, v6
	v_cmp_gt_u32_e32 vcc, 8, v4
	v_cndmask_b32_e32 v4, v5, v7, vcc
	v_cndmask_b32_e32 v1, v1, v6, vcc
	v_lshlrev_b32_e32 v5, 24, v18
	v_lshlrev_b32_e32 v1, 20, v1
	v_and_b32_e32 v5, 0x80000000, v5
	v_lshl_add_u32 v4, v4, 23, v61
	v_or3_b32 v1, v5, v4, v1
.LBB6_3372:                             ;   in Loop: Header=BB6_2967 Depth=2
	s_or_b64 exec, exec, s[58:59]
.LBB6_3373:                             ;   in Loop: Header=BB6_2967 Depth=2
	s_or_b64 exec, exec, s[56:57]
.LBB6_3374:                             ;   in Loop: Header=BB6_2967 Depth=2
	s_or_b64 exec, exec, s[20:21]
	v_cmp_ne_u16_sdwa vcc, v2, v53 src0_sel:BYTE_0 src1_sel:DWORD
	s_and_saveexec_b64 s[20:21], vcc
	s_cbranch_execz .LBB6_3380
; %bb.3375:                             ;   in Loop: Header=BB6_2967 Depth=2
	v_cmp_ne_u16_sdwa vcc, v2, s69 src0_sel:BYTE_0 src1_sel:DWORD
	v_bfrev_b32_e32 v3, 1
	s_and_saveexec_b64 s[56:57], vcc
	s_cbranch_execz .LBB6_3379
; %bb.3376:                             ;   in Loop: Header=BB6_2967 Depth=2
	v_bfe_u32 v4, v20, 16, 7
	v_cmp_ne_u32_e32 vcc, s71, v4
	v_mov_b32_e32 v3, 0x7f800001
	s_and_saveexec_b64 s[58:59], vcc
	s_cbranch_execz .LBB6_3378
; %bb.3377:                             ;   in Loop: Header=BB6_2967 Depth=2
	v_and_b32_e32 v3, 7, v2
	v_ffbh_u32_e32 v6, v3
	v_min_u32_e32 v8, 32, v6
	v_subrev_u32_e32 v6, 28, v8
	v_lshlrev_b64 v[6:7], v6, v[2:3]
	v_lshrrev_b32_e32 v5, 3, v4
	v_sub_u32_e32 v7, 29, v8
	v_and_b32_e32 v6, 7, v6
	v_cmp_gt_u32_e32 vcc, 8, v4
	v_cndmask_b32_e32 v4, v5, v7, vcc
	v_cndmask_b32_e32 v3, v3, v6, vcc
	v_lshlrev_b32_e32 v5, 24, v2
	v_lshlrev_b32_e32 v3, 20, v3
	v_and_b32_e32 v5, 0x80000000, v5
	v_lshl_add_u32 v4, v4, 23, v61
	v_or3_b32 v3, v5, v4, v3
.LBB6_3378:                             ;   in Loop: Header=BB6_2967 Depth=2
	s_or_b64 exec, exec, s[58:59]
.LBB6_3379:                             ;   in Loop: Header=BB6_2967 Depth=2
	s_or_b64 exec, exec, s[56:57]
.LBB6_3380:                             ;   in Loop: Header=BB6_2967 Depth=2
	s_or_b64 exec, exec, s[20:21]
	v_max_f32_e32 v3, v3, v3
	v_max_f32_e32 v1, v1, v1
	;; [unrolled: 1-line block ×3, first 2 shown]
	s_branch .LBB6_3395
.LBB6_3381:                             ;   in Loop: Header=BB6_2967 Depth=2
                                        ; implicit-def: $vgpr3
	s_cbranch_execz .LBB6_3395
; %bb.3382:                             ;   in Loop: Header=BB6_2967 Depth=2
	v_mov_b32_e32 v3, 0
	v_mov_b32_e32 v1, 0
	s_and_saveexec_b64 s[20:21], s[18:19]
	s_cbranch_execz .LBB6_3388
; %bb.3383:                             ;   in Loop: Header=BB6_2967 Depth=2
	v_cmp_ne_u16_sdwa vcc, v18, s69 src0_sel:BYTE_0 src1_sel:DWORD
	v_bfrev_b32_e32 v1, 1
	s_and_saveexec_b64 s[18:19], vcc
	s_cbranch_execz .LBB6_3387
; %bb.3384:                             ;   in Loop: Header=BB6_2967 Depth=2
	v_bfe_u32 v4, v24, 16, 7
	v_cmp_ne_u32_e32 vcc, s71, v4
	v_mov_b32_e32 v1, 0x7f800001
	s_and_saveexec_b64 s[56:57], vcc
	s_cbranch_execz .LBB6_3386
; %bb.3385:                             ;   in Loop: Header=BB6_2967 Depth=2
	v_and_b32_e32 v1, 7, v18
	v_ffbh_u32_e32 v6, v1
	v_min_u32_e32 v8, 32, v6
	v_subrev_u32_e32 v6, 28, v8
	v_lshlrev_b64 v[6:7], v6, v[18:19]
	v_lshrrev_b32_e32 v5, 3, v4
	v_sub_u32_e32 v7, 29, v8
	v_and_b32_e32 v6, 7, v6
	v_cmp_gt_u32_e32 vcc, 8, v4
	v_cndmask_b32_e32 v4, v5, v7, vcc
	v_cndmask_b32_e32 v1, v1, v6, vcc
	v_lshlrev_b32_e32 v5, 24, v18
	v_lshlrev_b32_e32 v1, 20, v1
	v_and_b32_e32 v5, 0x80000000, v5
	v_lshl_add_u32 v4, v4, 23, v61
	v_or3_b32 v1, v5, v4, v1
.LBB6_3386:                             ;   in Loop: Header=BB6_2967 Depth=2
	s_or_b64 exec, exec, s[56:57]
.LBB6_3387:                             ;   in Loop: Header=BB6_2967 Depth=2
	s_or_b64 exec, exec, s[18:19]
.LBB6_3388:                             ;   in Loop: Header=BB6_2967 Depth=2
	s_or_b64 exec, exec, s[20:21]
	v_cmp_ne_u16_sdwa s[20:21], v2, v53 src0_sel:BYTE_0 src1_sel:DWORD
	s_and_saveexec_b64 s[18:19], s[20:21]
	s_cbranch_execz .LBB6_3394
; %bb.3389:                             ;   in Loop: Header=BB6_2967 Depth=2
	v_cmp_ne_u16_sdwa vcc, v2, s69 src0_sel:BYTE_0 src1_sel:DWORD
	v_bfrev_b32_e32 v3, 1
	s_and_saveexec_b64 s[20:21], vcc
	s_cbranch_execz .LBB6_3393
; %bb.3390:                             ;   in Loop: Header=BB6_2967 Depth=2
	v_bfe_u32 v4, v20, 16, 7
	v_cmp_ne_u32_e32 vcc, s71, v4
	v_mov_b32_e32 v3, 0x7f800001
	s_and_saveexec_b64 s[56:57], vcc
	s_cbranch_execz .LBB6_3392
; %bb.3391:                             ;   in Loop: Header=BB6_2967 Depth=2
	v_and_b32_e32 v3, 7, v2
	v_ffbh_u32_e32 v6, v3
	v_min_u32_e32 v8, 32, v6
	v_subrev_u32_e32 v6, 28, v8
	v_lshlrev_b64 v[6:7], v6, v[2:3]
	v_lshrrev_b32_e32 v5, 3, v4
	v_sub_u32_e32 v7, 29, v8
	v_and_b32_e32 v6, 7, v6
	v_cmp_gt_u32_e32 vcc, 8, v4
	v_cndmask_b32_e32 v4, v5, v7, vcc
	v_cndmask_b32_e32 v3, v3, v6, vcc
	v_lshlrev_b32_e32 v2, 24, v2
	v_lshlrev_b32_e32 v3, 20, v3
	v_and_b32_e32 v2, 0x80000000, v2
	v_lshl_add_u32 v4, v4, 23, v61
	v_or3_b32 v3, v2, v4, v3
.LBB6_3392:                             ;   in Loop: Header=BB6_2967 Depth=2
	s_or_b64 exec, exec, s[56:57]
.LBB6_3393:                             ;   in Loop: Header=BB6_2967 Depth=2
	s_or_b64 exec, exec, s[20:21]
.LBB6_3394:                             ;   in Loop: Header=BB6_2967 Depth=2
	s_or_b64 exec, exec, s[18:19]
	v_max_f32_e32 v2, v3, v3
	v_max_f32_e32 v1, v1, v1
	v_min_f32_e32 v3, v1, v2
.LBB6_3395:                             ;   in Loop: Header=BB6_2967 Depth=2
	v_and_b32_sdwa v1, v3, s69 dst_sel:DWORD dst_unused:UNUSED_PAD src0_sel:BYTE_3 src1_sel:DWORD
	v_and_b32_e32 v4, 0x7f800000, v3
	v_mov_b32_e32 v5, v53
	v_and_b32_e32 v52, 0x7fffff, v3
	v_or_b32_e32 v50, 0x7e, v1
	v_cmp_ne_u64_e32 vcc, s[40:41], v[4:5]
	s_and_saveexec_b64 s[18:19], vcc
	s_xor_b64 s[20:21], exec, s[18:19]
	s_cbranch_execz .LBB6_3405
; %bb.3396:                             ;   in Loop: Header=BB6_2967 Depth=2
	v_and_b32_e32 v4, 0x7fffffff, v3
	v_mov_b32_e32 v5, v53
	v_cmp_gt_u64_e32 vcc, s[42:43], v[4:5]
	s_and_saveexec_b64 s[56:57], vcc
	s_cbranch_execz .LBB6_3404
; %bb.3397:                             ;   in Loop: Header=BB6_2967 Depth=2
	v_cmp_ne_u32_e32 vcc, 0, v3
	v_mov_b32_e32 v50, 0
	s_and_saveexec_b64 s[58:59], vcc
	s_cbranch_execz .LBB6_3403
; %bb.3398:                             ;   in Loop: Header=BB6_2967 Depth=2
	v_bfe_u32 v2, v3, 23, 8
	v_sub_u32_e32 v4, 0x79, v2
	v_cmp_gt_u32_e32 vcc, s73, v2
	v_cndmask_b32_e32 v4, 0, v4, vcc
	v_cmp_eq_u32_e32 vcc, 0, v2
	v_or_b32_e32 v5, 0x800000, v52
	v_cndmask_b32_e32 v4, v4, v32, vcc
	v_add_u32_e32 v3, 0xffffff81, v2
	v_cndmask_b32_e32 v52, v5, v52, vcc
	v_add_u32_e32 v2, 20, v4
	v_cndmask_b32_e32 v18, v3, v33, vcc
	v_lshlrev_b64 v[2:3], v2, -1
	v_add_u32_e32 v5, 19, v4
	v_lshrrev_b64 v[8:9], v4, v[52:53]
	v_not_b32_e32 v3, v3
	v_not_b32_e32 v2, v2
	v_lshlrev_b64 v[6:7], v5, 1
	v_lshrrev_b32_e32 v5, 23, v8
	v_and_b32_e32 v3, 0, v3
	v_and_b32_e32 v2, v52, v2
	v_add3_u32 v18, v4, v18, v5
	v_bfe_u32 v4, v8, 20, 1
	v_add_u32_e32 v4, -1, v4
	v_cmp_eq_u64_e32 vcc, v[2:3], v[6:7]
	v_cndmask_b32_e32 v2, 0, v4, vcc
	v_add_u32_e32 v2, v2, v8
	v_and_b32_e32 v2, 0xfffff, v2
	v_add_co_u32_e32 v2, vcc, v2, v8
	v_add_u32_e32 v5, 6, v18
	v_addc_co_u32_e32 v3, vcc, 0, v9, vcc
	v_cmp_ne_u32_e32 vcc, 0, v5
                                        ; implicit-def: $vgpr4
	s_and_saveexec_b64 s[18:19], vcc
	s_xor_b64 s[18:19], exec, s[18:19]
; %bb.3399:                             ;   in Loop: Header=BB6_2967 Depth=2
	v_add_u32_e32 v4, 7, v18
	v_cmp_lt_u64_e32 vcc, s[46:47], v[2:3]
	v_cndmask_b32_e32 v4, v5, v4, vcc
	v_cndmask_b32_e64 v5, 0, 1, vcc
	v_lshrrev_b64 v[2:3], v5, v[2:3]
; %bb.3400:                             ;   in Loop: Header=BB6_2967 Depth=2
	s_andn2_saveexec_b64 s[18:19], s[18:19]
; %bb.3401:                             ;   in Loop: Header=BB6_2967 Depth=2
	v_bfe_u32 v4, v2, 23, 1
; %bb.3402:                             ;   in Loop: Header=BB6_2967 Depth=2
	s_or_b64 exec, exec, s[18:19]
	v_lshrrev_b64 v[2:3], 20, v[2:3]
	v_cmp_gt_i32_e32 vcc, 16, v4
	v_cndmask_b32_e32 v3, 0, v3, vcc
	v_cndmask_b32_e32 v2, 7, v2, vcc
	v_cmp_eq_u64_e64 s[18:19], 0, v[2:3]
	v_min_i32_e32 v3, 15, v4
	v_cmp_eq_u32_e32 vcc, 0, v4
	v_lshlrev_b32_e32 v3, 3, v3
	v_and_or_b32 v2, v2, 7, v3
	s_and_b64 s[18:19], vcc, s[18:19]
	v_cndmask_b32_e64 v2, v2, 0, s[18:19]
	v_or_b32_e32 v50, v2, v1
.LBB6_3403:                             ;   in Loop: Header=BB6_2967 Depth=2
	s_or_b64 exec, exec, s[58:59]
.LBB6_3404:                             ;   in Loop: Header=BB6_2967 Depth=2
	s_or_b64 exec, exec, s[56:57]
                                        ; implicit-def: $vgpr3
.LBB6_3405:                             ;   in Loop: Header=BB6_2967 Depth=2
	s_andn2_saveexec_b64 s[18:19], s[20:21]
; %bb.3406:                             ;   in Loop: Header=BB6_2967 Depth=2
	v_or_b32_sdwa v1, v3, s71 dst_sel:DWORD dst_unused:UNUSED_PAD src0_sel:BYTE_3 src1_sel:DWORD
	v_cmp_eq_u64_e32 vcc, 0, v[52:53]
	v_cndmask_b32_e32 v50, v1, v50, vcc
; %bb.3407:                             ;   in Loop: Header=BB6_2967 Depth=2
	s_or_b64 exec, exec, s[18:19]
	v_lshrrev_b32_e32 v18, 24, v24
	v_lshrrev_b32_e32 v2, 24, v20
	v_cmp_lt_u32_e64 s[18:19], s45, v24
	s_and_b64 vcc, exec, s[54:55]
	s_cbranch_vccz .LBB6_3421
; %bb.3408:                             ;   in Loop: Header=BB6_2967 Depth=2
	v_mov_b32_e32 v3, 0
	v_mov_b32_e32 v1, 0
	s_and_saveexec_b64 s[20:21], s[18:19]
	s_cbranch_execz .LBB6_3414
; %bb.3409:                             ;   in Loop: Header=BB6_2967 Depth=2
	v_cmp_ne_u32_e32 vcc, s69, v18
	v_bfrev_b32_e32 v1, 1
	s_and_saveexec_b64 s[56:57], vcc
	s_cbranch_execz .LBB6_3413
; %bb.3410:                             ;   in Loop: Header=BB6_2967 Depth=2
	v_bfe_u32 v4, v24, 24, 7
	v_cmp_ne_u32_e32 vcc, s71, v4
	v_mov_b32_e32 v1, 0x7f800001
	s_and_saveexec_b64 s[58:59], vcc
	s_cbranch_execz .LBB6_3412
; %bb.3411:                             ;   in Loop: Header=BB6_2967 Depth=2
	v_and_b32_e32 v1, 7, v18
	v_ffbh_u32_e32 v6, v1
	v_min_u32_e32 v8, 32, v6
	v_subrev_u32_e32 v6, 28, v8
	v_lshlrev_b64 v[6:7], v6, v[18:19]
	v_lshrrev_b32_e32 v5, 3, v4
	v_sub_u32_e32 v7, 29, v8
	v_and_b32_e32 v6, 7, v6
	v_cmp_gt_u32_e32 vcc, 8, v4
	v_cndmask_b32_e32 v4, v5, v7, vcc
	v_cndmask_b32_e32 v1, v1, v6, vcc
	v_lshlrev_b32_e32 v5, 24, v18
	v_lshlrev_b32_e32 v1, 20, v1
	v_and_b32_e32 v5, 0x80000000, v5
	v_lshl_add_u32 v4, v4, 23, v61
	v_or3_b32 v1, v5, v4, v1
.LBB6_3412:                             ;   in Loop: Header=BB6_2967 Depth=2
	s_or_b64 exec, exec, s[58:59]
.LBB6_3413:                             ;   in Loop: Header=BB6_2967 Depth=2
	s_or_b64 exec, exec, s[56:57]
.LBB6_3414:                             ;   in Loop: Header=BB6_2967 Depth=2
	s_or_b64 exec, exec, s[20:21]
	v_cmp_lt_u32_e32 vcc, s45, v20
	s_and_saveexec_b64 s[20:21], vcc
	s_cbranch_execz .LBB6_3420
; %bb.3415:                             ;   in Loop: Header=BB6_2967 Depth=2
	v_cmp_ne_u32_e32 vcc, s69, v2
	v_bfrev_b32_e32 v3, 1
	s_and_saveexec_b64 s[56:57], vcc
	s_cbranch_execz .LBB6_3419
; %bb.3416:                             ;   in Loop: Header=BB6_2967 Depth=2
	v_bfe_u32 v4, v20, 24, 7
	v_cmp_ne_u32_e32 vcc, s71, v4
	v_mov_b32_e32 v3, 0x7f800001
	s_and_saveexec_b64 s[58:59], vcc
	s_cbranch_execz .LBB6_3418
; %bb.3417:                             ;   in Loop: Header=BB6_2967 Depth=2
	v_and_b32_e32 v3, 7, v2
	v_ffbh_u32_e32 v6, v3
	v_min_u32_e32 v8, 32, v6
	v_subrev_u32_e32 v6, 28, v8
	v_lshlrev_b64 v[6:7], v6, v[2:3]
	v_lshrrev_b32_e32 v5, 3, v4
	v_sub_u32_e32 v7, 29, v8
	v_and_b32_e32 v6, 7, v6
	v_cmp_gt_u32_e32 vcc, 8, v4
	v_cndmask_b32_e32 v4, v5, v7, vcc
	v_cndmask_b32_e32 v3, v3, v6, vcc
	v_lshlrev_b32_e32 v5, 24, v2
	v_lshlrev_b32_e32 v3, 20, v3
	v_and_b32_e32 v5, 0x80000000, v5
	v_lshl_add_u32 v4, v4, 23, v61
	v_or3_b32 v3, v5, v4, v3
.LBB6_3418:                             ;   in Loop: Header=BB6_2967 Depth=2
	s_or_b64 exec, exec, s[58:59]
.LBB6_3419:                             ;   in Loop: Header=BB6_2967 Depth=2
	s_or_b64 exec, exec, s[56:57]
.LBB6_3420:                             ;   in Loop: Header=BB6_2967 Depth=2
	s_or_b64 exec, exec, s[20:21]
	v_max_f32_e32 v3, v3, v3
	v_max_f32_e32 v1, v1, v1
	;; [unrolled: 1-line block ×3, first 2 shown]
	s_branch .LBB6_3435
.LBB6_3421:                             ;   in Loop: Header=BB6_2967 Depth=2
                                        ; implicit-def: $vgpr3
	s_cbranch_execz .LBB6_3435
; %bb.3422:                             ;   in Loop: Header=BB6_2967 Depth=2
	v_mov_b32_e32 v3, 0
	v_mov_b32_e32 v1, 0
	s_and_saveexec_b64 s[20:21], s[18:19]
	s_cbranch_execz .LBB6_3428
; %bb.3423:                             ;   in Loop: Header=BB6_2967 Depth=2
	v_cmp_ne_u32_e32 vcc, s69, v18
	v_bfrev_b32_e32 v1, 1
	s_and_saveexec_b64 s[18:19], vcc
	s_cbranch_execz .LBB6_3427
; %bb.3424:                             ;   in Loop: Header=BB6_2967 Depth=2
	v_bfe_u32 v4, v24, 24, 7
	v_cmp_ne_u32_e32 vcc, s71, v4
	v_mov_b32_e32 v1, 0x7f800001
	s_and_saveexec_b64 s[56:57], vcc
	s_cbranch_execz .LBB6_3426
; %bb.3425:                             ;   in Loop: Header=BB6_2967 Depth=2
	v_and_b32_e32 v1, 7, v18
	v_ffbh_u32_e32 v6, v1
	v_min_u32_e32 v8, 32, v6
	v_subrev_u32_e32 v6, 28, v8
	v_lshlrev_b64 v[6:7], v6, v[18:19]
	v_lshrrev_b32_e32 v5, 3, v4
	v_sub_u32_e32 v7, 29, v8
	v_and_b32_e32 v6, 7, v6
	v_cmp_gt_u32_e32 vcc, 8, v4
	v_cndmask_b32_e32 v4, v5, v7, vcc
	v_cndmask_b32_e32 v1, v1, v6, vcc
	v_lshlrev_b32_e32 v5, 24, v18
	v_lshlrev_b32_e32 v1, 20, v1
	v_and_b32_e32 v5, 0x80000000, v5
	v_lshl_add_u32 v4, v4, 23, v61
	v_or3_b32 v1, v5, v4, v1
.LBB6_3426:                             ;   in Loop: Header=BB6_2967 Depth=2
	s_or_b64 exec, exec, s[56:57]
.LBB6_3427:                             ;   in Loop: Header=BB6_2967 Depth=2
	s_or_b64 exec, exec, s[18:19]
.LBB6_3428:                             ;   in Loop: Header=BB6_2967 Depth=2
	s_or_b64 exec, exec, s[20:21]
	v_cmp_lt_u32_e32 vcc, s45, v20
	s_and_saveexec_b64 s[18:19], vcc
	s_cbranch_execz .LBB6_3434
; %bb.3429:                             ;   in Loop: Header=BB6_2967 Depth=2
	v_cmp_ne_u32_e32 vcc, s69, v2
	v_bfrev_b32_e32 v3, 1
	s_and_saveexec_b64 s[20:21], vcc
	s_cbranch_execz .LBB6_3433
; %bb.3430:                             ;   in Loop: Header=BB6_2967 Depth=2
	v_bfe_u32 v4, v20, 24, 7
	v_cmp_ne_u32_e32 vcc, s71, v4
	v_mov_b32_e32 v3, 0x7f800001
	s_and_saveexec_b64 s[56:57], vcc
	s_cbranch_execz .LBB6_3432
; %bb.3431:                             ;   in Loop: Header=BB6_2967 Depth=2
	v_and_b32_e32 v3, 7, v2
	v_ffbh_u32_e32 v6, v3
	v_min_u32_e32 v8, 32, v6
	v_subrev_u32_e32 v6, 28, v8
	v_lshlrev_b64 v[6:7], v6, v[2:3]
	v_lshrrev_b32_e32 v5, 3, v4
	v_sub_u32_e32 v7, 29, v8
	v_and_b32_e32 v6, 7, v6
	v_cmp_gt_u32_e32 vcc, 8, v4
	v_cndmask_b32_e32 v4, v5, v7, vcc
	v_cndmask_b32_e32 v3, v3, v6, vcc
	v_lshlrev_b32_e32 v2, 24, v2
	v_lshlrev_b32_e32 v3, 20, v3
	v_and_b32_e32 v2, 0x80000000, v2
	v_lshl_add_u32 v4, v4, 23, v61
	v_or3_b32 v3, v2, v4, v3
.LBB6_3432:                             ;   in Loop: Header=BB6_2967 Depth=2
	s_or_b64 exec, exec, s[56:57]
.LBB6_3433:                             ;   in Loop: Header=BB6_2967 Depth=2
	s_or_b64 exec, exec, s[20:21]
.LBB6_3434:                             ;   in Loop: Header=BB6_2967 Depth=2
	s_or_b64 exec, exec, s[18:19]
	v_max_f32_e32 v2, v3, v3
	v_max_f32_e32 v1, v1, v1
	v_min_f32_e32 v3, v1, v2
.LBB6_3435:                             ;   in Loop: Header=BB6_2967 Depth=2
	v_and_b32_sdwa v1, v3, s69 dst_sel:DWORD dst_unused:UNUSED_PAD src0_sel:BYTE_3 src1_sel:DWORD
	v_and_b32_e32 v4, 0x7f800000, v3
	v_mov_b32_e32 v5, v53
	v_and_b32_e32 v52, 0x7fffff, v3
	v_or_b32_e32 v44, 0x7e, v1
	v_cmp_ne_u64_e32 vcc, s[40:41], v[4:5]
	s_and_saveexec_b64 s[18:19], vcc
	s_xor_b64 s[20:21], exec, s[18:19]
	s_cbranch_execz .LBB6_3445
; %bb.3436:                             ;   in Loop: Header=BB6_2967 Depth=2
	v_and_b32_e32 v4, 0x7fffffff, v3
	v_mov_b32_e32 v5, v53
	v_cmp_gt_u64_e32 vcc, s[42:43], v[4:5]
	s_and_saveexec_b64 s[56:57], vcc
	s_cbranch_execz .LBB6_3444
; %bb.3437:                             ;   in Loop: Header=BB6_2967 Depth=2
	v_cmp_ne_u32_e32 vcc, 0, v3
	v_mov_b32_e32 v44, 0
	s_and_saveexec_b64 s[58:59], vcc
	s_cbranch_execz .LBB6_3443
; %bb.3438:                             ;   in Loop: Header=BB6_2967 Depth=2
	v_bfe_u32 v2, v3, 23, 8
	v_sub_u32_e32 v4, 0x79, v2
	v_cmp_gt_u32_e32 vcc, s73, v2
	v_cndmask_b32_e32 v4, 0, v4, vcc
	v_cmp_eq_u32_e32 vcc, 0, v2
	v_or_b32_e32 v5, 0x800000, v52
	v_cndmask_b32_e32 v4, v4, v32, vcc
	v_add_u32_e32 v3, 0xffffff81, v2
	v_cndmask_b32_e32 v52, v5, v52, vcc
	v_add_u32_e32 v2, 20, v4
	v_cndmask_b32_e32 v18, v3, v33, vcc
	v_lshlrev_b64 v[2:3], v2, -1
	v_add_u32_e32 v5, 19, v4
	v_lshrrev_b64 v[8:9], v4, v[52:53]
	v_not_b32_e32 v3, v3
	v_not_b32_e32 v2, v2
	v_lshlrev_b64 v[6:7], v5, 1
	v_lshrrev_b32_e32 v5, 23, v8
	v_and_b32_e32 v3, 0, v3
	v_and_b32_e32 v2, v52, v2
	v_add3_u32 v18, v4, v18, v5
	v_bfe_u32 v4, v8, 20, 1
	v_add_u32_e32 v4, -1, v4
	v_cmp_eq_u64_e32 vcc, v[2:3], v[6:7]
	v_cndmask_b32_e32 v2, 0, v4, vcc
	v_add_u32_e32 v2, v2, v8
	v_and_b32_e32 v2, 0xfffff, v2
	v_add_co_u32_e32 v2, vcc, v2, v8
	v_add_u32_e32 v5, 6, v18
	v_addc_co_u32_e32 v3, vcc, 0, v9, vcc
	v_cmp_ne_u32_e32 vcc, 0, v5
                                        ; implicit-def: $vgpr4
	s_and_saveexec_b64 s[18:19], vcc
	s_xor_b64 s[18:19], exec, s[18:19]
; %bb.3439:                             ;   in Loop: Header=BB6_2967 Depth=2
	v_add_u32_e32 v4, 7, v18
	v_cmp_lt_u64_e32 vcc, s[46:47], v[2:3]
	v_cndmask_b32_e32 v4, v5, v4, vcc
	v_cndmask_b32_e64 v5, 0, 1, vcc
	v_lshrrev_b64 v[2:3], v5, v[2:3]
; %bb.3440:                             ;   in Loop: Header=BB6_2967 Depth=2
	s_andn2_saveexec_b64 s[18:19], s[18:19]
; %bb.3441:                             ;   in Loop: Header=BB6_2967 Depth=2
	v_bfe_u32 v4, v2, 23, 1
; %bb.3442:                             ;   in Loop: Header=BB6_2967 Depth=2
	s_or_b64 exec, exec, s[18:19]
	v_lshrrev_b64 v[2:3], 20, v[2:3]
	v_cmp_gt_i32_e32 vcc, 16, v4
	v_cndmask_b32_e32 v3, 0, v3, vcc
	v_cndmask_b32_e32 v2, 7, v2, vcc
	v_cmp_eq_u64_e64 s[18:19], 0, v[2:3]
	v_min_i32_e32 v3, 15, v4
	v_cmp_eq_u32_e32 vcc, 0, v4
	v_lshlrev_b32_e32 v3, 3, v3
	v_and_or_b32 v2, v2, 7, v3
	s_and_b64 s[18:19], vcc, s[18:19]
	v_cndmask_b32_e64 v2, v2, 0, s[18:19]
	v_or_b32_e32 v44, v2, v1
.LBB6_3443:                             ;   in Loop: Header=BB6_2967 Depth=2
	s_or_b64 exec, exec, s[58:59]
.LBB6_3444:                             ;   in Loop: Header=BB6_2967 Depth=2
	s_or_b64 exec, exec, s[56:57]
                                        ; implicit-def: $vgpr3
.LBB6_3445:                             ;   in Loop: Header=BB6_2967 Depth=2
	s_andn2_saveexec_b64 s[18:19], s[20:21]
; %bb.3446:                             ;   in Loop: Header=BB6_2967 Depth=2
	v_or_b32_sdwa v1, v3, s71 dst_sel:DWORD dst_unused:UNUSED_PAD src0_sel:BYTE_3 src1_sel:DWORD
	v_cmp_eq_u64_e32 vcc, 0, v[52:53]
	v_cndmask_b32_e32 v44, v1, v44, vcc
; %bb.3447:                             ;   in Loop: Header=BB6_2967 Depth=2
	s_or_b64 exec, exec, s[18:19]
	v_mov_b32_e32 v52, v25
	v_mov_b32_e32 v2, v21
	;; [unrolled: 1-line block ×3, first 2 shown]
	v_cmp_ne_u16_sdwa s[18:19], v25, v53 src0_sel:BYTE_0 src1_sel:DWORD
	s_and_b64 vcc, exec, s[54:55]
	s_cbranch_vccz .LBB6_3461
; %bb.3448:                             ;   in Loop: Header=BB6_2967 Depth=2
	v_mov_b32_e32 v4, 0
	v_mov_b32_e32 v1, 0
	s_and_saveexec_b64 s[20:21], s[18:19]
	s_cbranch_execz .LBB6_3454
; %bb.3449:                             ;   in Loop: Header=BB6_2967 Depth=2
	v_cmp_ne_u16_sdwa vcc, v25, s69 src0_sel:BYTE_0 src1_sel:DWORD
	v_bfrev_b32_e32 v1, 1
	s_and_saveexec_b64 s[56:57], vcc
	s_cbranch_execz .LBB6_3453
; %bb.3450:                             ;   in Loop: Header=BB6_2967 Depth=2
	v_and_b32_e32 v5, 0x7f, v25
	v_cmp_ne_u32_e32 vcc, s71, v5
	v_mov_b32_e32 v1, 0x7f800001
	s_and_saveexec_b64 s[58:59], vcc
	s_cbranch_execz .LBB6_3452
; %bb.3451:                             ;   in Loop: Header=BB6_2967 Depth=2
	v_and_b32_e32 v1, 7, v25
	v_ffbh_u32_e32 v1, v1
	v_min_u32_e32 v1, 32, v1
	v_subrev_u32_e32 v7, 28, v1
	v_cmp_gt_u32_e32 vcc, 8, v5
	v_lshrrev_b32_e32 v6, 3, v5
	v_sub_u32_e32 v1, 29, v1
	v_cndmask_b32_e32 v5, 0, v7, vcc
	v_cndmask_b32_e32 v1, v6, v1, vcc
	v_lshlrev_b64 v[6:7], v5, v[52:53]
	v_lshlrev_b32_e32 v5, 20, v6
	v_lshlrev_b32_e32 v6, 24, v52
	v_and_b32_e32 v5, 0x700000, v5
	v_and_b32_e32 v6, 0x80000000, v6
	v_lshl_add_u32 v1, v1, 23, v61
	v_or3_b32 v1, v6, v1, v5
.LBB6_3452:                             ;   in Loop: Header=BB6_2967 Depth=2
	s_or_b64 exec, exec, s[58:59]
.LBB6_3453:                             ;   in Loop: Header=BB6_2967 Depth=2
	s_or_b64 exec, exec, s[56:57]
.LBB6_3454:                             ;   in Loop: Header=BB6_2967 Depth=2
	s_or_b64 exec, exec, s[20:21]
	v_cmp_ne_u16_sdwa vcc, v21, v53 src0_sel:BYTE_0 src1_sel:DWORD
	s_and_saveexec_b64 s[20:21], vcc
	s_cbranch_execz .LBB6_3460
; %bb.3455:                             ;   in Loop: Header=BB6_2967 Depth=2
	v_cmp_ne_u16_sdwa vcc, v21, s69 src0_sel:BYTE_0 src1_sel:DWORD
	v_bfrev_b32_e32 v4, 1
	s_and_saveexec_b64 s[56:57], vcc
	s_cbranch_execz .LBB6_3459
; %bb.3456:                             ;   in Loop: Header=BB6_2967 Depth=2
	v_and_b32_e32 v5, 0x7f, v21
	v_cmp_ne_u32_e32 vcc, s71, v5
	v_mov_b32_e32 v4, 0x7f800001
	s_and_saveexec_b64 s[58:59], vcc
	s_cbranch_execz .LBB6_3458
; %bb.3457:                             ;   in Loop: Header=BB6_2967 Depth=2
	v_and_b32_e32 v4, 7, v21
	v_ffbh_u32_e32 v4, v4
	v_min_u32_e32 v4, 32, v4
	v_lshrrev_b32_e32 v6, 3, v5
	v_subrev_u32_e32 v7, 28, v4
	v_sub_u32_e32 v4, 29, v4
	v_cmp_gt_u32_e32 vcc, 8, v5
	v_cndmask_b32_e32 v6, v6, v4, vcc
	v_cndmask_b32_e32 v4, 0, v7, vcc
	v_lshlrev_b64 v[4:5], v4, v[2:3]
	v_lshlrev_b32_e32 v4, 20, v4
	v_lshlrev_b32_e32 v5, 24, v2
	v_and_b32_e32 v4, 0x700000, v4
	v_and_b32_e32 v5, 0x80000000, v5
	v_lshl_add_u32 v6, v6, 23, v61
	v_or3_b32 v4, v5, v6, v4
.LBB6_3458:                             ;   in Loop: Header=BB6_2967 Depth=2
	s_or_b64 exec, exec, s[58:59]
.LBB6_3459:                             ;   in Loop: Header=BB6_2967 Depth=2
	s_or_b64 exec, exec, s[56:57]
.LBB6_3460:                             ;   in Loop: Header=BB6_2967 Depth=2
	s_or_b64 exec, exec, s[20:21]
	v_max_f32_e32 v4, v4, v4
	v_max_f32_e32 v1, v1, v1
	;; [unrolled: 1-line block ×3, first 2 shown]
	s_branch .LBB6_3475
.LBB6_3461:                             ;   in Loop: Header=BB6_2967 Depth=2
                                        ; implicit-def: $vgpr4
	s_cbranch_execz .LBB6_3475
; %bb.3462:                             ;   in Loop: Header=BB6_2967 Depth=2
	v_mov_b32_e32 v4, 0
	v_mov_b32_e32 v1, 0
	s_and_saveexec_b64 s[20:21], s[18:19]
	s_cbranch_execz .LBB6_3468
; %bb.3463:                             ;   in Loop: Header=BB6_2967 Depth=2
	v_cmp_ne_u16_sdwa vcc, v25, s69 src0_sel:BYTE_0 src1_sel:DWORD
	v_bfrev_b32_e32 v1, 1
	s_and_saveexec_b64 s[18:19], vcc
	s_cbranch_execz .LBB6_3467
; %bb.3464:                             ;   in Loop: Header=BB6_2967 Depth=2
	v_and_b32_e32 v5, 0x7f, v25
	v_cmp_ne_u32_e32 vcc, s71, v5
	v_mov_b32_e32 v1, 0x7f800001
	s_and_saveexec_b64 s[56:57], vcc
	s_cbranch_execz .LBB6_3466
; %bb.3465:                             ;   in Loop: Header=BB6_2967 Depth=2
	v_and_b32_e32 v1, 7, v25
	v_ffbh_u32_e32 v1, v1
	v_min_u32_e32 v1, 32, v1
	v_subrev_u32_e32 v7, 28, v1
	v_cmp_gt_u32_e32 vcc, 8, v5
	v_lshrrev_b32_e32 v6, 3, v5
	v_sub_u32_e32 v1, 29, v1
	v_cndmask_b32_e32 v5, 0, v7, vcc
	v_cndmask_b32_e32 v1, v6, v1, vcc
	v_lshlrev_b64 v[6:7], v5, v[52:53]
	v_lshlrev_b32_e32 v5, 20, v6
	v_lshlrev_b32_e32 v6, 24, v52
	v_and_b32_e32 v5, 0x700000, v5
	v_and_b32_e32 v6, 0x80000000, v6
	v_lshl_add_u32 v1, v1, 23, v61
	v_or3_b32 v1, v6, v1, v5
.LBB6_3466:                             ;   in Loop: Header=BB6_2967 Depth=2
	s_or_b64 exec, exec, s[56:57]
.LBB6_3467:                             ;   in Loop: Header=BB6_2967 Depth=2
	s_or_b64 exec, exec, s[18:19]
.LBB6_3468:                             ;   in Loop: Header=BB6_2967 Depth=2
	s_or_b64 exec, exec, s[20:21]
	v_cmp_ne_u16_sdwa s[20:21], v21, v53 src0_sel:BYTE_0 src1_sel:DWORD
	s_and_saveexec_b64 s[18:19], s[20:21]
	s_cbranch_execz .LBB6_3474
; %bb.3469:                             ;   in Loop: Header=BB6_2967 Depth=2
	v_cmp_ne_u16_sdwa vcc, v21, s69 src0_sel:BYTE_0 src1_sel:DWORD
	v_bfrev_b32_e32 v4, 1
	s_and_saveexec_b64 s[20:21], vcc
	s_cbranch_execz .LBB6_3473
; %bb.3470:                             ;   in Loop: Header=BB6_2967 Depth=2
	v_and_b32_e32 v5, 0x7f, v21
	v_cmp_ne_u32_e32 vcc, s71, v5
	v_mov_b32_e32 v4, 0x7f800001
	s_and_saveexec_b64 s[56:57], vcc
	s_cbranch_execz .LBB6_3472
; %bb.3471:                             ;   in Loop: Header=BB6_2967 Depth=2
	v_and_b32_e32 v4, 7, v21
	v_ffbh_u32_e32 v4, v4
	v_min_u32_e32 v4, 32, v4
	v_lshrrev_b32_e32 v6, 3, v5
	v_subrev_u32_e32 v7, 28, v4
	v_sub_u32_e32 v4, 29, v4
	v_cmp_gt_u32_e32 vcc, 8, v5
	v_cndmask_b32_e32 v6, v6, v4, vcc
	v_cndmask_b32_e32 v4, 0, v7, vcc
	v_lshlrev_b64 v[4:5], v4, v[2:3]
	v_lshlrev_b32_e32 v3, 20, v4
	v_lshlrev_b32_e32 v4, 24, v2
	v_and_b32_e32 v3, 0x700000, v3
	v_and_b32_e32 v4, 0x80000000, v4
	v_lshl_add_u32 v5, v6, 23, v61
	v_or3_b32 v4, v4, v5, v3
.LBB6_3472:                             ;   in Loop: Header=BB6_2967 Depth=2
	s_or_b64 exec, exec, s[56:57]
.LBB6_3473:                             ;   in Loop: Header=BB6_2967 Depth=2
	s_or_b64 exec, exec, s[20:21]
.LBB6_3474:                             ;   in Loop: Header=BB6_2967 Depth=2
	s_or_b64 exec, exec, s[18:19]
	v_max_f32_e32 v3, v4, v4
	v_max_f32_e32 v1, v1, v1
	v_min_f32_e32 v4, v1, v3
.LBB6_3475:                             ;   in Loop: Header=BB6_2967 Depth=2
	v_and_b32_sdwa v1, v4, s69 dst_sel:DWORD dst_unused:UNUSED_PAD src0_sel:BYTE_3 src1_sel:DWORD
	v_and_b32_e32 v6, 0x7f800000, v4
	v_mov_b32_e32 v7, v53
	v_and_b32_e32 v18, 0x7fffff, v4
	v_mov_b32_e32 v19, v53
	v_or_b32_e32 v54, 0x7e, v1
	v_cmp_ne_u64_e32 vcc, s[40:41], v[6:7]
	s_and_saveexec_b64 s[18:19], vcc
	s_xor_b64 s[20:21], exec, s[18:19]
	s_cbranch_execz .LBB6_3485
; %bb.3476:                             ;   in Loop: Header=BB6_2967 Depth=2
	v_and_b32_e32 v6, 0x7fffffff, v4
	v_mov_b32_e32 v7, v53
	v_cmp_gt_u64_e32 vcc, s[42:43], v[6:7]
	s_and_saveexec_b64 s[56:57], vcc
	s_cbranch_execz .LBB6_3484
; %bb.3477:                             ;   in Loop: Header=BB6_2967 Depth=2
	v_cmp_ne_u32_e32 vcc, 0, v4
	v_mov_b32_e32 v54, 0
	s_and_saveexec_b64 s[58:59], vcc
	s_cbranch_execz .LBB6_3483
; %bb.3478:                             ;   in Loop: Header=BB6_2967 Depth=2
	v_bfe_u32 v3, v4, 23, 8
	v_sub_u32_e32 v5, 0x79, v3
	v_cmp_gt_u32_e32 vcc, s73, v3
	v_cndmask_b32_e32 v5, 0, v5, vcc
	v_cmp_eq_u32_e32 vcc, 0, v3
	v_add_u32_e32 v4, 0xffffff81, v3
	v_cndmask_b32_e32 v22, v5, v32, vcc
	v_cndmask_b32_e32 v3, v4, v33, vcc
	v_add_u32_e32 v4, 20, v22
	v_or_b32_e32 v6, 0x800000, v18
	v_lshlrev_b64 v[4:5], v4, -1
	v_cndmask_b32_e32 v18, v6, v18, vcc
	v_not_b32_e32 v4, v4
	v_and_b32_e32 v6, v18, v4
	v_add_u32_e32 v4, 19, v22
	v_lshrrev_b64 v[18:19], v22, v[18:19]
	v_not_b32_e32 v5, v5
	v_lshlrev_b64 v[8:9], v4, 1
	v_lshrrev_b32_e32 v4, 23, v18
	v_and_b32_e32 v7, 0, v5
	v_add3_u32 v5, v22, v3, v4
	v_bfe_u32 v3, v18, 20, 1
	v_add_u32_e32 v3, -1, v3
	v_cmp_eq_u64_e32 vcc, v[6:7], v[8:9]
	v_cndmask_b32_e32 v3, 0, v3, vcc
	v_add_u32_e32 v3, v3, v18
	v_and_b32_e32 v3, 0xfffff, v3
	v_add_co_u32_e32 v18, vcc, v3, v18
	v_add_u32_e32 v4, 6, v5
	v_addc_co_u32_e32 v19, vcc, 0, v19, vcc
	v_cmp_ne_u32_e32 vcc, 0, v4
                                        ; implicit-def: $vgpr3
	s_and_saveexec_b64 s[18:19], vcc
	s_xor_b64 s[18:19], exec, s[18:19]
; %bb.3479:                             ;   in Loop: Header=BB6_2967 Depth=2
	v_add_u32_e32 v3, 7, v5
	v_cmp_lt_u64_e32 vcc, s[46:47], v[18:19]
	v_cndmask_b32_e32 v3, v4, v3, vcc
	v_cndmask_b32_e64 v4, 0, 1, vcc
	v_lshrrev_b64 v[18:19], v4, v[18:19]
; %bb.3480:                             ;   in Loop: Header=BB6_2967 Depth=2
	s_andn2_saveexec_b64 s[18:19], s[18:19]
; %bb.3481:                             ;   in Loop: Header=BB6_2967 Depth=2
	v_bfe_u32 v3, v18, 23, 1
; %bb.3482:                             ;   in Loop: Header=BB6_2967 Depth=2
	s_or_b64 exec, exec, s[18:19]
	v_lshrrev_b64 v[4:5], 20, v[18:19]
	v_cmp_gt_i32_e32 vcc, 16, v3
	v_cndmask_b32_e32 v5, 0, v5, vcc
	v_cndmask_b32_e32 v4, 7, v4, vcc
	v_cmp_eq_u32_e32 vcc, 0, v3
	v_min_i32_e32 v3, 15, v3
	v_cmp_eq_u64_e64 s[18:19], 0, v[4:5]
	v_lshlrev_b32_e32 v3, 3, v3
	v_and_or_b32 v3, v4, 7, v3
	s_and_b64 s[18:19], vcc, s[18:19]
	v_cndmask_b32_e64 v3, v3, 0, s[18:19]
	v_or_b32_e32 v54, v3, v1
.LBB6_3483:                             ;   in Loop: Header=BB6_2967 Depth=2
	s_or_b64 exec, exec, s[58:59]
.LBB6_3484:                             ;   in Loop: Header=BB6_2967 Depth=2
	s_or_b64 exec, exec, s[56:57]
                                        ; implicit-def: $vgpr4
                                        ; implicit-def: $vgpr18_vgpr19
.LBB6_3485:                             ;   in Loop: Header=BB6_2967 Depth=2
	s_andn2_saveexec_b64 s[18:19], s[20:21]
; %bb.3486:                             ;   in Loop: Header=BB6_2967 Depth=2
	v_or_b32_sdwa v1, v4, s71 dst_sel:DWORD dst_unused:UNUSED_PAD src0_sel:BYTE_3 src1_sel:DWORD
	v_cmp_eq_u64_e32 vcc, 0, v[18:19]
	v_cndmask_b32_e32 v54, v1, v54, vcc
; %bb.3487:                             ;   in Loop: Header=BB6_2967 Depth=2
	s_or_b64 exec, exec, s[18:19]
	v_lshrrev_b16_e32 v22, 8, v52
	v_lshrrev_b16_e32 v18, 8, v2
	v_cmp_ne_u16_e64 s[18:19], 0, v22
	s_and_b64 vcc, exec, s[54:55]
	s_cbranch_vccz .LBB6_3501
; %bb.3488:                             ;   in Loop: Header=BB6_2967 Depth=2
	v_mov_b32_e32 v3, 0
	v_mov_b32_e32 v1, 0
	s_and_saveexec_b64 s[20:21], s[18:19]
	s_cbranch_execz .LBB6_3494
; %bb.3489:                             ;   in Loop: Header=BB6_2967 Depth=2
	v_cmp_ne_u16_e32 vcc, s69, v22
	v_bfrev_b32_e32 v1, 1
	s_and_saveexec_b64 s[56:57], vcc
	s_cbranch_execz .LBB6_3493
; %bb.3490:                             ;   in Loop: Header=BB6_2967 Depth=2
	v_and_b32_e32 v4, 0x7f, v22
	v_cmp_ne_u32_e32 vcc, s71, v4
	v_mov_b32_e32 v1, 0x7f800001
	s_and_saveexec_b64 s[58:59], vcc
	s_cbranch_execz .LBB6_3492
; %bb.3491:                             ;   in Loop: Header=BB6_2967 Depth=2
	v_and_b32_e32 v1, 7, v22
	v_ffbh_u32_e32 v6, v1
	v_min_u32_e32 v8, 32, v6
	v_subrev_u32_e32 v6, 28, v8
	v_lshlrev_b64 v[6:7], v6, v[22:23]
	v_lshrrev_b32_e32 v5, 3, v4
	v_sub_u32_e32 v7, 29, v8
	v_and_b32_e32 v6, 7, v6
	v_cmp_gt_u32_e32 vcc, 8, v4
	v_cndmask_b32_e32 v4, v5, v7, vcc
	v_cndmask_b32_e32 v1, v1, v6, vcc
	v_lshlrev_b32_e32 v5, 16, v52
	v_lshlrev_b32_e32 v1, 20, v1
	v_and_b32_e32 v5, 0x80000000, v5
	v_lshl_add_u32 v4, v4, 23, v61
	v_or3_b32 v1, v5, v4, v1
.LBB6_3492:                             ;   in Loop: Header=BB6_2967 Depth=2
	s_or_b64 exec, exec, s[58:59]
.LBB6_3493:                             ;   in Loop: Header=BB6_2967 Depth=2
	s_or_b64 exec, exec, s[56:57]
.LBB6_3494:                             ;   in Loop: Header=BB6_2967 Depth=2
	s_or_b64 exec, exec, s[20:21]
	v_cmp_ne_u16_e32 vcc, 0, v18
	s_and_saveexec_b64 s[20:21], vcc
	s_cbranch_execz .LBB6_3500
; %bb.3495:                             ;   in Loop: Header=BB6_2967 Depth=2
	v_cmp_ne_u16_e32 vcc, s69, v18
	v_bfrev_b32_e32 v3, 1
	s_and_saveexec_b64 s[56:57], vcc
	s_cbranch_execz .LBB6_3499
; %bb.3496:                             ;   in Loop: Header=BB6_2967 Depth=2
	v_and_b32_e32 v4, 0x7f, v18
	v_cmp_ne_u32_e32 vcc, s71, v4
	v_mov_b32_e32 v3, 0x7f800001
	s_and_saveexec_b64 s[58:59], vcc
	s_cbranch_execz .LBB6_3498
; %bb.3497:                             ;   in Loop: Header=BB6_2967 Depth=2
	v_and_b32_e32 v3, 7, v18
	v_ffbh_u32_e32 v6, v3
	v_min_u32_e32 v8, 32, v6
	v_subrev_u32_e32 v6, 28, v8
	v_lshlrev_b64 v[6:7], v6, v[18:19]
	v_lshrrev_b32_e32 v5, 3, v4
	v_sub_u32_e32 v7, 29, v8
	v_and_b32_e32 v6, 7, v6
	v_cmp_gt_u32_e32 vcc, 8, v4
	v_cndmask_b32_e32 v4, v5, v7, vcc
	v_cndmask_b32_e32 v3, v3, v6, vcc
	v_lshlrev_b32_e32 v5, 16, v2
	v_lshlrev_b32_e32 v3, 20, v3
	v_and_b32_e32 v5, 0x80000000, v5
	v_lshl_add_u32 v4, v4, 23, v61
	v_or3_b32 v3, v5, v4, v3
.LBB6_3498:                             ;   in Loop: Header=BB6_2967 Depth=2
	s_or_b64 exec, exec, s[58:59]
.LBB6_3499:                             ;   in Loop: Header=BB6_2967 Depth=2
	s_or_b64 exec, exec, s[56:57]
.LBB6_3500:                             ;   in Loop: Header=BB6_2967 Depth=2
	s_or_b64 exec, exec, s[20:21]
	v_max_f32_e32 v3, v3, v3
	v_max_f32_e32 v1, v1, v1
	;; [unrolled: 1-line block ×3, first 2 shown]
	s_branch .LBB6_3515
.LBB6_3501:                             ;   in Loop: Header=BB6_2967 Depth=2
                                        ; implicit-def: $vgpr3
	s_cbranch_execz .LBB6_3515
; %bb.3502:                             ;   in Loop: Header=BB6_2967 Depth=2
	v_mov_b32_e32 v3, 0
	v_mov_b32_e32 v1, 0
	s_and_saveexec_b64 s[20:21], s[18:19]
	s_cbranch_execz .LBB6_3508
; %bb.3503:                             ;   in Loop: Header=BB6_2967 Depth=2
	v_cmp_ne_u16_e32 vcc, s69, v22
	v_bfrev_b32_e32 v1, 1
	s_and_saveexec_b64 s[18:19], vcc
	s_cbranch_execz .LBB6_3507
; %bb.3504:                             ;   in Loop: Header=BB6_2967 Depth=2
	v_and_b32_e32 v4, 0x7f, v22
	v_cmp_ne_u32_e32 vcc, s71, v4
	v_mov_b32_e32 v1, 0x7f800001
	s_and_saveexec_b64 s[56:57], vcc
	s_cbranch_execz .LBB6_3506
; %bb.3505:                             ;   in Loop: Header=BB6_2967 Depth=2
	v_and_b32_e32 v1, 7, v22
	v_ffbh_u32_e32 v6, v1
	v_min_u32_e32 v8, 32, v6
	v_subrev_u32_e32 v6, 28, v8
	v_lshlrev_b64 v[6:7], v6, v[22:23]
	v_lshrrev_b32_e32 v5, 3, v4
	v_sub_u32_e32 v7, 29, v8
	v_and_b32_e32 v6, 7, v6
	v_cmp_gt_u32_e32 vcc, 8, v4
	v_cndmask_b32_e32 v4, v5, v7, vcc
	v_cndmask_b32_e32 v1, v1, v6, vcc
	v_lshlrev_b32_e32 v5, 16, v52
	v_lshlrev_b32_e32 v1, 20, v1
	v_and_b32_e32 v5, 0x80000000, v5
	v_lshl_add_u32 v4, v4, 23, v61
	v_or3_b32 v1, v5, v4, v1
.LBB6_3506:                             ;   in Loop: Header=BB6_2967 Depth=2
	s_or_b64 exec, exec, s[56:57]
.LBB6_3507:                             ;   in Loop: Header=BB6_2967 Depth=2
	s_or_b64 exec, exec, s[18:19]
.LBB6_3508:                             ;   in Loop: Header=BB6_2967 Depth=2
	s_or_b64 exec, exec, s[20:21]
	v_cmp_ne_u16_e32 vcc, 0, v18
	s_and_saveexec_b64 s[18:19], vcc
	s_cbranch_execz .LBB6_3514
; %bb.3509:                             ;   in Loop: Header=BB6_2967 Depth=2
	v_cmp_ne_u16_e32 vcc, s69, v18
	v_bfrev_b32_e32 v3, 1
	s_and_saveexec_b64 s[20:21], vcc
	s_cbranch_execz .LBB6_3513
; %bb.3510:                             ;   in Loop: Header=BB6_2967 Depth=2
	v_and_b32_e32 v4, 0x7f, v18
	v_cmp_ne_u32_e32 vcc, s71, v4
	v_mov_b32_e32 v3, 0x7f800001
	s_and_saveexec_b64 s[56:57], vcc
	s_cbranch_execz .LBB6_3512
; %bb.3511:                             ;   in Loop: Header=BB6_2967 Depth=2
	v_and_b32_e32 v3, 7, v18
	v_ffbh_u32_e32 v6, v3
	v_min_u32_e32 v8, 32, v6
	v_subrev_u32_e32 v6, 28, v8
	v_lshlrev_b64 v[6:7], v6, v[18:19]
	v_lshrrev_b32_e32 v5, 3, v4
	v_sub_u32_e32 v7, 29, v8
	v_and_b32_e32 v6, 7, v6
	v_cmp_gt_u32_e32 vcc, 8, v4
	v_cndmask_b32_e32 v4, v5, v7, vcc
	v_cndmask_b32_e32 v3, v3, v6, vcc
	v_lshlrev_b32_e32 v2, 16, v2
	v_lshlrev_b32_e32 v3, 20, v3
	v_and_b32_e32 v2, 0x80000000, v2
	v_lshl_add_u32 v4, v4, 23, v61
	v_or3_b32 v3, v2, v4, v3
.LBB6_3512:                             ;   in Loop: Header=BB6_2967 Depth=2
	s_or_b64 exec, exec, s[56:57]
.LBB6_3513:                             ;   in Loop: Header=BB6_2967 Depth=2
	s_or_b64 exec, exec, s[20:21]
.LBB6_3514:                             ;   in Loop: Header=BB6_2967 Depth=2
	s_or_b64 exec, exec, s[18:19]
	v_max_f32_e32 v2, v3, v3
	v_max_f32_e32 v1, v1, v1
	v_min_f32_e32 v3, v1, v2
.LBB6_3515:                             ;   in Loop: Header=BB6_2967 Depth=2
	v_and_b32_sdwa v1, v3, s69 dst_sel:DWORD dst_unused:UNUSED_PAD src0_sel:BYTE_3 src1_sel:DWORD
	v_and_b32_e32 v4, 0x7f800000, v3
	v_mov_b32_e32 v5, v53
	v_and_b32_e32 v52, 0x7fffff, v3
	v_or_b32_e32 v22, 0x7e, v1
	v_cmp_ne_u64_e32 vcc, s[40:41], v[4:5]
	s_and_saveexec_b64 s[18:19], vcc
	s_xor_b64 s[20:21], exec, s[18:19]
	s_cbranch_execz .LBB6_3525
; %bb.3516:                             ;   in Loop: Header=BB6_2967 Depth=2
	v_and_b32_e32 v4, 0x7fffffff, v3
	v_mov_b32_e32 v5, v53
	v_cmp_gt_u64_e32 vcc, s[42:43], v[4:5]
	s_and_saveexec_b64 s[56:57], vcc
	s_cbranch_execz .LBB6_3524
; %bb.3517:                             ;   in Loop: Header=BB6_2967 Depth=2
	v_cmp_ne_u32_e32 vcc, 0, v3
	v_mov_b32_e32 v22, 0
	s_and_saveexec_b64 s[58:59], vcc
	s_cbranch_execz .LBB6_3523
; %bb.3518:                             ;   in Loop: Header=BB6_2967 Depth=2
	v_bfe_u32 v2, v3, 23, 8
	v_sub_u32_e32 v4, 0x79, v2
	v_cmp_gt_u32_e32 vcc, s73, v2
	v_cndmask_b32_e32 v4, 0, v4, vcc
	v_cmp_eq_u32_e32 vcc, 0, v2
	v_or_b32_e32 v5, 0x800000, v52
	v_cndmask_b32_e32 v4, v4, v32, vcc
	v_add_u32_e32 v3, 0xffffff81, v2
	v_cndmask_b32_e32 v52, v5, v52, vcc
	v_add_u32_e32 v2, 20, v4
	v_cndmask_b32_e32 v18, v3, v33, vcc
	v_lshlrev_b64 v[2:3], v2, -1
	v_add_u32_e32 v5, 19, v4
	v_lshrrev_b64 v[8:9], v4, v[52:53]
	v_not_b32_e32 v3, v3
	v_not_b32_e32 v2, v2
	v_lshlrev_b64 v[6:7], v5, 1
	v_lshrrev_b32_e32 v5, 23, v8
	v_and_b32_e32 v3, 0, v3
	v_and_b32_e32 v2, v52, v2
	v_add3_u32 v18, v4, v18, v5
	v_bfe_u32 v4, v8, 20, 1
	v_add_u32_e32 v4, -1, v4
	v_cmp_eq_u64_e32 vcc, v[2:3], v[6:7]
	v_cndmask_b32_e32 v2, 0, v4, vcc
	v_add_u32_e32 v2, v2, v8
	v_and_b32_e32 v2, 0xfffff, v2
	v_add_co_u32_e32 v2, vcc, v2, v8
	v_add_u32_e32 v5, 6, v18
	v_addc_co_u32_e32 v3, vcc, 0, v9, vcc
	v_cmp_ne_u32_e32 vcc, 0, v5
                                        ; implicit-def: $vgpr4
	s_and_saveexec_b64 s[18:19], vcc
	s_xor_b64 s[18:19], exec, s[18:19]
; %bb.3519:                             ;   in Loop: Header=BB6_2967 Depth=2
	v_add_u32_e32 v4, 7, v18
	v_cmp_lt_u64_e32 vcc, s[46:47], v[2:3]
	v_cndmask_b32_e32 v4, v5, v4, vcc
	v_cndmask_b32_e64 v5, 0, 1, vcc
	v_lshrrev_b64 v[2:3], v5, v[2:3]
; %bb.3520:                             ;   in Loop: Header=BB6_2967 Depth=2
	s_andn2_saveexec_b64 s[18:19], s[18:19]
; %bb.3521:                             ;   in Loop: Header=BB6_2967 Depth=2
	v_bfe_u32 v4, v2, 23, 1
; %bb.3522:                             ;   in Loop: Header=BB6_2967 Depth=2
	s_or_b64 exec, exec, s[18:19]
	v_lshrrev_b64 v[2:3], 20, v[2:3]
	v_cmp_gt_i32_e32 vcc, 16, v4
	v_cndmask_b32_e32 v3, 0, v3, vcc
	v_cndmask_b32_e32 v2, 7, v2, vcc
	v_cmp_eq_u64_e64 s[18:19], 0, v[2:3]
	v_min_i32_e32 v3, 15, v4
	v_cmp_eq_u32_e32 vcc, 0, v4
	v_lshlrev_b32_e32 v3, 3, v3
	v_and_or_b32 v2, v2, 7, v3
	s_and_b64 s[18:19], vcc, s[18:19]
	v_cndmask_b32_e64 v2, v2, 0, s[18:19]
	v_or_b32_e32 v22, v2, v1
.LBB6_3523:                             ;   in Loop: Header=BB6_2967 Depth=2
	s_or_b64 exec, exec, s[58:59]
.LBB6_3524:                             ;   in Loop: Header=BB6_2967 Depth=2
	s_or_b64 exec, exec, s[56:57]
                                        ; implicit-def: $vgpr3
.LBB6_3525:                             ;   in Loop: Header=BB6_2967 Depth=2
	s_andn2_saveexec_b64 s[18:19], s[20:21]
; %bb.3526:                             ;   in Loop: Header=BB6_2967 Depth=2
	v_or_b32_sdwa v1, v3, s71 dst_sel:DWORD dst_unused:UNUSED_PAD src0_sel:BYTE_3 src1_sel:DWORD
	v_cmp_eq_u64_e32 vcc, 0, v[52:53]
	v_cndmask_b32_e32 v22, v1, v22, vcc
; %bb.3527:                             ;   in Loop: Header=BB6_2967 Depth=2
	s_or_b64 exec, exec, s[18:19]
	v_lshrrev_b32_e32 v18, 16, v25
	v_lshrrev_b32_e32 v2, 16, v21
	v_cmp_ne_u16_sdwa s[18:19], v18, v53 src0_sel:BYTE_0 src1_sel:DWORD
	s_and_b64 vcc, exec, s[54:55]
	s_cbranch_vccz .LBB6_3541
; %bb.3528:                             ;   in Loop: Header=BB6_2967 Depth=2
	v_mov_b32_e32 v3, 0
	v_mov_b32_e32 v1, 0
	s_and_saveexec_b64 s[20:21], s[18:19]
	s_cbranch_execz .LBB6_3534
; %bb.3529:                             ;   in Loop: Header=BB6_2967 Depth=2
	v_cmp_ne_u16_sdwa vcc, v18, s69 src0_sel:BYTE_0 src1_sel:DWORD
	v_bfrev_b32_e32 v1, 1
	s_and_saveexec_b64 s[56:57], vcc
	s_cbranch_execz .LBB6_3533
; %bb.3530:                             ;   in Loop: Header=BB6_2967 Depth=2
	v_bfe_u32 v4, v25, 16, 7
	v_cmp_ne_u32_e32 vcc, s71, v4
	v_mov_b32_e32 v1, 0x7f800001
	s_and_saveexec_b64 s[58:59], vcc
	s_cbranch_execz .LBB6_3532
; %bb.3531:                             ;   in Loop: Header=BB6_2967 Depth=2
	v_and_b32_e32 v1, 7, v18
	v_ffbh_u32_e32 v6, v1
	v_min_u32_e32 v8, 32, v6
	v_subrev_u32_e32 v6, 28, v8
	v_lshlrev_b64 v[6:7], v6, v[18:19]
	v_lshrrev_b32_e32 v5, 3, v4
	v_sub_u32_e32 v7, 29, v8
	v_and_b32_e32 v6, 7, v6
	v_cmp_gt_u32_e32 vcc, 8, v4
	v_cndmask_b32_e32 v4, v5, v7, vcc
	v_cndmask_b32_e32 v1, v1, v6, vcc
	v_lshlrev_b32_e32 v5, 24, v18
	v_lshlrev_b32_e32 v1, 20, v1
	v_and_b32_e32 v5, 0x80000000, v5
	v_lshl_add_u32 v4, v4, 23, v61
	v_or3_b32 v1, v5, v4, v1
.LBB6_3532:                             ;   in Loop: Header=BB6_2967 Depth=2
	s_or_b64 exec, exec, s[58:59]
.LBB6_3533:                             ;   in Loop: Header=BB6_2967 Depth=2
	s_or_b64 exec, exec, s[56:57]
.LBB6_3534:                             ;   in Loop: Header=BB6_2967 Depth=2
	s_or_b64 exec, exec, s[20:21]
	v_cmp_ne_u16_sdwa vcc, v2, v53 src0_sel:BYTE_0 src1_sel:DWORD
	s_and_saveexec_b64 s[20:21], vcc
	s_cbranch_execz .LBB6_3540
; %bb.3535:                             ;   in Loop: Header=BB6_2967 Depth=2
	v_cmp_ne_u16_sdwa vcc, v2, s69 src0_sel:BYTE_0 src1_sel:DWORD
	v_bfrev_b32_e32 v3, 1
	s_and_saveexec_b64 s[56:57], vcc
	s_cbranch_execz .LBB6_3539
; %bb.3536:                             ;   in Loop: Header=BB6_2967 Depth=2
	v_bfe_u32 v4, v21, 16, 7
	v_cmp_ne_u32_e32 vcc, s71, v4
	v_mov_b32_e32 v3, 0x7f800001
	s_and_saveexec_b64 s[58:59], vcc
	s_cbranch_execz .LBB6_3538
; %bb.3537:                             ;   in Loop: Header=BB6_2967 Depth=2
	v_and_b32_e32 v3, 7, v2
	v_ffbh_u32_e32 v6, v3
	v_min_u32_e32 v8, 32, v6
	v_subrev_u32_e32 v6, 28, v8
	v_lshlrev_b64 v[6:7], v6, v[2:3]
	v_lshrrev_b32_e32 v5, 3, v4
	v_sub_u32_e32 v7, 29, v8
	v_and_b32_e32 v6, 7, v6
	v_cmp_gt_u32_e32 vcc, 8, v4
	v_cndmask_b32_e32 v4, v5, v7, vcc
	v_cndmask_b32_e32 v3, v3, v6, vcc
	v_lshlrev_b32_e32 v5, 24, v2
	v_lshlrev_b32_e32 v3, 20, v3
	v_and_b32_e32 v5, 0x80000000, v5
	v_lshl_add_u32 v4, v4, 23, v61
	v_or3_b32 v3, v5, v4, v3
.LBB6_3538:                             ;   in Loop: Header=BB6_2967 Depth=2
	s_or_b64 exec, exec, s[58:59]
.LBB6_3539:                             ;   in Loop: Header=BB6_2967 Depth=2
	s_or_b64 exec, exec, s[56:57]
.LBB6_3540:                             ;   in Loop: Header=BB6_2967 Depth=2
	s_or_b64 exec, exec, s[20:21]
	v_max_f32_e32 v3, v3, v3
	v_max_f32_e32 v1, v1, v1
	;; [unrolled: 1-line block ×3, first 2 shown]
	s_branch .LBB6_3555
.LBB6_3541:                             ;   in Loop: Header=BB6_2967 Depth=2
                                        ; implicit-def: $vgpr3
	s_cbranch_execz .LBB6_3555
; %bb.3542:                             ;   in Loop: Header=BB6_2967 Depth=2
	v_mov_b32_e32 v3, 0
	v_mov_b32_e32 v1, 0
	s_and_saveexec_b64 s[20:21], s[18:19]
	s_cbranch_execz .LBB6_3548
; %bb.3543:                             ;   in Loop: Header=BB6_2967 Depth=2
	v_cmp_ne_u16_sdwa vcc, v18, s69 src0_sel:BYTE_0 src1_sel:DWORD
	v_bfrev_b32_e32 v1, 1
	s_and_saveexec_b64 s[18:19], vcc
	s_cbranch_execz .LBB6_3547
; %bb.3544:                             ;   in Loop: Header=BB6_2967 Depth=2
	v_bfe_u32 v4, v25, 16, 7
	v_cmp_ne_u32_e32 vcc, s71, v4
	v_mov_b32_e32 v1, 0x7f800001
	s_and_saveexec_b64 s[56:57], vcc
	s_cbranch_execz .LBB6_3546
; %bb.3545:                             ;   in Loop: Header=BB6_2967 Depth=2
	v_and_b32_e32 v1, 7, v18
	v_ffbh_u32_e32 v6, v1
	v_min_u32_e32 v8, 32, v6
	v_subrev_u32_e32 v6, 28, v8
	v_lshlrev_b64 v[6:7], v6, v[18:19]
	v_lshrrev_b32_e32 v5, 3, v4
	v_sub_u32_e32 v7, 29, v8
	v_and_b32_e32 v6, 7, v6
	v_cmp_gt_u32_e32 vcc, 8, v4
	v_cndmask_b32_e32 v4, v5, v7, vcc
	v_cndmask_b32_e32 v1, v1, v6, vcc
	v_lshlrev_b32_e32 v5, 24, v18
	v_lshlrev_b32_e32 v1, 20, v1
	v_and_b32_e32 v5, 0x80000000, v5
	v_lshl_add_u32 v4, v4, 23, v61
	v_or3_b32 v1, v5, v4, v1
.LBB6_3546:                             ;   in Loop: Header=BB6_2967 Depth=2
	s_or_b64 exec, exec, s[56:57]
.LBB6_3547:                             ;   in Loop: Header=BB6_2967 Depth=2
	s_or_b64 exec, exec, s[18:19]
.LBB6_3548:                             ;   in Loop: Header=BB6_2967 Depth=2
	s_or_b64 exec, exec, s[20:21]
	v_cmp_ne_u16_sdwa s[20:21], v2, v53 src0_sel:BYTE_0 src1_sel:DWORD
	s_and_saveexec_b64 s[18:19], s[20:21]
	s_cbranch_execz .LBB6_3554
; %bb.3549:                             ;   in Loop: Header=BB6_2967 Depth=2
	v_cmp_ne_u16_sdwa vcc, v2, s69 src0_sel:BYTE_0 src1_sel:DWORD
	v_bfrev_b32_e32 v3, 1
	s_and_saveexec_b64 s[20:21], vcc
	s_cbranch_execz .LBB6_3553
; %bb.3550:                             ;   in Loop: Header=BB6_2967 Depth=2
	v_bfe_u32 v4, v21, 16, 7
	v_cmp_ne_u32_e32 vcc, s71, v4
	v_mov_b32_e32 v3, 0x7f800001
	s_and_saveexec_b64 s[56:57], vcc
	s_cbranch_execz .LBB6_3552
; %bb.3551:                             ;   in Loop: Header=BB6_2967 Depth=2
	v_and_b32_e32 v3, 7, v2
	v_ffbh_u32_e32 v6, v3
	v_min_u32_e32 v8, 32, v6
	v_subrev_u32_e32 v6, 28, v8
	v_lshlrev_b64 v[6:7], v6, v[2:3]
	v_lshrrev_b32_e32 v5, 3, v4
	v_sub_u32_e32 v7, 29, v8
	v_and_b32_e32 v6, 7, v6
	v_cmp_gt_u32_e32 vcc, 8, v4
	v_cndmask_b32_e32 v4, v5, v7, vcc
	v_cndmask_b32_e32 v3, v3, v6, vcc
	v_lshlrev_b32_e32 v2, 24, v2
	v_lshlrev_b32_e32 v3, 20, v3
	v_and_b32_e32 v2, 0x80000000, v2
	v_lshl_add_u32 v4, v4, 23, v61
	v_or3_b32 v3, v2, v4, v3
.LBB6_3552:                             ;   in Loop: Header=BB6_2967 Depth=2
	s_or_b64 exec, exec, s[56:57]
.LBB6_3553:                             ;   in Loop: Header=BB6_2967 Depth=2
	s_or_b64 exec, exec, s[20:21]
.LBB6_3554:                             ;   in Loop: Header=BB6_2967 Depth=2
	s_or_b64 exec, exec, s[18:19]
	v_max_f32_e32 v2, v3, v3
	v_max_f32_e32 v1, v1, v1
	v_min_f32_e32 v3, v1, v2
.LBB6_3555:                             ;   in Loop: Header=BB6_2967 Depth=2
	v_and_b32_sdwa v1, v3, s69 dst_sel:DWORD dst_unused:UNUSED_PAD src0_sel:BYTE_3 src1_sel:DWORD
	v_and_b32_e32 v4, 0x7f800000, v3
	v_mov_b32_e32 v5, v53
	v_and_b32_e32 v52, 0x7fffff, v3
	v_or_b32_e32 v26, 0x7e, v1
	v_cmp_ne_u64_e32 vcc, s[40:41], v[4:5]
	s_and_saveexec_b64 s[18:19], vcc
	s_xor_b64 s[20:21], exec, s[18:19]
	s_cbranch_execz .LBB6_3565
; %bb.3556:                             ;   in Loop: Header=BB6_2967 Depth=2
	v_and_b32_e32 v4, 0x7fffffff, v3
	v_mov_b32_e32 v5, v53
	v_cmp_gt_u64_e32 vcc, s[42:43], v[4:5]
	s_and_saveexec_b64 s[56:57], vcc
	s_cbranch_execz .LBB6_3564
; %bb.3557:                             ;   in Loop: Header=BB6_2967 Depth=2
	v_cmp_ne_u32_e32 vcc, 0, v3
	v_mov_b32_e32 v26, 0
	s_and_saveexec_b64 s[58:59], vcc
	s_cbranch_execz .LBB6_3563
; %bb.3558:                             ;   in Loop: Header=BB6_2967 Depth=2
	v_bfe_u32 v2, v3, 23, 8
	v_sub_u32_e32 v4, 0x79, v2
	v_cmp_gt_u32_e32 vcc, s73, v2
	v_cndmask_b32_e32 v4, 0, v4, vcc
	v_cmp_eq_u32_e32 vcc, 0, v2
	v_or_b32_e32 v5, 0x800000, v52
	v_cndmask_b32_e32 v4, v4, v32, vcc
	v_add_u32_e32 v3, 0xffffff81, v2
	v_cndmask_b32_e32 v52, v5, v52, vcc
	v_add_u32_e32 v2, 20, v4
	v_cndmask_b32_e32 v18, v3, v33, vcc
	v_lshlrev_b64 v[2:3], v2, -1
	v_add_u32_e32 v5, 19, v4
	v_lshrrev_b64 v[8:9], v4, v[52:53]
	v_not_b32_e32 v3, v3
	v_not_b32_e32 v2, v2
	v_lshlrev_b64 v[6:7], v5, 1
	v_lshrrev_b32_e32 v5, 23, v8
	v_and_b32_e32 v3, 0, v3
	v_and_b32_e32 v2, v52, v2
	v_add3_u32 v18, v4, v18, v5
	v_bfe_u32 v4, v8, 20, 1
	v_add_u32_e32 v4, -1, v4
	v_cmp_eq_u64_e32 vcc, v[2:3], v[6:7]
	v_cndmask_b32_e32 v2, 0, v4, vcc
	v_add_u32_e32 v2, v2, v8
	v_and_b32_e32 v2, 0xfffff, v2
	v_add_co_u32_e32 v2, vcc, v2, v8
	v_add_u32_e32 v5, 6, v18
	v_addc_co_u32_e32 v3, vcc, 0, v9, vcc
	v_cmp_ne_u32_e32 vcc, 0, v5
                                        ; implicit-def: $vgpr4
	s_and_saveexec_b64 s[18:19], vcc
	s_xor_b64 s[18:19], exec, s[18:19]
; %bb.3559:                             ;   in Loop: Header=BB6_2967 Depth=2
	v_add_u32_e32 v4, 7, v18
	v_cmp_lt_u64_e32 vcc, s[46:47], v[2:3]
	v_cndmask_b32_e32 v4, v5, v4, vcc
	v_cndmask_b32_e64 v5, 0, 1, vcc
	v_lshrrev_b64 v[2:3], v5, v[2:3]
; %bb.3560:                             ;   in Loop: Header=BB6_2967 Depth=2
	s_andn2_saveexec_b64 s[18:19], s[18:19]
; %bb.3561:                             ;   in Loop: Header=BB6_2967 Depth=2
	v_bfe_u32 v4, v2, 23, 1
; %bb.3562:                             ;   in Loop: Header=BB6_2967 Depth=2
	s_or_b64 exec, exec, s[18:19]
	v_lshrrev_b64 v[2:3], 20, v[2:3]
	v_cmp_gt_i32_e32 vcc, 16, v4
	v_cndmask_b32_e32 v3, 0, v3, vcc
	v_cndmask_b32_e32 v2, 7, v2, vcc
	v_cmp_eq_u64_e64 s[18:19], 0, v[2:3]
	v_min_i32_e32 v3, 15, v4
	v_lshlrev_b32_e32 v3, 3, v3
	v_cmp_eq_u32_e32 vcc, 0, v4
	v_and_b32_e32 v3, 0xf8, v3
	v_and_or_b32 v2, v2, 7, v3
	s_and_b64 s[18:19], vcc, s[18:19]
	v_cndmask_b32_e64 v2, v2, 0, s[18:19]
	v_or_b32_e32 v26, v2, v1
.LBB6_3563:                             ;   in Loop: Header=BB6_2967 Depth=2
	s_or_b64 exec, exec, s[58:59]
.LBB6_3564:                             ;   in Loop: Header=BB6_2967 Depth=2
	s_or_b64 exec, exec, s[56:57]
                                        ; implicit-def: $vgpr3
.LBB6_3565:                             ;   in Loop: Header=BB6_2967 Depth=2
	s_andn2_saveexec_b64 s[18:19], s[20:21]
; %bb.3566:                             ;   in Loop: Header=BB6_2967 Depth=2
	v_or_b32_sdwa v1, v3, s71 dst_sel:DWORD dst_unused:UNUSED_PAD src0_sel:BYTE_3 src1_sel:DWORD
	v_cmp_eq_u64_e32 vcc, 0, v[52:53]
	v_cndmask_b32_e32 v26, v1, v26, vcc
; %bb.3567:                             ;   in Loop: Header=BB6_2967 Depth=2
	s_or_b64 exec, exec, s[18:19]
	v_lshrrev_b32_e32 v18, 24, v25
	v_lshrrev_b32_e32 v2, 24, v21
	v_cmp_lt_u64_e64 s[18:19], s[44:45], v[24:25]
	s_and_b64 vcc, exec, s[54:55]
	s_cbranch_vccz .LBB6_3581
; %bb.3568:                             ;   in Loop: Header=BB6_2967 Depth=2
	v_mov_b32_e32 v3, 0
	v_mov_b32_e32 v1, 0
	s_and_saveexec_b64 s[20:21], s[18:19]
	s_cbranch_execz .LBB6_3574
; %bb.3569:                             ;   in Loop: Header=BB6_2967 Depth=2
	v_cmp_ne_u32_e32 vcc, s69, v18
	v_bfrev_b32_e32 v1, 1
	s_and_saveexec_b64 s[56:57], vcc
	s_cbranch_execz .LBB6_3573
; %bb.3570:                             ;   in Loop: Header=BB6_2967 Depth=2
	v_bfe_u32 v4, v25, 24, 7
	v_cmp_ne_u32_e32 vcc, s71, v4
	v_mov_b32_e32 v1, 0x7f800001
	s_and_saveexec_b64 s[58:59], vcc
	s_cbranch_execz .LBB6_3572
; %bb.3571:                             ;   in Loop: Header=BB6_2967 Depth=2
	v_and_b32_e32 v1, 7, v18
	v_ffbh_u32_e32 v6, v1
	v_min_u32_e32 v8, 32, v6
	v_subrev_u32_e32 v6, 28, v8
	v_lshlrev_b64 v[6:7], v6, v[18:19]
	v_lshrrev_b32_e32 v5, 3, v4
	v_sub_u32_e32 v7, 29, v8
	v_and_b32_e32 v6, 7, v6
	v_cmp_gt_u32_e32 vcc, 8, v4
	v_cndmask_b32_e32 v4, v5, v7, vcc
	v_cndmask_b32_e32 v1, v1, v6, vcc
	v_lshlrev_b32_e32 v5, 24, v18
	v_lshlrev_b32_e32 v1, 20, v1
	v_and_b32_e32 v5, 0x80000000, v5
	v_lshl_add_u32 v4, v4, 23, v61
	v_or3_b32 v1, v5, v4, v1
.LBB6_3572:                             ;   in Loop: Header=BB6_2967 Depth=2
	s_or_b64 exec, exec, s[58:59]
.LBB6_3573:                             ;   in Loop: Header=BB6_2967 Depth=2
	s_or_b64 exec, exec, s[56:57]
.LBB6_3574:                             ;   in Loop: Header=BB6_2967 Depth=2
	s_or_b64 exec, exec, s[20:21]
	v_cmp_lt_u64_e32 vcc, s[44:45], v[20:21]
	s_and_saveexec_b64 s[20:21], vcc
	s_cbranch_execz .LBB6_3580
; %bb.3575:                             ;   in Loop: Header=BB6_2967 Depth=2
	v_cmp_ne_u32_e32 vcc, s69, v2
	v_bfrev_b32_e32 v3, 1
	s_and_saveexec_b64 s[56:57], vcc
	s_cbranch_execz .LBB6_3579
; %bb.3576:                             ;   in Loop: Header=BB6_2967 Depth=2
	v_bfe_u32 v4, v21, 24, 7
	v_cmp_ne_u32_e32 vcc, s71, v4
	v_mov_b32_e32 v3, 0x7f800001
	s_and_saveexec_b64 s[58:59], vcc
	s_cbranch_execz .LBB6_3578
; %bb.3577:                             ;   in Loop: Header=BB6_2967 Depth=2
	v_and_b32_e32 v3, 7, v2
	v_ffbh_u32_e32 v6, v3
	v_min_u32_e32 v8, 32, v6
	v_subrev_u32_e32 v6, 28, v8
	v_lshlrev_b64 v[6:7], v6, v[2:3]
	v_lshrrev_b32_e32 v5, 3, v4
	v_sub_u32_e32 v7, 29, v8
	v_and_b32_e32 v6, 7, v6
	v_cmp_gt_u32_e32 vcc, 8, v4
	v_cndmask_b32_e32 v4, v5, v7, vcc
	v_cndmask_b32_e32 v3, v3, v6, vcc
	v_lshlrev_b32_e32 v5, 24, v2
	v_lshlrev_b32_e32 v3, 20, v3
	v_and_b32_e32 v5, 0x80000000, v5
	v_lshl_add_u32 v4, v4, 23, v61
	v_or3_b32 v3, v5, v4, v3
.LBB6_3578:                             ;   in Loop: Header=BB6_2967 Depth=2
	s_or_b64 exec, exec, s[58:59]
.LBB6_3579:                             ;   in Loop: Header=BB6_2967 Depth=2
	s_or_b64 exec, exec, s[56:57]
.LBB6_3580:                             ;   in Loop: Header=BB6_2967 Depth=2
	s_or_b64 exec, exec, s[20:21]
	v_max_f32_e32 v3, v3, v3
	v_max_f32_e32 v1, v1, v1
	;; [unrolled: 1-line block ×3, first 2 shown]
	s_branch .LBB6_3595
.LBB6_3581:                             ;   in Loop: Header=BB6_2967 Depth=2
                                        ; implicit-def: $vgpr3
	s_cbranch_execz .LBB6_3595
; %bb.3582:                             ;   in Loop: Header=BB6_2967 Depth=2
	v_mov_b32_e32 v3, 0
	v_mov_b32_e32 v1, 0
	s_and_saveexec_b64 s[20:21], s[18:19]
	s_cbranch_execz .LBB6_3588
; %bb.3583:                             ;   in Loop: Header=BB6_2967 Depth=2
	v_cmp_ne_u32_e32 vcc, s69, v18
	v_bfrev_b32_e32 v1, 1
	s_and_saveexec_b64 s[18:19], vcc
	s_cbranch_execz .LBB6_3587
; %bb.3584:                             ;   in Loop: Header=BB6_2967 Depth=2
	v_bfe_u32 v4, v25, 24, 7
	v_cmp_ne_u32_e32 vcc, s71, v4
	v_mov_b32_e32 v1, 0x7f800001
	s_and_saveexec_b64 s[56:57], vcc
	s_cbranch_execz .LBB6_3586
; %bb.3585:                             ;   in Loop: Header=BB6_2967 Depth=2
	v_and_b32_e32 v1, 7, v18
	v_ffbh_u32_e32 v6, v1
	v_min_u32_e32 v8, 32, v6
	v_subrev_u32_e32 v6, 28, v8
	v_lshlrev_b64 v[6:7], v6, v[18:19]
	v_lshrrev_b32_e32 v5, 3, v4
	v_sub_u32_e32 v7, 29, v8
	v_and_b32_e32 v6, 7, v6
	v_cmp_gt_u32_e32 vcc, 8, v4
	v_cndmask_b32_e32 v4, v5, v7, vcc
	v_cndmask_b32_e32 v1, v1, v6, vcc
	v_lshlrev_b32_e32 v5, 24, v18
	v_lshlrev_b32_e32 v1, 20, v1
	v_and_b32_e32 v5, 0x80000000, v5
	v_lshl_add_u32 v4, v4, 23, v61
	v_or3_b32 v1, v5, v4, v1
.LBB6_3586:                             ;   in Loop: Header=BB6_2967 Depth=2
	s_or_b64 exec, exec, s[56:57]
.LBB6_3587:                             ;   in Loop: Header=BB6_2967 Depth=2
	s_or_b64 exec, exec, s[18:19]
.LBB6_3588:                             ;   in Loop: Header=BB6_2967 Depth=2
	s_or_b64 exec, exec, s[20:21]
	v_cmp_lt_u64_e32 vcc, s[44:45], v[20:21]
	s_and_saveexec_b64 s[18:19], vcc
	s_cbranch_execz .LBB6_3594
; %bb.3589:                             ;   in Loop: Header=BB6_2967 Depth=2
	v_cmp_ne_u32_e32 vcc, s69, v2
	v_bfrev_b32_e32 v3, 1
	s_and_saveexec_b64 s[20:21], vcc
	s_cbranch_execz .LBB6_3593
; %bb.3590:                             ;   in Loop: Header=BB6_2967 Depth=2
	v_bfe_u32 v4, v21, 24, 7
	v_cmp_ne_u32_e32 vcc, s71, v4
	v_mov_b32_e32 v3, 0x7f800001
	s_and_saveexec_b64 s[56:57], vcc
	s_cbranch_execz .LBB6_3592
; %bb.3591:                             ;   in Loop: Header=BB6_2967 Depth=2
	v_and_b32_e32 v3, 7, v2
	v_ffbh_u32_e32 v6, v3
	v_min_u32_e32 v8, 32, v6
	v_subrev_u32_e32 v6, 28, v8
	v_lshlrev_b64 v[6:7], v6, v[2:3]
	v_lshrrev_b32_e32 v5, 3, v4
	v_sub_u32_e32 v7, 29, v8
	v_and_b32_e32 v6, 7, v6
	v_cmp_gt_u32_e32 vcc, 8, v4
	v_cndmask_b32_e32 v4, v5, v7, vcc
	v_cndmask_b32_e32 v3, v3, v6, vcc
	v_lshlrev_b32_e32 v2, 24, v2
	v_lshlrev_b32_e32 v3, 20, v3
	v_and_b32_e32 v2, 0x80000000, v2
	v_lshl_add_u32 v4, v4, 23, v61
	v_or3_b32 v3, v2, v4, v3
.LBB6_3592:                             ;   in Loop: Header=BB6_2967 Depth=2
	s_or_b64 exec, exec, s[56:57]
.LBB6_3593:                             ;   in Loop: Header=BB6_2967 Depth=2
	s_or_b64 exec, exec, s[20:21]
.LBB6_3594:                             ;   in Loop: Header=BB6_2967 Depth=2
	s_or_b64 exec, exec, s[18:19]
	v_max_f32_e32 v2, v3, v3
	v_max_f32_e32 v1, v1, v1
	v_min_f32_e32 v3, v1, v2
.LBB6_3595:                             ;   in Loop: Header=BB6_2967 Depth=2
	v_and_b32_sdwa v1, v3, s69 dst_sel:DWORD dst_unused:UNUSED_PAD src0_sel:BYTE_3 src1_sel:DWORD
	v_and_b32_e32 v4, 0x7f800000, v3
	v_mov_b32_e32 v5, v53
	v_and_b32_e32 v52, 0x7fffff, v3
	v_or_b32_e32 v21, 0x7e, v1
	v_cmp_ne_u64_e32 vcc, s[40:41], v[4:5]
	s_and_saveexec_b64 s[18:19], vcc
	s_xor_b64 s[20:21], exec, s[18:19]
	s_cbranch_execz .LBB6_3605
; %bb.3596:                             ;   in Loop: Header=BB6_2967 Depth=2
	v_and_b32_e32 v4, 0x7fffffff, v3
	v_mov_b32_e32 v5, v53
	v_cmp_gt_u64_e32 vcc, s[42:43], v[4:5]
	s_and_saveexec_b64 s[56:57], vcc
	s_cbranch_execz .LBB6_3604
; %bb.3597:                             ;   in Loop: Header=BB6_2967 Depth=2
	v_cmp_ne_u32_e32 vcc, 0, v3
	v_mov_b32_e32 v21, 0
	s_and_saveexec_b64 s[58:59], vcc
	s_cbranch_execz .LBB6_3603
; %bb.3598:                             ;   in Loop: Header=BB6_2967 Depth=2
	v_bfe_u32 v2, v3, 23, 8
	v_sub_u32_e32 v4, 0x79, v2
	v_cmp_gt_u32_e32 vcc, s73, v2
	v_cndmask_b32_e32 v4, 0, v4, vcc
	v_cmp_eq_u32_e32 vcc, 0, v2
	v_or_b32_e32 v5, 0x800000, v52
	v_cndmask_b32_e32 v4, v4, v32, vcc
	v_add_u32_e32 v3, 0xffffff81, v2
	v_cndmask_b32_e32 v52, v5, v52, vcc
	v_add_u32_e32 v2, 20, v4
	v_cndmask_b32_e32 v18, v3, v33, vcc
	v_lshlrev_b64 v[2:3], v2, -1
	v_add_u32_e32 v5, 19, v4
	v_lshrrev_b64 v[8:9], v4, v[52:53]
	v_not_b32_e32 v3, v3
	v_not_b32_e32 v2, v2
	v_lshlrev_b64 v[6:7], v5, 1
	v_lshrrev_b32_e32 v5, 23, v8
	v_and_b32_e32 v3, 0, v3
	v_and_b32_e32 v2, v52, v2
	v_add3_u32 v18, v4, v18, v5
	v_bfe_u32 v4, v8, 20, 1
	v_add_u32_e32 v4, -1, v4
	v_cmp_eq_u64_e32 vcc, v[2:3], v[6:7]
	v_cndmask_b32_e32 v2, 0, v4, vcc
	v_add_u32_e32 v2, v2, v8
	v_and_b32_e32 v2, 0xfffff, v2
	v_add_co_u32_e32 v2, vcc, v2, v8
	v_add_u32_e32 v5, 6, v18
	v_addc_co_u32_e32 v3, vcc, 0, v9, vcc
	v_cmp_ne_u32_e32 vcc, 0, v5
                                        ; implicit-def: $vgpr4
	s_and_saveexec_b64 s[18:19], vcc
	s_xor_b64 s[18:19], exec, s[18:19]
; %bb.3599:                             ;   in Loop: Header=BB6_2967 Depth=2
	v_add_u32_e32 v4, 7, v18
	v_cmp_lt_u64_e32 vcc, s[46:47], v[2:3]
	v_cndmask_b32_e32 v4, v5, v4, vcc
	v_cndmask_b32_e64 v5, 0, 1, vcc
	v_lshrrev_b64 v[2:3], v5, v[2:3]
; %bb.3600:                             ;   in Loop: Header=BB6_2967 Depth=2
	s_andn2_saveexec_b64 s[18:19], s[18:19]
; %bb.3601:                             ;   in Loop: Header=BB6_2967 Depth=2
	v_bfe_u32 v4, v2, 23, 1
; %bb.3602:                             ;   in Loop: Header=BB6_2967 Depth=2
	s_or_b64 exec, exec, s[18:19]
	v_lshrrev_b64 v[2:3], 20, v[2:3]
	v_cmp_gt_i32_e32 vcc, 16, v4
	v_cndmask_b32_e32 v3, 0, v3, vcc
	v_cndmask_b32_e32 v2, 7, v2, vcc
	v_cmp_eq_u64_e64 s[18:19], 0, v[2:3]
	v_min_i32_e32 v3, 15, v4
	v_lshlrev_b32_e32 v3, 3, v3
	v_cmp_eq_u32_e32 vcc, 0, v4
	v_and_b32_e32 v3, 0xf8, v3
	v_and_or_b32 v2, v2, 7, v3
	s_and_b64 s[18:19], vcc, s[18:19]
	v_cndmask_b32_e64 v2, v2, 0, s[18:19]
	v_or_b32_e32 v21, v2, v1
.LBB6_3603:                             ;   in Loop: Header=BB6_2967 Depth=2
	s_or_b64 exec, exec, s[58:59]
.LBB6_3604:                             ;   in Loop: Header=BB6_2967 Depth=2
	s_or_b64 exec, exec, s[56:57]
                                        ; implicit-def: $vgpr3
.LBB6_3605:                             ;   in Loop: Header=BB6_2967 Depth=2
	s_andn2_saveexec_b64 s[18:19], s[20:21]
; %bb.3606:                             ;   in Loop: Header=BB6_2967 Depth=2
	v_or_b32_sdwa v1, v3, s71 dst_sel:DWORD dst_unused:UNUSED_PAD src0_sel:BYTE_3 src1_sel:DWORD
	v_cmp_eq_u64_e32 vcc, 0, v[52:53]
	v_cndmask_b32_e32 v21, v1, v21, vcc
; %bb.3607:                             ;   in Loop: Header=BB6_2967 Depth=2
	s_or_b64 exec, exec, s[18:19]
	v_cndmask_b32_e64 v1, 0, 1, s[54:55]
	v_cmp_ne_u32_e64 s[18:19], 1, v1
	s_andn2_b64 vcc, exec, s[54:55]
	v_cmp_ne_u16_sdwa s[20:21], v14, v53 src0_sel:BYTE_0 src1_sel:DWORD
	s_cbranch_vccnz .LBB6_3621
; %bb.3608:                             ;   in Loop: Header=BB6_2967 Depth=2
	v_mov_b32_e32 v2, 0
	v_mov_b32_e32 v1, 0
	s_and_saveexec_b64 s[56:57], s[20:21]
	s_cbranch_execz .LBB6_3614
; %bb.3609:                             ;   in Loop: Header=BB6_2967 Depth=2
	v_cmp_ne_u16_sdwa vcc, v14, s69 src0_sel:BYTE_0 src1_sel:DWORD
	v_bfrev_b32_e32 v1, 1
	s_and_saveexec_b64 s[58:59], vcc
	s_cbranch_execz .LBB6_3613
; %bb.3610:                             ;   in Loop: Header=BB6_2967 Depth=2
	v_and_b32_e32 v3, 0x7f, v14
	v_cmp_ne_u32_e32 vcc, s71, v3
	v_mov_b32_e32 v1, 0x7f800001
	s_and_saveexec_b64 s[60:61], vcc
	s_cbranch_execz .LBB6_3612
; %bb.3611:                             ;   in Loop: Header=BB6_2967 Depth=2
	v_and_b32_e32 v1, 7, v14
	v_ffbh_u32_e32 v1, v1
	v_min_u32_e32 v1, 32, v1
	v_subrev_u32_e32 v5, 28, v1
	v_cmp_gt_u32_e32 vcc, 8, v3
	v_lshrrev_b32_e32 v4, 3, v3
	v_sub_u32_e32 v1, 29, v1
	v_cndmask_b32_e32 v3, 0, v5, vcc
	v_cndmask_b32_e32 v1, v4, v1, vcc
	v_lshlrev_b64 v[4:5], v3, v[14:15]
	v_lshlrev_b32_e32 v3, 20, v4
	v_lshlrev_b32_e32 v4, 24, v14
	v_and_b32_e32 v3, 0x700000, v3
	v_and_b32_e32 v4, 0x80000000, v4
	v_lshl_add_u32 v1, v1, 23, v61
	v_or3_b32 v1, v4, v1, v3
.LBB6_3612:                             ;   in Loop: Header=BB6_2967 Depth=2
	s_or_b64 exec, exec, s[60:61]
.LBB6_3613:                             ;   in Loop: Header=BB6_2967 Depth=2
	s_or_b64 exec, exec, s[58:59]
.LBB6_3614:                             ;   in Loop: Header=BB6_2967 Depth=2
	s_or_b64 exec, exec, s[56:57]
	s_waitcnt vmcnt(0)
	v_cmp_ne_u16_sdwa vcc, v10, v53 src0_sel:BYTE_0 src1_sel:DWORD
	s_and_saveexec_b64 s[56:57], vcc
	s_cbranch_execz .LBB6_3620
; %bb.3615:                             ;   in Loop: Header=BB6_2967 Depth=2
	v_cmp_ne_u16_sdwa vcc, v10, s69 src0_sel:BYTE_0 src1_sel:DWORD
	v_bfrev_b32_e32 v2, 1
	s_and_saveexec_b64 s[58:59], vcc
	s_cbranch_execz .LBB6_3619
; %bb.3616:                             ;   in Loop: Header=BB6_2967 Depth=2
	v_and_b32_e32 v3, 0x7f, v10
	v_cmp_ne_u32_e32 vcc, s71, v3
	v_mov_b32_e32 v2, 0x7f800001
	s_and_saveexec_b64 s[60:61], vcc
	s_cbranch_execz .LBB6_3618
; %bb.3617:                             ;   in Loop: Header=BB6_2967 Depth=2
	v_and_b32_e32 v2, 7, v10
	v_ffbh_u32_e32 v2, v2
	v_min_u32_e32 v2, 32, v2
	v_lshrrev_b32_e32 v4, 3, v3
	v_subrev_u32_e32 v5, 28, v2
	v_sub_u32_e32 v2, 29, v2
	v_cmp_gt_u32_e32 vcc, 8, v3
	v_cndmask_b32_e32 v4, v4, v2, vcc
	v_cndmask_b32_e32 v2, 0, v5, vcc
	v_lshlrev_b64 v[2:3], v2, v[10:11]
	v_lshlrev_b32_e32 v2, 20, v2
	v_lshlrev_b32_e32 v3, 24, v10
	v_and_b32_e32 v2, 0x700000, v2
	v_and_b32_e32 v3, 0x80000000, v3
	v_lshl_add_u32 v4, v4, 23, v61
	v_or3_b32 v2, v3, v4, v2
.LBB6_3618:                             ;   in Loop: Header=BB6_2967 Depth=2
	s_or_b64 exec, exec, s[60:61]
.LBB6_3619:                             ;   in Loop: Header=BB6_2967 Depth=2
	s_or_b64 exec, exec, s[58:59]
.LBB6_3620:                             ;   in Loop: Header=BB6_2967 Depth=2
	s_or_b64 exec, exec, s[56:57]
	v_max_f32_e32 v2, v2, v2
	v_max_f32_e32 v1, v1, v1
	;; [unrolled: 1-line block ×3, first 2 shown]
	s_branch .LBB6_3635
.LBB6_3621:                             ;   in Loop: Header=BB6_2967 Depth=2
                                        ; implicit-def: $vgpr2
	s_cbranch_execz .LBB6_3635
; %bb.3622:                             ;   in Loop: Header=BB6_2967 Depth=2
	v_mov_b32_e32 v2, 0
	v_mov_b32_e32 v1, 0
	s_and_saveexec_b64 s[56:57], s[20:21]
	s_cbranch_execz .LBB6_3628
; %bb.3623:                             ;   in Loop: Header=BB6_2967 Depth=2
	v_cmp_ne_u16_sdwa vcc, v14, s69 src0_sel:BYTE_0 src1_sel:DWORD
	v_bfrev_b32_e32 v1, 1
	s_and_saveexec_b64 s[20:21], vcc
	s_cbranch_execz .LBB6_3627
; %bb.3624:                             ;   in Loop: Header=BB6_2967 Depth=2
	v_and_b32_e32 v3, 0x7f, v14
	v_cmp_ne_u32_e32 vcc, s71, v3
	v_mov_b32_e32 v1, 0x7f800001
	s_and_saveexec_b64 s[58:59], vcc
	s_cbranch_execz .LBB6_3626
; %bb.3625:                             ;   in Loop: Header=BB6_2967 Depth=2
	v_and_b32_e32 v1, 7, v14
	v_ffbh_u32_e32 v1, v1
	v_min_u32_e32 v1, 32, v1
	v_subrev_u32_e32 v5, 28, v1
	v_cmp_gt_u32_e32 vcc, 8, v3
	v_lshrrev_b32_e32 v4, 3, v3
	v_sub_u32_e32 v1, 29, v1
	v_cndmask_b32_e32 v3, 0, v5, vcc
	v_cndmask_b32_e32 v1, v4, v1, vcc
	v_lshlrev_b64 v[4:5], v3, v[14:15]
	v_lshlrev_b32_e32 v3, 20, v4
	v_lshlrev_b32_e32 v4, 24, v14
	v_and_b32_e32 v3, 0x700000, v3
	v_and_b32_e32 v4, 0x80000000, v4
	v_lshl_add_u32 v1, v1, 23, v61
	v_or3_b32 v1, v4, v1, v3
.LBB6_3626:                             ;   in Loop: Header=BB6_2967 Depth=2
	s_or_b64 exec, exec, s[58:59]
.LBB6_3627:                             ;   in Loop: Header=BB6_2967 Depth=2
	s_or_b64 exec, exec, s[20:21]
.LBB6_3628:                             ;   in Loop: Header=BB6_2967 Depth=2
	s_or_b64 exec, exec, s[56:57]
	s_waitcnt vmcnt(0)
	v_cmp_ne_u16_sdwa vcc, v10, v53 src0_sel:BYTE_0 src1_sel:DWORD
	s_and_saveexec_b64 s[20:21], vcc
	s_cbranch_execz .LBB6_3634
; %bb.3629:                             ;   in Loop: Header=BB6_2967 Depth=2
	v_cmp_ne_u16_sdwa vcc, v10, s69 src0_sel:BYTE_0 src1_sel:DWORD
	v_bfrev_b32_e32 v2, 1
	s_and_saveexec_b64 s[56:57], vcc
	s_cbranch_execz .LBB6_3633
; %bb.3630:                             ;   in Loop: Header=BB6_2967 Depth=2
	v_and_b32_e32 v3, 0x7f, v10
	v_cmp_ne_u32_e32 vcc, s71, v3
	v_mov_b32_e32 v2, 0x7f800001
	s_and_saveexec_b64 s[58:59], vcc
	s_cbranch_execz .LBB6_3632
; %bb.3631:                             ;   in Loop: Header=BB6_2967 Depth=2
	v_and_b32_e32 v2, 7, v10
	v_ffbh_u32_e32 v2, v2
	v_min_u32_e32 v2, 32, v2
	v_lshrrev_b32_e32 v4, 3, v3
	v_subrev_u32_e32 v5, 28, v2
	v_sub_u32_e32 v2, 29, v2
	v_cmp_gt_u32_e32 vcc, 8, v3
	v_cndmask_b32_e32 v4, v4, v2, vcc
	v_cndmask_b32_e32 v2, 0, v5, vcc
	v_lshlrev_b64 v[2:3], v2, v[10:11]
	v_lshlrev_b32_e32 v2, 20, v2
	v_lshlrev_b32_e32 v3, 24, v10
	v_and_b32_e32 v2, 0x700000, v2
	v_and_b32_e32 v3, 0x80000000, v3
	v_lshl_add_u32 v4, v4, 23, v61
	v_or3_b32 v2, v3, v4, v2
.LBB6_3632:                             ;   in Loop: Header=BB6_2967 Depth=2
	s_or_b64 exec, exec, s[58:59]
.LBB6_3633:                             ;   in Loop: Header=BB6_2967 Depth=2
	s_or_b64 exec, exec, s[56:57]
.LBB6_3634:                             ;   in Loop: Header=BB6_2967 Depth=2
	s_or_b64 exec, exec, s[20:21]
	v_max_f32_e32 v2, v2, v2
	v_max_f32_e32 v1, v1, v1
	v_min_f32_e32 v2, v1, v2
.LBB6_3635:                             ;   in Loop: Header=BB6_2967 Depth=2
	v_and_b32_sdwa v1, v2, s69 dst_sel:DWORD dst_unused:UNUSED_PAD src0_sel:BYTE_3 src1_sel:DWORD
	v_and_b32_e32 v4, 0x7f800000, v2
	v_mov_b32_e32 v5, v53
	v_and_b32_e32 v52, 0x7fffff, v2
	v_or_b32_e32 v24, 0x7e, v1
	v_cmp_ne_u64_e32 vcc, s[40:41], v[4:5]
	s_and_saveexec_b64 s[20:21], vcc
	s_xor_b64 s[56:57], exec, s[20:21]
	s_cbranch_execz .LBB6_3645
; %bb.3636:                             ;   in Loop: Header=BB6_2967 Depth=2
	v_and_b32_e32 v4, 0x7fffffff, v2
	v_mov_b32_e32 v5, v53
	v_cmp_gt_u64_e32 vcc, s[42:43], v[4:5]
	s_and_saveexec_b64 s[58:59], vcc
	s_cbranch_execz .LBB6_3644
; %bb.3637:                             ;   in Loop: Header=BB6_2967 Depth=2
	v_cmp_ne_u32_e32 vcc, 0, v2
	v_mov_b32_e32 v24, 0
	s_and_saveexec_b64 s[60:61], vcc
	s_cbranch_execz .LBB6_3643
; %bb.3638:                             ;   in Loop: Header=BB6_2967 Depth=2
	v_bfe_u32 v2, v2, 23, 8
	v_sub_u32_e32 v4, 0x79, v2
	v_cmp_gt_u32_e32 vcc, s73, v2
	v_cndmask_b32_e32 v4, 0, v4, vcc
	v_cmp_eq_u32_e32 vcc, 0, v2
	v_or_b32_e32 v5, 0x800000, v52
	v_cndmask_b32_e32 v4, v4, v32, vcc
	v_add_u32_e32 v3, 0xffffff81, v2
	v_cndmask_b32_e32 v52, v5, v52, vcc
	v_add_u32_e32 v2, 20, v4
	v_cndmask_b32_e32 v18, v3, v33, vcc
	v_lshlrev_b64 v[2:3], v2, -1
	v_add_u32_e32 v5, 19, v4
	v_lshrrev_b64 v[8:9], v4, v[52:53]
	v_not_b32_e32 v3, v3
	v_not_b32_e32 v2, v2
	v_lshlrev_b64 v[6:7], v5, 1
	v_lshrrev_b32_e32 v5, 23, v8
	v_and_b32_e32 v3, 0, v3
	v_and_b32_e32 v2, v52, v2
	v_add3_u32 v18, v4, v18, v5
	v_bfe_u32 v4, v8, 20, 1
	v_add_u32_e32 v4, -1, v4
	v_cmp_eq_u64_e32 vcc, v[2:3], v[6:7]
	v_cndmask_b32_e32 v2, 0, v4, vcc
	v_add_u32_e32 v2, v2, v8
	v_and_b32_e32 v2, 0xfffff, v2
	v_add_co_u32_e32 v2, vcc, v2, v8
	v_add_u32_e32 v5, 6, v18
	v_addc_co_u32_e32 v3, vcc, 0, v9, vcc
	v_cmp_ne_u32_e32 vcc, 0, v5
                                        ; implicit-def: $vgpr4
	s_and_saveexec_b64 s[20:21], vcc
	s_xor_b64 s[20:21], exec, s[20:21]
; %bb.3639:                             ;   in Loop: Header=BB6_2967 Depth=2
	v_add_u32_e32 v4, 7, v18
	v_cmp_lt_u64_e32 vcc, s[46:47], v[2:3]
	v_cndmask_b32_e32 v4, v5, v4, vcc
	v_cndmask_b32_e64 v5, 0, 1, vcc
	v_lshrrev_b64 v[2:3], v5, v[2:3]
; %bb.3640:                             ;   in Loop: Header=BB6_2967 Depth=2
	s_andn2_saveexec_b64 s[20:21], s[20:21]
; %bb.3641:                             ;   in Loop: Header=BB6_2967 Depth=2
	v_bfe_u32 v4, v2, 23, 1
; %bb.3642:                             ;   in Loop: Header=BB6_2967 Depth=2
	s_or_b64 exec, exec, s[20:21]
	v_lshrrev_b64 v[2:3], 20, v[2:3]
	v_cmp_gt_i32_e32 vcc, 16, v4
	v_cndmask_b32_e32 v3, 0, v3, vcc
	v_cndmask_b32_e32 v2, 7, v2, vcc
	v_cmp_eq_u64_e64 s[20:21], 0, v[2:3]
	v_min_i32_e32 v3, 15, v4
	v_cmp_eq_u32_e32 vcc, 0, v4
	v_lshlrev_b32_e32 v3, 3, v3
	v_and_or_b32 v2, v2, 7, v3
	s_and_b64 s[20:21], vcc, s[20:21]
	v_cndmask_b32_e64 v2, v2, 0, s[20:21]
	v_or_b32_e32 v24, v2, v1
.LBB6_3643:                             ;   in Loop: Header=BB6_2967 Depth=2
	s_or_b64 exec, exec, s[60:61]
.LBB6_3644:                             ;   in Loop: Header=BB6_2967 Depth=2
	s_or_b64 exec, exec, s[58:59]
                                        ; implicit-def: $vgpr2
.LBB6_3645:                             ;   in Loop: Header=BB6_2967 Depth=2
	s_andn2_saveexec_b64 s[20:21], s[56:57]
; %bb.3646:                             ;   in Loop: Header=BB6_2967 Depth=2
	v_or_b32_sdwa v1, v2, s71 dst_sel:DWORD dst_unused:UNUSED_PAD src0_sel:BYTE_3 src1_sel:DWORD
	v_cmp_eq_u64_e32 vcc, 0, v[52:53]
	v_cndmask_b32_e32 v24, v1, v24, vcc
; %bb.3647:                             ;   in Loop: Header=BB6_2967 Depth=2
	s_or_b64 exec, exec, s[20:21]
	v_lshrrev_b16_e32 v18, 8, v14
	s_waitcnt vmcnt(0)
	v_lshrrev_b16_e32 v2, 8, v10
	s_and_b64 vcc, exec, s[18:19]
	v_cmp_ne_u16_e64 s[20:21], 0, v18
	s_cbranch_vccnz .LBB6_3661
; %bb.3648:                             ;   in Loop: Header=BB6_2967 Depth=2
	v_mov_b32_e32 v3, 0
	v_mov_b32_e32 v1, 0
	s_and_saveexec_b64 s[56:57], s[20:21]
	s_cbranch_execz .LBB6_3654
; %bb.3649:                             ;   in Loop: Header=BB6_2967 Depth=2
	v_cmp_ne_u16_e32 vcc, s69, v18
	v_bfrev_b32_e32 v1, 1
	s_and_saveexec_b64 s[58:59], vcc
	s_cbranch_execz .LBB6_3653
; %bb.3650:                             ;   in Loop: Header=BB6_2967 Depth=2
	v_and_b32_e32 v4, 0x7f, v18
	v_cmp_ne_u32_e32 vcc, s71, v4
	v_mov_b32_e32 v1, 0x7f800001
	s_and_saveexec_b64 s[60:61], vcc
	s_cbranch_execz .LBB6_3652
; %bb.3651:                             ;   in Loop: Header=BB6_2967 Depth=2
	v_and_b32_e32 v1, 7, v18
	v_ffbh_u32_e32 v6, v1
	v_min_u32_e32 v8, 32, v6
	v_subrev_u32_e32 v6, 28, v8
	v_lshlrev_b64 v[6:7], v6, v[18:19]
	v_lshrrev_b32_e32 v5, 3, v4
	v_sub_u32_e32 v7, 29, v8
	v_and_b32_e32 v6, 7, v6
	v_cmp_gt_u32_e32 vcc, 8, v4
	v_cndmask_b32_e32 v4, v5, v7, vcc
	v_cndmask_b32_e32 v1, v1, v6, vcc
	v_lshlrev_b32_e32 v5, 16, v14
	v_lshlrev_b32_e32 v1, 20, v1
	v_and_b32_e32 v5, 0x80000000, v5
	v_lshl_add_u32 v4, v4, 23, v61
	v_or3_b32 v1, v5, v4, v1
.LBB6_3652:                             ;   in Loop: Header=BB6_2967 Depth=2
	s_or_b64 exec, exec, s[60:61]
.LBB6_3653:                             ;   in Loop: Header=BB6_2967 Depth=2
	s_or_b64 exec, exec, s[58:59]
.LBB6_3654:                             ;   in Loop: Header=BB6_2967 Depth=2
	s_or_b64 exec, exec, s[56:57]
	v_cmp_ne_u16_e32 vcc, 0, v2
	s_and_saveexec_b64 s[56:57], vcc
	s_cbranch_execz .LBB6_3660
; %bb.3655:                             ;   in Loop: Header=BB6_2967 Depth=2
	v_cmp_ne_u16_e32 vcc, s69, v2
	v_bfrev_b32_e32 v3, 1
	s_and_saveexec_b64 s[58:59], vcc
	s_cbranch_execz .LBB6_3659
; %bb.3656:                             ;   in Loop: Header=BB6_2967 Depth=2
	v_and_b32_e32 v4, 0x7f, v2
	v_cmp_ne_u32_e32 vcc, s71, v4
	v_mov_b32_e32 v3, 0x7f800001
	s_and_saveexec_b64 s[60:61], vcc
	s_cbranch_execz .LBB6_3658
; %bb.3657:                             ;   in Loop: Header=BB6_2967 Depth=2
	v_and_b32_e32 v3, 7, v2
	v_ffbh_u32_e32 v6, v3
	v_min_u32_e32 v8, 32, v6
	v_subrev_u32_e32 v6, 28, v8
	v_lshlrev_b64 v[6:7], v6, v[2:3]
	v_lshrrev_b32_e32 v5, 3, v4
	v_sub_u32_e32 v7, 29, v8
	v_and_b32_e32 v6, 7, v6
	v_cmp_gt_u32_e32 vcc, 8, v4
	v_cndmask_b32_e32 v4, v5, v7, vcc
	v_cndmask_b32_e32 v3, v3, v6, vcc
	v_lshlrev_b32_e32 v5, 16, v10
	v_lshlrev_b32_e32 v3, 20, v3
	v_and_b32_e32 v5, 0x80000000, v5
	v_lshl_add_u32 v4, v4, 23, v61
	v_or3_b32 v3, v5, v4, v3
.LBB6_3658:                             ;   in Loop: Header=BB6_2967 Depth=2
	s_or_b64 exec, exec, s[60:61]
.LBB6_3659:                             ;   in Loop: Header=BB6_2967 Depth=2
	s_or_b64 exec, exec, s[58:59]
.LBB6_3660:                             ;   in Loop: Header=BB6_2967 Depth=2
	s_or_b64 exec, exec, s[56:57]
	v_max_f32_e32 v3, v3, v3
	v_max_f32_e32 v1, v1, v1
	v_max_f32_e32 v3, v1, v3
	s_branch .LBB6_3675
.LBB6_3661:                             ;   in Loop: Header=BB6_2967 Depth=2
                                        ; implicit-def: $vgpr3
	s_cbranch_execz .LBB6_3675
; %bb.3662:                             ;   in Loop: Header=BB6_2967 Depth=2
	v_mov_b32_e32 v3, 0
	v_mov_b32_e32 v1, 0
	s_and_saveexec_b64 s[56:57], s[20:21]
	s_cbranch_execz .LBB6_3668
; %bb.3663:                             ;   in Loop: Header=BB6_2967 Depth=2
	v_cmp_ne_u16_e32 vcc, s69, v18
	v_bfrev_b32_e32 v1, 1
	s_and_saveexec_b64 s[20:21], vcc
	s_cbranch_execz .LBB6_3667
; %bb.3664:                             ;   in Loop: Header=BB6_2967 Depth=2
	v_and_b32_e32 v4, 0x7f, v18
	v_cmp_ne_u32_e32 vcc, s71, v4
	v_mov_b32_e32 v1, 0x7f800001
	s_and_saveexec_b64 s[58:59], vcc
	s_cbranch_execz .LBB6_3666
; %bb.3665:                             ;   in Loop: Header=BB6_2967 Depth=2
	v_and_b32_e32 v1, 7, v18
	v_ffbh_u32_e32 v6, v1
	v_min_u32_e32 v8, 32, v6
	v_subrev_u32_e32 v6, 28, v8
	v_lshlrev_b64 v[6:7], v6, v[18:19]
	v_lshrrev_b32_e32 v5, 3, v4
	v_sub_u32_e32 v7, 29, v8
	v_and_b32_e32 v6, 7, v6
	v_cmp_gt_u32_e32 vcc, 8, v4
	v_cndmask_b32_e32 v4, v5, v7, vcc
	v_cndmask_b32_e32 v1, v1, v6, vcc
	v_lshlrev_b32_e32 v5, 16, v14
	v_lshlrev_b32_e32 v1, 20, v1
	v_and_b32_e32 v5, 0x80000000, v5
	v_lshl_add_u32 v4, v4, 23, v61
	v_or3_b32 v1, v5, v4, v1
.LBB6_3666:                             ;   in Loop: Header=BB6_2967 Depth=2
	s_or_b64 exec, exec, s[58:59]
.LBB6_3667:                             ;   in Loop: Header=BB6_2967 Depth=2
	s_or_b64 exec, exec, s[20:21]
.LBB6_3668:                             ;   in Loop: Header=BB6_2967 Depth=2
	s_or_b64 exec, exec, s[56:57]
	v_cmp_ne_u16_e32 vcc, 0, v2
	s_and_saveexec_b64 s[20:21], vcc
	s_cbranch_execz .LBB6_3674
; %bb.3669:                             ;   in Loop: Header=BB6_2967 Depth=2
	v_cmp_ne_u16_e32 vcc, s69, v2
	v_bfrev_b32_e32 v3, 1
	s_and_saveexec_b64 s[56:57], vcc
	s_cbranch_execz .LBB6_3673
; %bb.3670:                             ;   in Loop: Header=BB6_2967 Depth=2
	v_and_b32_e32 v4, 0x7f, v2
	v_cmp_ne_u32_e32 vcc, s71, v4
	v_mov_b32_e32 v3, 0x7f800001
	s_and_saveexec_b64 s[58:59], vcc
	s_cbranch_execz .LBB6_3672
; %bb.3671:                             ;   in Loop: Header=BB6_2967 Depth=2
	v_and_b32_e32 v5, 7, v2
	v_ffbh_u32_e32 v3, v5
	v_min_u32_e32 v7, 32, v3
	v_subrev_u32_e32 v3, 28, v7
	v_lshlrev_b64 v[2:3], v3, v[2:3]
	v_lshrrev_b32_e32 v6, 3, v4
	v_sub_u32_e32 v3, 29, v7
	v_and_b32_e32 v2, 7, v2
	v_cmp_gt_u32_e32 vcc, 8, v4
	v_cndmask_b32_e32 v3, v6, v3, vcc
	v_cndmask_b32_e32 v2, v5, v2, vcc
	v_lshlrev_b32_e32 v4, 16, v10
	v_lshlrev_b32_e32 v2, 20, v2
	v_and_b32_e32 v4, 0x80000000, v4
	v_lshl_add_u32 v3, v3, 23, v61
	v_or3_b32 v3, v4, v3, v2
.LBB6_3672:                             ;   in Loop: Header=BB6_2967 Depth=2
	s_or_b64 exec, exec, s[58:59]
.LBB6_3673:                             ;   in Loop: Header=BB6_2967 Depth=2
	s_or_b64 exec, exec, s[56:57]
.LBB6_3674:                             ;   in Loop: Header=BB6_2967 Depth=2
	s_or_b64 exec, exec, s[20:21]
	v_max_f32_e32 v2, v3, v3
	v_max_f32_e32 v1, v1, v1
	v_min_f32_e32 v3, v1, v2
.LBB6_3675:                             ;   in Loop: Header=BB6_2967 Depth=2
	v_and_b32_sdwa v1, v3, s69 dst_sel:DWORD dst_unused:UNUSED_PAD src0_sel:BYTE_3 src1_sel:DWORD
	v_and_b32_e32 v4, 0x7f800000, v3
	v_mov_b32_e32 v5, v53
	v_and_b32_e32 v52, 0x7fffff, v3
	v_or_b32_e32 v25, 0x7e, v1
	v_cmp_ne_u64_e32 vcc, s[40:41], v[4:5]
	s_and_saveexec_b64 s[20:21], vcc
	s_xor_b64 s[56:57], exec, s[20:21]
	s_cbranch_execz .LBB6_3685
; %bb.3676:                             ;   in Loop: Header=BB6_2967 Depth=2
	v_and_b32_e32 v4, 0x7fffffff, v3
	v_mov_b32_e32 v5, v53
	v_cmp_gt_u64_e32 vcc, s[42:43], v[4:5]
	s_and_saveexec_b64 s[58:59], vcc
	s_cbranch_execz .LBB6_3684
; %bb.3677:                             ;   in Loop: Header=BB6_2967 Depth=2
	v_cmp_ne_u32_e32 vcc, 0, v3
	v_mov_b32_e32 v25, 0
	s_and_saveexec_b64 s[60:61], vcc
	s_cbranch_execz .LBB6_3683
; %bb.3678:                             ;   in Loop: Header=BB6_2967 Depth=2
	v_bfe_u32 v2, v3, 23, 8
	v_sub_u32_e32 v4, 0x79, v2
	v_cmp_gt_u32_e32 vcc, s73, v2
	v_cndmask_b32_e32 v4, 0, v4, vcc
	v_cmp_eq_u32_e32 vcc, 0, v2
	v_or_b32_e32 v5, 0x800000, v52
	v_cndmask_b32_e32 v4, v4, v32, vcc
	v_add_u32_e32 v3, 0xffffff81, v2
	v_cndmask_b32_e32 v52, v5, v52, vcc
	v_add_u32_e32 v2, 20, v4
	v_cndmask_b32_e32 v18, v3, v33, vcc
	v_lshlrev_b64 v[2:3], v2, -1
	v_add_u32_e32 v5, 19, v4
	v_lshrrev_b64 v[8:9], v4, v[52:53]
	v_not_b32_e32 v3, v3
	v_not_b32_e32 v2, v2
	v_lshlrev_b64 v[6:7], v5, 1
	v_lshrrev_b32_e32 v5, 23, v8
	v_and_b32_e32 v3, 0, v3
	v_and_b32_e32 v2, v52, v2
	v_add3_u32 v18, v4, v18, v5
	v_bfe_u32 v4, v8, 20, 1
	v_add_u32_e32 v4, -1, v4
	v_cmp_eq_u64_e32 vcc, v[2:3], v[6:7]
	v_cndmask_b32_e32 v2, 0, v4, vcc
	v_add_u32_e32 v2, v2, v8
	v_and_b32_e32 v2, 0xfffff, v2
	v_add_co_u32_e32 v2, vcc, v2, v8
	v_add_u32_e32 v5, 6, v18
	v_addc_co_u32_e32 v3, vcc, 0, v9, vcc
	v_cmp_ne_u32_e32 vcc, 0, v5
                                        ; implicit-def: $vgpr4
	s_and_saveexec_b64 s[20:21], vcc
	s_xor_b64 s[20:21], exec, s[20:21]
; %bb.3679:                             ;   in Loop: Header=BB6_2967 Depth=2
	v_add_u32_e32 v4, 7, v18
	v_cmp_lt_u64_e32 vcc, s[46:47], v[2:3]
	v_cndmask_b32_e32 v4, v5, v4, vcc
	v_cndmask_b32_e64 v5, 0, 1, vcc
	v_lshrrev_b64 v[2:3], v5, v[2:3]
; %bb.3680:                             ;   in Loop: Header=BB6_2967 Depth=2
	s_andn2_saveexec_b64 s[20:21], s[20:21]
; %bb.3681:                             ;   in Loop: Header=BB6_2967 Depth=2
	v_bfe_u32 v4, v2, 23, 1
; %bb.3682:                             ;   in Loop: Header=BB6_2967 Depth=2
	s_or_b64 exec, exec, s[20:21]
	v_lshrrev_b64 v[2:3], 20, v[2:3]
	v_cmp_gt_i32_e32 vcc, 16, v4
	v_cndmask_b32_e32 v3, 0, v3, vcc
	v_cndmask_b32_e32 v2, 7, v2, vcc
	v_cmp_eq_u64_e64 s[20:21], 0, v[2:3]
	v_min_i32_e32 v3, 15, v4
	v_cmp_eq_u32_e32 vcc, 0, v4
	v_lshlrev_b32_e32 v3, 3, v3
	v_and_or_b32 v2, v2, 7, v3
	s_and_b64 s[20:21], vcc, s[20:21]
	v_cndmask_b32_e64 v2, v2, 0, s[20:21]
	v_or_b32_e32 v25, v2, v1
.LBB6_3683:                             ;   in Loop: Header=BB6_2967 Depth=2
	s_or_b64 exec, exec, s[60:61]
.LBB6_3684:                             ;   in Loop: Header=BB6_2967 Depth=2
	s_or_b64 exec, exec, s[58:59]
                                        ; implicit-def: $vgpr3
.LBB6_3685:                             ;   in Loop: Header=BB6_2967 Depth=2
	s_andn2_saveexec_b64 s[20:21], s[56:57]
; %bb.3686:                             ;   in Loop: Header=BB6_2967 Depth=2
	v_or_b32_sdwa v1, v3, s71 dst_sel:DWORD dst_unused:UNUSED_PAD src0_sel:BYTE_3 src1_sel:DWORD
	v_cmp_eq_u64_e32 vcc, 0, v[52:53]
	v_cndmask_b32_e32 v25, v1, v25, vcc
; %bb.3687:                             ;   in Loop: Header=BB6_2967 Depth=2
	s_or_b64 exec, exec, s[20:21]
	v_lshrrev_b32_e32 v18, 16, v14
	v_lshrrev_b32_e32 v2, 16, v10
	s_and_b64 vcc, exec, s[18:19]
	v_cmp_ne_u16_sdwa s[20:21], v18, v53 src0_sel:BYTE_0 src1_sel:DWORD
	s_cbranch_vccnz .LBB6_3701
; %bb.3688:                             ;   in Loop: Header=BB6_2967 Depth=2
	v_mov_b32_e32 v3, 0
	v_mov_b32_e32 v1, 0
	s_and_saveexec_b64 s[56:57], s[20:21]
	s_cbranch_execz .LBB6_3694
; %bb.3689:                             ;   in Loop: Header=BB6_2967 Depth=2
	v_cmp_ne_u16_sdwa vcc, v18, s69 src0_sel:BYTE_0 src1_sel:DWORD
	v_bfrev_b32_e32 v1, 1
	s_and_saveexec_b64 s[58:59], vcc
	s_cbranch_execz .LBB6_3693
; %bb.3690:                             ;   in Loop: Header=BB6_2967 Depth=2
	v_bfe_u32 v4, v14, 16, 7
	v_cmp_ne_u32_e32 vcc, s71, v4
	v_mov_b32_e32 v1, 0x7f800001
	s_and_saveexec_b64 s[60:61], vcc
	s_cbranch_execz .LBB6_3692
; %bb.3691:                             ;   in Loop: Header=BB6_2967 Depth=2
	v_and_b32_e32 v1, 7, v18
	v_ffbh_u32_e32 v6, v1
	v_min_u32_e32 v8, 32, v6
	v_subrev_u32_e32 v6, 28, v8
	v_lshlrev_b64 v[6:7], v6, v[18:19]
	v_lshrrev_b32_e32 v5, 3, v4
	v_sub_u32_e32 v7, 29, v8
	v_and_b32_e32 v6, 7, v6
	v_cmp_gt_u32_e32 vcc, 8, v4
	v_cndmask_b32_e32 v4, v5, v7, vcc
	v_cndmask_b32_e32 v1, v1, v6, vcc
	v_lshlrev_b32_e32 v5, 24, v18
	v_lshlrev_b32_e32 v1, 20, v1
	v_and_b32_e32 v5, 0x80000000, v5
	v_lshl_add_u32 v4, v4, 23, v61
	v_or3_b32 v1, v5, v4, v1
.LBB6_3692:                             ;   in Loop: Header=BB6_2967 Depth=2
	s_or_b64 exec, exec, s[60:61]
.LBB6_3693:                             ;   in Loop: Header=BB6_2967 Depth=2
	s_or_b64 exec, exec, s[58:59]
.LBB6_3694:                             ;   in Loop: Header=BB6_2967 Depth=2
	s_or_b64 exec, exec, s[56:57]
	v_cmp_ne_u16_sdwa vcc, v2, v53 src0_sel:BYTE_0 src1_sel:DWORD
	s_and_saveexec_b64 s[56:57], vcc
	s_cbranch_execz .LBB6_3700
; %bb.3695:                             ;   in Loop: Header=BB6_2967 Depth=2
	v_cmp_ne_u16_sdwa vcc, v2, s69 src0_sel:BYTE_0 src1_sel:DWORD
	v_bfrev_b32_e32 v3, 1
	s_and_saveexec_b64 s[58:59], vcc
	s_cbranch_execz .LBB6_3699
; %bb.3696:                             ;   in Loop: Header=BB6_2967 Depth=2
	v_bfe_u32 v4, v10, 16, 7
	v_cmp_ne_u32_e32 vcc, s71, v4
	v_mov_b32_e32 v3, 0x7f800001
	s_and_saveexec_b64 s[60:61], vcc
	s_cbranch_execz .LBB6_3698
; %bb.3697:                             ;   in Loop: Header=BB6_2967 Depth=2
	v_and_b32_e32 v3, 7, v2
	v_ffbh_u32_e32 v6, v3
	v_min_u32_e32 v8, 32, v6
	v_subrev_u32_e32 v6, 28, v8
	v_lshlrev_b64 v[6:7], v6, v[2:3]
	v_lshrrev_b32_e32 v5, 3, v4
	v_sub_u32_e32 v7, 29, v8
	v_and_b32_e32 v6, 7, v6
	v_cmp_gt_u32_e32 vcc, 8, v4
	v_cndmask_b32_e32 v4, v5, v7, vcc
	v_cndmask_b32_e32 v3, v3, v6, vcc
	v_lshlrev_b32_e32 v5, 24, v2
	v_lshlrev_b32_e32 v3, 20, v3
	v_and_b32_e32 v5, 0x80000000, v5
	v_lshl_add_u32 v4, v4, 23, v61
	v_or3_b32 v3, v5, v4, v3
.LBB6_3698:                             ;   in Loop: Header=BB6_2967 Depth=2
	s_or_b64 exec, exec, s[60:61]
.LBB6_3699:                             ;   in Loop: Header=BB6_2967 Depth=2
	s_or_b64 exec, exec, s[58:59]
.LBB6_3700:                             ;   in Loop: Header=BB6_2967 Depth=2
	s_or_b64 exec, exec, s[56:57]
	v_max_f32_e32 v3, v3, v3
	v_max_f32_e32 v1, v1, v1
	;; [unrolled: 1-line block ×3, first 2 shown]
	s_branch .LBB6_3715
.LBB6_3701:                             ;   in Loop: Header=BB6_2967 Depth=2
                                        ; implicit-def: $vgpr3
	s_cbranch_execz .LBB6_3715
; %bb.3702:                             ;   in Loop: Header=BB6_2967 Depth=2
	v_mov_b32_e32 v3, 0
	v_mov_b32_e32 v1, 0
	s_and_saveexec_b64 s[56:57], s[20:21]
	s_cbranch_execz .LBB6_3708
; %bb.3703:                             ;   in Loop: Header=BB6_2967 Depth=2
	v_cmp_ne_u16_sdwa vcc, v18, s69 src0_sel:BYTE_0 src1_sel:DWORD
	v_bfrev_b32_e32 v1, 1
	s_and_saveexec_b64 s[20:21], vcc
	s_cbranch_execz .LBB6_3707
; %bb.3704:                             ;   in Loop: Header=BB6_2967 Depth=2
	v_bfe_u32 v4, v14, 16, 7
	v_cmp_ne_u32_e32 vcc, s71, v4
	v_mov_b32_e32 v1, 0x7f800001
	s_and_saveexec_b64 s[58:59], vcc
	s_cbranch_execz .LBB6_3706
; %bb.3705:                             ;   in Loop: Header=BB6_2967 Depth=2
	v_and_b32_e32 v1, 7, v18
	v_ffbh_u32_e32 v6, v1
	v_min_u32_e32 v8, 32, v6
	v_subrev_u32_e32 v6, 28, v8
	v_lshlrev_b64 v[6:7], v6, v[18:19]
	v_lshrrev_b32_e32 v5, 3, v4
	v_sub_u32_e32 v7, 29, v8
	v_and_b32_e32 v6, 7, v6
	v_cmp_gt_u32_e32 vcc, 8, v4
	v_cndmask_b32_e32 v4, v5, v7, vcc
	v_cndmask_b32_e32 v1, v1, v6, vcc
	v_lshlrev_b32_e32 v5, 24, v18
	v_lshlrev_b32_e32 v1, 20, v1
	v_and_b32_e32 v5, 0x80000000, v5
	v_lshl_add_u32 v4, v4, 23, v61
	v_or3_b32 v1, v5, v4, v1
.LBB6_3706:                             ;   in Loop: Header=BB6_2967 Depth=2
	s_or_b64 exec, exec, s[58:59]
.LBB6_3707:                             ;   in Loop: Header=BB6_2967 Depth=2
	s_or_b64 exec, exec, s[20:21]
.LBB6_3708:                             ;   in Loop: Header=BB6_2967 Depth=2
	s_or_b64 exec, exec, s[56:57]
	v_cmp_ne_u16_sdwa vcc, v2, v53 src0_sel:BYTE_0 src1_sel:DWORD
	s_and_saveexec_b64 s[20:21], vcc
	s_cbranch_execz .LBB6_3714
; %bb.3709:                             ;   in Loop: Header=BB6_2967 Depth=2
	v_cmp_ne_u16_sdwa vcc, v2, s69 src0_sel:BYTE_0 src1_sel:DWORD
	v_bfrev_b32_e32 v3, 1
	s_and_saveexec_b64 s[56:57], vcc
	s_cbranch_execz .LBB6_3713
; %bb.3710:                             ;   in Loop: Header=BB6_2967 Depth=2
	v_bfe_u32 v4, v10, 16, 7
	v_cmp_ne_u32_e32 vcc, s71, v4
	v_mov_b32_e32 v3, 0x7f800001
	s_and_saveexec_b64 s[58:59], vcc
	s_cbranch_execz .LBB6_3712
; %bb.3711:                             ;   in Loop: Header=BB6_2967 Depth=2
	v_and_b32_e32 v3, 7, v2
	v_ffbh_u32_e32 v6, v3
	v_min_u32_e32 v8, 32, v6
	v_subrev_u32_e32 v6, 28, v8
	v_lshlrev_b64 v[6:7], v6, v[2:3]
	v_lshrrev_b32_e32 v5, 3, v4
	v_sub_u32_e32 v7, 29, v8
	v_and_b32_e32 v6, 7, v6
	v_cmp_gt_u32_e32 vcc, 8, v4
	v_cndmask_b32_e32 v4, v5, v7, vcc
	v_cndmask_b32_e32 v3, v3, v6, vcc
	v_lshlrev_b32_e32 v2, 24, v2
	v_lshlrev_b32_e32 v3, 20, v3
	v_and_b32_e32 v2, 0x80000000, v2
	v_lshl_add_u32 v4, v4, 23, v61
	v_or3_b32 v3, v2, v4, v3
.LBB6_3712:                             ;   in Loop: Header=BB6_2967 Depth=2
	s_or_b64 exec, exec, s[58:59]
.LBB6_3713:                             ;   in Loop: Header=BB6_2967 Depth=2
	s_or_b64 exec, exec, s[56:57]
.LBB6_3714:                             ;   in Loop: Header=BB6_2967 Depth=2
	s_or_b64 exec, exec, s[20:21]
	v_max_f32_e32 v2, v3, v3
	v_max_f32_e32 v1, v1, v1
	v_min_f32_e32 v3, v1, v2
.LBB6_3715:                             ;   in Loop: Header=BB6_2967 Depth=2
	v_and_b32_sdwa v1, v3, s69 dst_sel:DWORD dst_unused:UNUSED_PAD src0_sel:BYTE_3 src1_sel:DWORD
	v_and_b32_e32 v4, 0x7f800000, v3
	v_mov_b32_e32 v5, v53
	v_and_b32_e32 v52, 0x7fffff, v3
	v_or_b32_e32 v27, 0x7e, v1
	v_cmp_ne_u64_e32 vcc, s[40:41], v[4:5]
	s_and_saveexec_b64 s[20:21], vcc
	s_xor_b64 s[56:57], exec, s[20:21]
	s_cbranch_execz .LBB6_3725
; %bb.3716:                             ;   in Loop: Header=BB6_2967 Depth=2
	v_and_b32_e32 v4, 0x7fffffff, v3
	v_mov_b32_e32 v5, v53
	v_cmp_gt_u64_e32 vcc, s[42:43], v[4:5]
	s_and_saveexec_b64 s[58:59], vcc
	s_cbranch_execz .LBB6_3724
; %bb.3717:                             ;   in Loop: Header=BB6_2967 Depth=2
	v_cmp_ne_u32_e32 vcc, 0, v3
	v_mov_b32_e32 v27, 0
	s_and_saveexec_b64 s[60:61], vcc
	s_cbranch_execz .LBB6_3723
; %bb.3718:                             ;   in Loop: Header=BB6_2967 Depth=2
	v_bfe_u32 v2, v3, 23, 8
	v_sub_u32_e32 v4, 0x79, v2
	v_cmp_gt_u32_e32 vcc, s73, v2
	v_cndmask_b32_e32 v4, 0, v4, vcc
	v_cmp_eq_u32_e32 vcc, 0, v2
	v_or_b32_e32 v5, 0x800000, v52
	v_cndmask_b32_e32 v4, v4, v32, vcc
	v_add_u32_e32 v3, 0xffffff81, v2
	v_cndmask_b32_e32 v52, v5, v52, vcc
	v_add_u32_e32 v2, 20, v4
	v_cndmask_b32_e32 v18, v3, v33, vcc
	v_lshlrev_b64 v[2:3], v2, -1
	v_add_u32_e32 v5, 19, v4
	v_lshrrev_b64 v[8:9], v4, v[52:53]
	v_not_b32_e32 v3, v3
	v_not_b32_e32 v2, v2
	v_lshlrev_b64 v[6:7], v5, 1
	v_lshrrev_b32_e32 v5, 23, v8
	v_and_b32_e32 v3, 0, v3
	v_and_b32_e32 v2, v52, v2
	v_add3_u32 v18, v4, v18, v5
	v_bfe_u32 v4, v8, 20, 1
	v_add_u32_e32 v4, -1, v4
	v_cmp_eq_u64_e32 vcc, v[2:3], v[6:7]
	v_cndmask_b32_e32 v2, 0, v4, vcc
	v_add_u32_e32 v2, v2, v8
	v_and_b32_e32 v2, 0xfffff, v2
	v_add_co_u32_e32 v2, vcc, v2, v8
	v_add_u32_e32 v5, 6, v18
	v_addc_co_u32_e32 v3, vcc, 0, v9, vcc
	v_cmp_ne_u32_e32 vcc, 0, v5
                                        ; implicit-def: $vgpr4
	s_and_saveexec_b64 s[20:21], vcc
	s_xor_b64 s[20:21], exec, s[20:21]
; %bb.3719:                             ;   in Loop: Header=BB6_2967 Depth=2
	v_add_u32_e32 v4, 7, v18
	v_cmp_lt_u64_e32 vcc, s[46:47], v[2:3]
	v_cndmask_b32_e32 v4, v5, v4, vcc
	v_cndmask_b32_e64 v5, 0, 1, vcc
	v_lshrrev_b64 v[2:3], v5, v[2:3]
; %bb.3720:                             ;   in Loop: Header=BB6_2967 Depth=2
	s_andn2_saveexec_b64 s[20:21], s[20:21]
; %bb.3721:                             ;   in Loop: Header=BB6_2967 Depth=2
	v_bfe_u32 v4, v2, 23, 1
; %bb.3722:                             ;   in Loop: Header=BB6_2967 Depth=2
	s_or_b64 exec, exec, s[20:21]
	v_lshrrev_b64 v[2:3], 20, v[2:3]
	v_cmp_gt_i32_e32 vcc, 16, v4
	v_cndmask_b32_e32 v3, 0, v3, vcc
	v_cndmask_b32_e32 v2, 7, v2, vcc
	v_cmp_eq_u64_e64 s[20:21], 0, v[2:3]
	v_min_i32_e32 v3, 15, v4
	v_cmp_eq_u32_e32 vcc, 0, v4
	v_lshlrev_b32_e32 v3, 3, v3
	v_and_or_b32 v2, v2, 7, v3
	s_and_b64 s[20:21], vcc, s[20:21]
	v_cndmask_b32_e64 v2, v2, 0, s[20:21]
	v_or_b32_e32 v27, v2, v1
.LBB6_3723:                             ;   in Loop: Header=BB6_2967 Depth=2
	s_or_b64 exec, exec, s[60:61]
.LBB6_3724:                             ;   in Loop: Header=BB6_2967 Depth=2
	s_or_b64 exec, exec, s[58:59]
                                        ; implicit-def: $vgpr3
.LBB6_3725:                             ;   in Loop: Header=BB6_2967 Depth=2
	s_andn2_saveexec_b64 s[20:21], s[56:57]
; %bb.3726:                             ;   in Loop: Header=BB6_2967 Depth=2
	v_or_b32_sdwa v1, v3, s71 dst_sel:DWORD dst_unused:UNUSED_PAD src0_sel:BYTE_3 src1_sel:DWORD
	v_cmp_eq_u64_e32 vcc, 0, v[52:53]
	v_cndmask_b32_e32 v27, v1, v27, vcc
; %bb.3727:                             ;   in Loop: Header=BB6_2967 Depth=2
	s_or_b64 exec, exec, s[20:21]
	v_lshrrev_b32_e32 v18, 24, v14
	v_lshrrev_b32_e32 v2, 24, v10
	s_and_b64 vcc, exec, s[18:19]
	v_cmp_lt_u32_e64 s[20:21], s45, v14
	s_cbranch_vccnz .LBB6_3741
; %bb.3728:                             ;   in Loop: Header=BB6_2967 Depth=2
	v_mov_b32_e32 v3, 0
	v_mov_b32_e32 v1, 0
	s_and_saveexec_b64 s[56:57], s[20:21]
	s_cbranch_execz .LBB6_3734
; %bb.3729:                             ;   in Loop: Header=BB6_2967 Depth=2
	v_cmp_ne_u32_e32 vcc, s69, v18
	v_bfrev_b32_e32 v1, 1
	s_and_saveexec_b64 s[58:59], vcc
	s_cbranch_execz .LBB6_3733
; %bb.3730:                             ;   in Loop: Header=BB6_2967 Depth=2
	v_bfe_u32 v4, v14, 24, 7
	v_cmp_ne_u32_e32 vcc, s71, v4
	v_mov_b32_e32 v1, 0x7f800001
	s_and_saveexec_b64 s[60:61], vcc
	s_cbranch_execz .LBB6_3732
; %bb.3731:                             ;   in Loop: Header=BB6_2967 Depth=2
	v_and_b32_e32 v1, 7, v18
	v_ffbh_u32_e32 v6, v1
	v_min_u32_e32 v8, 32, v6
	v_subrev_u32_e32 v6, 28, v8
	v_lshlrev_b64 v[6:7], v6, v[18:19]
	v_lshrrev_b32_e32 v5, 3, v4
	v_sub_u32_e32 v7, 29, v8
	v_and_b32_e32 v6, 7, v6
	v_cmp_gt_u32_e32 vcc, 8, v4
	v_cndmask_b32_e32 v4, v5, v7, vcc
	v_cndmask_b32_e32 v1, v1, v6, vcc
	v_lshlrev_b32_e32 v5, 24, v18
	v_lshlrev_b32_e32 v1, 20, v1
	v_and_b32_e32 v5, 0x80000000, v5
	v_lshl_add_u32 v4, v4, 23, v61
	v_or3_b32 v1, v5, v4, v1
.LBB6_3732:                             ;   in Loop: Header=BB6_2967 Depth=2
	s_or_b64 exec, exec, s[60:61]
.LBB6_3733:                             ;   in Loop: Header=BB6_2967 Depth=2
	s_or_b64 exec, exec, s[58:59]
.LBB6_3734:                             ;   in Loop: Header=BB6_2967 Depth=2
	s_or_b64 exec, exec, s[56:57]
	v_cmp_lt_u32_e32 vcc, s45, v10
	s_and_saveexec_b64 s[56:57], vcc
	s_cbranch_execz .LBB6_3740
; %bb.3735:                             ;   in Loop: Header=BB6_2967 Depth=2
	v_cmp_ne_u32_e32 vcc, s69, v2
	v_bfrev_b32_e32 v3, 1
	s_and_saveexec_b64 s[58:59], vcc
	s_cbranch_execz .LBB6_3739
; %bb.3736:                             ;   in Loop: Header=BB6_2967 Depth=2
	v_bfe_u32 v4, v10, 24, 7
	v_cmp_ne_u32_e32 vcc, s71, v4
	v_mov_b32_e32 v3, 0x7f800001
	s_and_saveexec_b64 s[60:61], vcc
	s_cbranch_execz .LBB6_3738
; %bb.3737:                             ;   in Loop: Header=BB6_2967 Depth=2
	v_and_b32_e32 v3, 7, v2
	v_ffbh_u32_e32 v6, v3
	v_min_u32_e32 v8, 32, v6
	v_subrev_u32_e32 v6, 28, v8
	v_lshlrev_b64 v[6:7], v6, v[2:3]
	v_lshrrev_b32_e32 v5, 3, v4
	v_sub_u32_e32 v7, 29, v8
	v_and_b32_e32 v6, 7, v6
	v_cmp_gt_u32_e32 vcc, 8, v4
	v_cndmask_b32_e32 v4, v5, v7, vcc
	v_cndmask_b32_e32 v3, v3, v6, vcc
	v_lshlrev_b32_e32 v5, 24, v2
	v_lshlrev_b32_e32 v3, 20, v3
	v_and_b32_e32 v5, 0x80000000, v5
	v_lshl_add_u32 v4, v4, 23, v61
	v_or3_b32 v3, v5, v4, v3
.LBB6_3738:                             ;   in Loop: Header=BB6_2967 Depth=2
	s_or_b64 exec, exec, s[60:61]
.LBB6_3739:                             ;   in Loop: Header=BB6_2967 Depth=2
	s_or_b64 exec, exec, s[58:59]
.LBB6_3740:                             ;   in Loop: Header=BB6_2967 Depth=2
	s_or_b64 exec, exec, s[56:57]
	v_max_f32_e32 v3, v3, v3
	v_max_f32_e32 v1, v1, v1
	;; [unrolled: 1-line block ×3, first 2 shown]
	s_branch .LBB6_3755
.LBB6_3741:                             ;   in Loop: Header=BB6_2967 Depth=2
                                        ; implicit-def: $vgpr3
	s_cbranch_execz .LBB6_3755
; %bb.3742:                             ;   in Loop: Header=BB6_2967 Depth=2
	v_mov_b32_e32 v3, 0
	v_mov_b32_e32 v1, 0
	s_and_saveexec_b64 s[56:57], s[20:21]
	s_cbranch_execz .LBB6_3748
; %bb.3743:                             ;   in Loop: Header=BB6_2967 Depth=2
	v_cmp_ne_u32_e32 vcc, s69, v18
	v_bfrev_b32_e32 v1, 1
	s_and_saveexec_b64 s[20:21], vcc
	s_cbranch_execz .LBB6_3747
; %bb.3744:                             ;   in Loop: Header=BB6_2967 Depth=2
	v_bfe_u32 v4, v14, 24, 7
	v_cmp_ne_u32_e32 vcc, s71, v4
	v_mov_b32_e32 v1, 0x7f800001
	s_and_saveexec_b64 s[58:59], vcc
	s_cbranch_execz .LBB6_3746
; %bb.3745:                             ;   in Loop: Header=BB6_2967 Depth=2
	v_and_b32_e32 v1, 7, v18
	v_ffbh_u32_e32 v6, v1
	v_min_u32_e32 v8, 32, v6
	v_subrev_u32_e32 v6, 28, v8
	v_lshlrev_b64 v[6:7], v6, v[18:19]
	v_lshrrev_b32_e32 v5, 3, v4
	v_sub_u32_e32 v7, 29, v8
	v_and_b32_e32 v6, 7, v6
	v_cmp_gt_u32_e32 vcc, 8, v4
	v_cndmask_b32_e32 v4, v5, v7, vcc
	v_cndmask_b32_e32 v1, v1, v6, vcc
	v_lshlrev_b32_e32 v5, 24, v18
	v_lshlrev_b32_e32 v1, 20, v1
	v_and_b32_e32 v5, 0x80000000, v5
	v_lshl_add_u32 v4, v4, 23, v61
	v_or3_b32 v1, v5, v4, v1
.LBB6_3746:                             ;   in Loop: Header=BB6_2967 Depth=2
	s_or_b64 exec, exec, s[58:59]
.LBB6_3747:                             ;   in Loop: Header=BB6_2967 Depth=2
	s_or_b64 exec, exec, s[20:21]
.LBB6_3748:                             ;   in Loop: Header=BB6_2967 Depth=2
	s_or_b64 exec, exec, s[56:57]
	v_cmp_lt_u32_e32 vcc, s45, v10
	s_and_saveexec_b64 s[20:21], vcc
	s_cbranch_execz .LBB6_3754
; %bb.3749:                             ;   in Loop: Header=BB6_2967 Depth=2
	v_cmp_ne_u32_e32 vcc, s69, v2
	v_bfrev_b32_e32 v3, 1
	s_and_saveexec_b64 s[56:57], vcc
	s_cbranch_execz .LBB6_3753
; %bb.3750:                             ;   in Loop: Header=BB6_2967 Depth=2
	v_bfe_u32 v4, v10, 24, 7
	v_cmp_ne_u32_e32 vcc, s71, v4
	v_mov_b32_e32 v3, 0x7f800001
	s_and_saveexec_b64 s[58:59], vcc
	s_cbranch_execz .LBB6_3752
; %bb.3751:                             ;   in Loop: Header=BB6_2967 Depth=2
	v_and_b32_e32 v3, 7, v2
	v_ffbh_u32_e32 v6, v3
	v_min_u32_e32 v8, 32, v6
	v_subrev_u32_e32 v6, 28, v8
	v_lshlrev_b64 v[6:7], v6, v[2:3]
	v_lshrrev_b32_e32 v5, 3, v4
	v_sub_u32_e32 v7, 29, v8
	v_and_b32_e32 v6, 7, v6
	v_cmp_gt_u32_e32 vcc, 8, v4
	v_cndmask_b32_e32 v4, v5, v7, vcc
	v_cndmask_b32_e32 v3, v3, v6, vcc
	v_lshlrev_b32_e32 v2, 24, v2
	v_lshlrev_b32_e32 v3, 20, v3
	v_and_b32_e32 v2, 0x80000000, v2
	v_lshl_add_u32 v4, v4, 23, v61
	v_or3_b32 v3, v2, v4, v3
.LBB6_3752:                             ;   in Loop: Header=BB6_2967 Depth=2
	s_or_b64 exec, exec, s[58:59]
.LBB6_3753:                             ;   in Loop: Header=BB6_2967 Depth=2
	s_or_b64 exec, exec, s[56:57]
.LBB6_3754:                             ;   in Loop: Header=BB6_2967 Depth=2
	s_or_b64 exec, exec, s[20:21]
	v_max_f32_e32 v2, v3, v3
	v_max_f32_e32 v1, v1, v1
	v_min_f32_e32 v3, v1, v2
.LBB6_3755:                             ;   in Loop: Header=BB6_2967 Depth=2
	v_and_b32_sdwa v4, v3, s69 dst_sel:DWORD dst_unused:UNUSED_PAD src0_sel:BYTE_3 src1_sel:DWORD
	v_and_b32_e32 v6, 0x7f800000, v3
	v_mov_b32_e32 v7, v53
	v_and_b32_e32 v52, 0x7fffff, v3
	v_or_b32_e32 v1, 0x7e, v4
	v_cmp_ne_u64_e32 vcc, s[40:41], v[6:7]
	s_and_saveexec_b64 s[20:21], vcc
	s_xor_b64 s[56:57], exec, s[20:21]
	s_cbranch_execz .LBB6_3765
; %bb.3756:                             ;   in Loop: Header=BB6_2967 Depth=2
	v_and_b32_e32 v6, 0x7fffffff, v3
	v_mov_b32_e32 v7, v53
	v_cmp_gt_u64_e32 vcc, s[42:43], v[6:7]
	s_and_saveexec_b64 s[58:59], vcc
	s_cbranch_execz .LBB6_3764
; %bb.3757:                             ;   in Loop: Header=BB6_2967 Depth=2
	v_cmp_ne_u32_e32 vcc, 0, v3
	v_mov_b32_e32 v1, 0
	s_and_saveexec_b64 s[60:61], vcc
	s_cbranch_execz .LBB6_3763
; %bb.3758:                             ;   in Loop: Header=BB6_2967 Depth=2
	v_bfe_u32 v1, v3, 23, 8
	v_sub_u32_e32 v3, 0x79, v1
	v_cmp_gt_u32_e32 vcc, s73, v1
	v_cndmask_b32_e32 v3, 0, v3, vcc
	v_cmp_eq_u32_e32 vcc, 0, v1
	v_add_u32_e32 v2, 0xffffff81, v1
	v_or_b32_e32 v5, 0x800000, v52
	v_cndmask_b32_e32 v18, v3, v32, vcc
	v_cndmask_b32_e32 v1, v2, v33, vcc
	;; [unrolled: 1-line block ×3, first 2 shown]
	v_add_u32_e32 v2, 20, v18
	v_lshlrev_b64 v[2:3], v2, -1
	v_add_u32_e32 v5, 19, v18
	v_lshrrev_b64 v[8:9], v18, v[52:53]
	v_not_b32_e32 v3, v3
	v_not_b32_e32 v2, v2
	v_lshlrev_b64 v[6:7], v5, 1
	v_lshrrev_b32_e32 v5, 23, v8
	v_and_b32_e32 v3, 0, v3
	v_and_b32_e32 v2, v52, v2
	v_add3_u32 v18, v18, v1, v5
	v_bfe_u32 v1, v8, 20, 1
	v_add_u32_e32 v1, -1, v1
	v_cmp_eq_u64_e32 vcc, v[2:3], v[6:7]
	v_cndmask_b32_e32 v1, 0, v1, vcc
	v_add_u32_e32 v1, v1, v8
	v_and_b32_e32 v1, 0xfffff, v1
	v_add_co_u32_e32 v2, vcc, v1, v8
	v_add_u32_e32 v5, 6, v18
	v_addc_co_u32_e32 v3, vcc, 0, v9, vcc
	v_cmp_ne_u32_e32 vcc, 0, v5
                                        ; implicit-def: $vgpr1
	s_and_saveexec_b64 s[20:21], vcc
	s_xor_b64 s[20:21], exec, s[20:21]
; %bb.3759:                             ;   in Loop: Header=BB6_2967 Depth=2
	v_add_u32_e32 v1, 7, v18
	v_cmp_lt_u64_e32 vcc, s[46:47], v[2:3]
	v_cndmask_b32_e32 v1, v5, v1, vcc
	v_cndmask_b32_e64 v5, 0, 1, vcc
	v_lshrrev_b64 v[2:3], v5, v[2:3]
; %bb.3760:                             ;   in Loop: Header=BB6_2967 Depth=2
	s_andn2_saveexec_b64 s[20:21], s[20:21]
; %bb.3761:                             ;   in Loop: Header=BB6_2967 Depth=2
	v_bfe_u32 v1, v2, 23, 1
; %bb.3762:                             ;   in Loop: Header=BB6_2967 Depth=2
	s_or_b64 exec, exec, s[20:21]
	v_lshrrev_b64 v[2:3], 20, v[2:3]
	v_cmp_gt_i32_e32 vcc, 16, v1
	v_cndmask_b32_e32 v3, 0, v3, vcc
	v_cndmask_b32_e32 v2, 7, v2, vcc
	v_cmp_eq_u32_e32 vcc, 0, v1
	v_min_i32_e32 v1, 15, v1
	v_cmp_eq_u64_e64 s[20:21], 0, v[2:3]
	v_lshlrev_b32_e32 v1, 3, v1
	v_and_or_b32 v1, v2, 7, v1
	s_and_b64 s[20:21], vcc, s[20:21]
	v_cndmask_b32_e64 v1, v1, 0, s[20:21]
	v_or_b32_e32 v1, v1, v4
.LBB6_3763:                             ;   in Loop: Header=BB6_2967 Depth=2
	s_or_b64 exec, exec, s[60:61]
.LBB6_3764:                             ;   in Loop: Header=BB6_2967 Depth=2
	s_or_b64 exec, exec, s[58:59]
                                        ; implicit-def: $vgpr3
.LBB6_3765:                             ;   in Loop: Header=BB6_2967 Depth=2
	s_andn2_saveexec_b64 s[20:21], s[56:57]
; %bb.3766:                             ;   in Loop: Header=BB6_2967 Depth=2
	v_or_b32_sdwa v2, v3, s71 dst_sel:DWORD dst_unused:UNUSED_PAD src0_sel:BYTE_3 src1_sel:DWORD
	v_cmp_eq_u64_e32 vcc, 0, v[52:53]
	v_cndmask_b32_e32 v1, v2, v1, vcc
; %bb.3767:                             ;   in Loop: Header=BB6_2967 Depth=2
	s_or_b64 exec, exec, s[20:21]
	v_mov_b32_e32 v52, v15
	v_mov_b32_e32 v2, v11
	;; [unrolled: 1-line block ×3, first 2 shown]
	s_and_b64 vcc, exec, s[18:19]
	v_cmp_ne_u16_sdwa s[20:21], v15, v53 src0_sel:BYTE_0 src1_sel:DWORD
	s_cbranch_vccnz .LBB6_3781
; %bb.3768:                             ;   in Loop: Header=BB6_2967 Depth=2
	v_mov_b32_e32 v5, 0
	v_mov_b32_e32 v4, 0
	s_and_saveexec_b64 s[56:57], s[20:21]
	s_cbranch_execz .LBB6_3774
; %bb.3769:                             ;   in Loop: Header=BB6_2967 Depth=2
	v_cmp_ne_u16_sdwa vcc, v15, s69 src0_sel:BYTE_0 src1_sel:DWORD
	v_bfrev_b32_e32 v4, 1
	s_and_saveexec_b64 s[58:59], vcc
	s_cbranch_execz .LBB6_3773
; %bb.3770:                             ;   in Loop: Header=BB6_2967 Depth=2
	v_and_b32_e32 v18, 0x7f, v15
	v_cmp_ne_u32_e32 vcc, s71, v18
	v_mov_b32_e32 v4, 0x7f800001
	s_and_saveexec_b64 s[60:61], vcc
	s_cbranch_execz .LBB6_3772
; %bb.3771:                             ;   in Loop: Header=BB6_2967 Depth=2
	v_and_b32_e32 v4, 7, v15
	v_ffbh_u32_e32 v4, v4
	v_min_u32_e32 v4, 32, v4
	v_lshrrev_b32_e32 v6, 3, v18
	v_subrev_u32_e32 v7, 28, v4
	v_sub_u32_e32 v4, 29, v4
	v_cmp_gt_u32_e32 vcc, 8, v18
	v_cndmask_b32_e32 v4, v6, v4, vcc
	v_cndmask_b32_e32 v6, 0, v7, vcc
	v_lshlrev_b64 v[6:7], v6, v[52:53]
	v_lshlrev_b32_e32 v6, 20, v6
	v_lshlrev_b32_e32 v7, 24, v52
	v_and_b32_e32 v6, 0x700000, v6
	v_and_b32_e32 v7, 0x80000000, v7
	v_lshl_add_u32 v4, v4, 23, v61
	v_or3_b32 v4, v7, v4, v6
.LBB6_3772:                             ;   in Loop: Header=BB6_2967 Depth=2
	s_or_b64 exec, exec, s[60:61]
.LBB6_3773:                             ;   in Loop: Header=BB6_2967 Depth=2
	s_or_b64 exec, exec, s[58:59]
.LBB6_3774:                             ;   in Loop: Header=BB6_2967 Depth=2
	s_or_b64 exec, exec, s[56:57]
	v_cmp_ne_u16_sdwa vcc, v11, v53 src0_sel:BYTE_0 src1_sel:DWORD
	s_and_saveexec_b64 s[56:57], vcc
	s_cbranch_execz .LBB6_3780
; %bb.3775:                             ;   in Loop: Header=BB6_2967 Depth=2
	v_cmp_ne_u16_sdwa vcc, v11, s69 src0_sel:BYTE_0 src1_sel:DWORD
	v_bfrev_b32_e32 v5, 1
	s_and_saveexec_b64 s[58:59], vcc
	s_cbranch_execz .LBB6_3779
; %bb.3776:                             ;   in Loop: Header=BB6_2967 Depth=2
	v_and_b32_e32 v18, 0x7f, v11
	v_cmp_ne_u32_e32 vcc, s71, v18
	v_mov_b32_e32 v5, 0x7f800001
	s_and_saveexec_b64 s[60:61], vcc
	s_cbranch_execz .LBB6_3778
; %bb.3777:                             ;   in Loop: Header=BB6_2967 Depth=2
	v_and_b32_e32 v5, 7, v11
	v_ffbh_u32_e32 v5, v5
	v_min_u32_e32 v5, 32, v5
	v_lshrrev_b32_e32 v6, 3, v18
	v_subrev_u32_e32 v7, 28, v5
	v_sub_u32_e32 v5, 29, v5
	v_cmp_gt_u32_e32 vcc, 8, v18
	v_cndmask_b32_e32 v5, v6, v5, vcc
	v_cndmask_b32_e32 v6, 0, v7, vcc
	v_lshlrev_b64 v[6:7], v6, v[2:3]
	v_lshlrev_b32_e32 v6, 20, v6
	v_lshlrev_b32_e32 v7, 24, v2
	v_and_b32_e32 v6, 0x700000, v6
	v_and_b32_e32 v7, 0x80000000, v7
	v_lshl_add_u32 v5, v5, 23, v61
	v_or3_b32 v5, v7, v5, v6
.LBB6_3778:                             ;   in Loop: Header=BB6_2967 Depth=2
	s_or_b64 exec, exec, s[60:61]
.LBB6_3779:                             ;   in Loop: Header=BB6_2967 Depth=2
	s_or_b64 exec, exec, s[58:59]
.LBB6_3780:                             ;   in Loop: Header=BB6_2967 Depth=2
	s_or_b64 exec, exec, s[56:57]
	v_max_f32_e32 v5, v5, v5
	v_max_f32_e32 v4, v4, v4
	;; [unrolled: 1-line block ×3, first 2 shown]
	s_branch .LBB6_3795
.LBB6_3781:                             ;   in Loop: Header=BB6_2967 Depth=2
                                        ; implicit-def: $vgpr4
	s_cbranch_execz .LBB6_3795
; %bb.3782:                             ;   in Loop: Header=BB6_2967 Depth=2
	v_mov_b32_e32 v5, 0
	v_mov_b32_e32 v4, 0
	s_and_saveexec_b64 s[56:57], s[20:21]
	s_cbranch_execz .LBB6_3788
; %bb.3783:                             ;   in Loop: Header=BB6_2967 Depth=2
	v_cmp_ne_u16_sdwa vcc, v15, s69 src0_sel:BYTE_0 src1_sel:DWORD
	v_bfrev_b32_e32 v4, 1
	s_and_saveexec_b64 s[20:21], vcc
	s_cbranch_execz .LBB6_3787
; %bb.3784:                             ;   in Loop: Header=BB6_2967 Depth=2
	v_and_b32_e32 v18, 0x7f, v15
	v_cmp_ne_u32_e32 vcc, s71, v18
	v_mov_b32_e32 v4, 0x7f800001
	s_and_saveexec_b64 s[58:59], vcc
	s_cbranch_execz .LBB6_3786
; %bb.3785:                             ;   in Loop: Header=BB6_2967 Depth=2
	v_and_b32_e32 v4, 7, v15
	v_ffbh_u32_e32 v4, v4
	v_min_u32_e32 v4, 32, v4
	v_lshrrev_b32_e32 v6, 3, v18
	v_subrev_u32_e32 v7, 28, v4
	v_sub_u32_e32 v4, 29, v4
	v_cmp_gt_u32_e32 vcc, 8, v18
	v_cndmask_b32_e32 v4, v6, v4, vcc
	v_cndmask_b32_e32 v6, 0, v7, vcc
	v_lshlrev_b64 v[6:7], v6, v[52:53]
	v_lshlrev_b32_e32 v6, 20, v6
	v_lshlrev_b32_e32 v7, 24, v52
	v_and_b32_e32 v6, 0x700000, v6
	v_and_b32_e32 v7, 0x80000000, v7
	v_lshl_add_u32 v4, v4, 23, v61
	v_or3_b32 v4, v7, v4, v6
.LBB6_3786:                             ;   in Loop: Header=BB6_2967 Depth=2
	s_or_b64 exec, exec, s[58:59]
.LBB6_3787:                             ;   in Loop: Header=BB6_2967 Depth=2
	s_or_b64 exec, exec, s[20:21]
.LBB6_3788:                             ;   in Loop: Header=BB6_2967 Depth=2
	s_or_b64 exec, exec, s[56:57]
	v_cmp_ne_u16_sdwa vcc, v11, v53 src0_sel:BYTE_0 src1_sel:DWORD
	s_and_saveexec_b64 s[20:21], vcc
	s_cbranch_execz .LBB6_3794
; %bb.3789:                             ;   in Loop: Header=BB6_2967 Depth=2
	v_cmp_ne_u16_sdwa vcc, v11, s69 src0_sel:BYTE_0 src1_sel:DWORD
	v_bfrev_b32_e32 v5, 1
	s_and_saveexec_b64 s[56:57], vcc
	s_cbranch_execz .LBB6_3793
; %bb.3790:                             ;   in Loop: Header=BB6_2967 Depth=2
	v_and_b32_e32 v18, 0x7f, v11
	v_cmp_ne_u32_e32 vcc, s71, v18
	v_mov_b32_e32 v5, 0x7f800001
	s_and_saveexec_b64 s[58:59], vcc
	s_cbranch_execz .LBB6_3792
; %bb.3791:                             ;   in Loop: Header=BB6_2967 Depth=2
	v_and_b32_e32 v5, 7, v11
	v_ffbh_u32_e32 v5, v5
	v_min_u32_e32 v5, 32, v5
	v_lshrrev_b32_e32 v6, 3, v18
	v_subrev_u32_e32 v7, 28, v5
	v_sub_u32_e32 v5, 29, v5
	v_cmp_gt_u32_e32 vcc, 8, v18
	v_cndmask_b32_e32 v5, v6, v5, vcc
	v_cndmask_b32_e32 v6, 0, v7, vcc
	v_lshlrev_b64 v[6:7], v6, v[2:3]
	v_lshlrev_b32_e32 v3, 20, v6
	v_lshlrev_b32_e32 v6, 24, v2
	v_and_b32_e32 v3, 0x700000, v3
	v_and_b32_e32 v6, 0x80000000, v6
	v_lshl_add_u32 v5, v5, 23, v61
	v_or3_b32 v5, v6, v5, v3
.LBB6_3792:                             ;   in Loop: Header=BB6_2967 Depth=2
	s_or_b64 exec, exec, s[58:59]
.LBB6_3793:                             ;   in Loop: Header=BB6_2967 Depth=2
	s_or_b64 exec, exec, s[56:57]
.LBB6_3794:                             ;   in Loop: Header=BB6_2967 Depth=2
	s_or_b64 exec, exec, s[20:21]
	v_max_f32_e32 v3, v5, v5
	v_max_f32_e32 v4, v4, v4
	v_min_f32_e32 v4, v4, v3
.LBB6_3795:                             ;   in Loop: Header=BB6_2967 Depth=2
	v_and_b32_sdwa v3, v4, s69 dst_sel:DWORD dst_unused:UNUSED_PAD src0_sel:BYTE_3 src1_sel:DWORD
	v_and_b32_e32 v6, 0x7f800000, v4
	v_mov_b32_e32 v7, v53
	v_and_b32_e32 v18, 0x7fffff, v4
	v_mov_b32_e32 v19, v53
	v_or_b32_e32 v51, 0x7e, v3
	v_cmp_ne_u64_e32 vcc, s[40:41], v[6:7]
	s_and_saveexec_b64 s[20:21], vcc
	s_xor_b64 s[56:57], exec, s[20:21]
	s_cbranch_execz .LBB6_3805
; %bb.3796:                             ;   in Loop: Header=BB6_2967 Depth=2
	v_and_b32_e32 v6, 0x7fffffff, v4
	v_mov_b32_e32 v7, v53
	v_cmp_gt_u64_e32 vcc, s[42:43], v[6:7]
	s_and_saveexec_b64 s[58:59], vcc
	s_cbranch_execz .LBB6_3804
; %bb.3797:                             ;   in Loop: Header=BB6_2967 Depth=2
	v_cmp_ne_u32_e32 vcc, 0, v4
	v_mov_b32_e32 v51, 0
	s_and_saveexec_b64 s[60:61], vcc
	s_cbranch_execz .LBB6_3803
; %bb.3798:                             ;   in Loop: Header=BB6_2967 Depth=2
	v_bfe_u32 v4, v4, 23, 8
	v_sub_u32_e32 v6, 0x79, v4
	v_cmp_gt_u32_e32 vcc, s73, v4
	v_add_u32_e32 v5, 0xffffff81, v4
	v_cndmask_b32_e32 v6, 0, v6, vcc
	v_cmp_eq_u32_e32 vcc, 0, v4
	v_mov_b32_e32 v4, 0x78
	v_cndmask_b32_e32 v32, v6, v4, vcc
	v_add_u32_e32 v4, 20, v32
	v_or_b32_e32 v7, 0x800000, v18
	v_cndmask_b32_e32 v20, v5, v33, vcc
	v_lshlrev_b64 v[4:5], v4, -1
	v_cndmask_b32_e32 v18, v7, v18, vcc
	v_not_b32_e32 v4, v4
	v_and_b32_e32 v6, v18, v4
	v_add_u32_e32 v4, 19, v32
	v_lshrrev_b64 v[18:19], v32, v[18:19]
	v_not_b32_e32 v5, v5
	v_lshlrev_b64 v[8:9], v4, 1
	v_lshrrev_b32_e32 v4, 23, v18
	v_and_b32_e32 v7, 0, v5
	v_add3_u32 v20, v32, v20, v4
	v_bfe_u32 v4, v18, 20, 1
	v_add_u32_e32 v4, -1, v4
	v_cmp_eq_u64_e32 vcc, v[6:7], v[8:9]
	v_cndmask_b32_e32 v4, 0, v4, vcc
	v_add_u32_e32 v4, v4, v18
	v_and_b32_e32 v4, 0xfffff, v4
	v_add_co_u32_e32 v18, vcc, v4, v18
	v_add_u32_e32 v5, 6, v20
	v_addc_co_u32_e32 v19, vcc, 0, v19, vcc
	v_cmp_ne_u32_e32 vcc, 0, v5
                                        ; implicit-def: $vgpr4
	s_and_saveexec_b64 s[20:21], vcc
	s_xor_b64 s[20:21], exec, s[20:21]
; %bb.3799:                             ;   in Loop: Header=BB6_2967 Depth=2
	v_add_u32_e32 v4, 7, v20
	v_cmp_lt_u64_e32 vcc, s[46:47], v[18:19]
	v_cndmask_b32_e32 v4, v5, v4, vcc
	v_cndmask_b32_e64 v5, 0, 1, vcc
	v_lshrrev_b64 v[18:19], v5, v[18:19]
; %bb.3800:                             ;   in Loop: Header=BB6_2967 Depth=2
	s_andn2_saveexec_b64 s[20:21], s[20:21]
; %bb.3801:                             ;   in Loop: Header=BB6_2967 Depth=2
	v_bfe_u32 v4, v18, 23, 1
; %bb.3802:                             ;   in Loop: Header=BB6_2967 Depth=2
	s_or_b64 exec, exec, s[20:21]
	v_lshrrev_b64 v[6:7], 20, v[18:19]
	v_cmp_gt_i32_e32 vcc, 16, v4
	v_cndmask_b32_e32 v7, 0, v7, vcc
	v_cndmask_b32_e32 v6, 7, v6, vcc
	v_cmp_eq_u32_e32 vcc, 0, v4
	v_min_i32_e32 v4, 15, v4
	v_cmp_eq_u64_e64 s[20:21], 0, v[6:7]
	v_lshlrev_b32_e32 v4, 3, v4
	v_and_or_b32 v4, v6, 7, v4
	s_and_b64 s[20:21], vcc, s[20:21]
	v_cndmask_b32_e64 v4, v4, 0, s[20:21]
	v_or_b32_e32 v51, v4, v3
	v_mov_b32_e32 v32, 0x78
.LBB6_3803:                             ;   in Loop: Header=BB6_2967 Depth=2
	s_or_b64 exec, exec, s[60:61]
.LBB6_3804:                             ;   in Loop: Header=BB6_2967 Depth=2
	s_or_b64 exec, exec, s[58:59]
                                        ; implicit-def: $vgpr4
                                        ; implicit-def: $vgpr18_vgpr19
.LBB6_3805:                             ;   in Loop: Header=BB6_2967 Depth=2
	s_andn2_saveexec_b64 s[20:21], s[56:57]
; %bb.3806:                             ;   in Loop: Header=BB6_2967 Depth=2
	v_or_b32_sdwa v3, v4, s71 dst_sel:DWORD dst_unused:UNUSED_PAD src0_sel:BYTE_3 src1_sel:DWORD
	v_cmp_eq_u64_e32 vcc, 0, v[18:19]
	v_cndmask_b32_e32 v51, v3, v51, vcc
; %bb.3807:                             ;   in Loop: Header=BB6_2967 Depth=2
	s_or_b64 exec, exec, s[20:21]
	v_lshrrev_b16_e32 v20, 8, v52
	v_lshrrev_b16_e32 v18, 8, v2
	s_and_b64 vcc, exec, s[18:19]
	v_cmp_ne_u16_e64 s[20:21], 0, v20
	s_cbranch_vccnz .LBB6_3821
; %bb.3808:                             ;   in Loop: Header=BB6_2967 Depth=2
	v_mov_b32_e32 v4, 0
	v_mov_b32_e32 v3, 0
	s_and_saveexec_b64 s[56:57], s[20:21]
	s_cbranch_execz .LBB6_3814
; %bb.3809:                             ;   in Loop: Header=BB6_2967 Depth=2
	v_cmp_ne_u16_e32 vcc, s69, v20
	v_bfrev_b32_e32 v3, 1
	s_and_saveexec_b64 s[58:59], vcc
	s_cbranch_execz .LBB6_3813
; %bb.3810:                             ;   in Loop: Header=BB6_2967 Depth=2
	v_and_b32_e32 v5, 0x7f, v20
	v_cmp_ne_u32_e32 vcc, s71, v5
	v_mov_b32_e32 v3, 0x7f800001
	s_and_saveexec_b64 s[60:61], vcc
	s_cbranch_execz .LBB6_3812
; %bb.3811:                             ;   in Loop: Header=BB6_2967 Depth=2
	v_and_b32_e32 v3, 7, v20
	v_ffbh_u32_e32 v6, v3
	v_min_u32_e32 v9, 32, v6
	v_subrev_u32_e32 v6, 28, v9
	v_lshlrev_b64 v[6:7], v6, v[20:21]
	v_lshrrev_b32_e32 v8, 3, v5
	v_sub_u32_e32 v7, 29, v9
	v_and_b32_e32 v6, 7, v6
	v_cmp_gt_u32_e32 vcc, 8, v5
	v_cndmask_b32_e32 v5, v8, v7, vcc
	v_cndmask_b32_e32 v3, v3, v6, vcc
	v_lshlrev_b32_e32 v6, 16, v52
	v_lshlrev_b32_e32 v3, 20, v3
	v_and_b32_e32 v6, 0x80000000, v6
	v_lshl_add_u32 v5, v5, 23, v61
	v_or3_b32 v3, v6, v5, v3
.LBB6_3812:                             ;   in Loop: Header=BB6_2967 Depth=2
	s_or_b64 exec, exec, s[60:61]
.LBB6_3813:                             ;   in Loop: Header=BB6_2967 Depth=2
	s_or_b64 exec, exec, s[58:59]
.LBB6_3814:                             ;   in Loop: Header=BB6_2967 Depth=2
	s_or_b64 exec, exec, s[56:57]
	v_cmp_ne_u16_e32 vcc, 0, v18
	s_and_saveexec_b64 s[56:57], vcc
	s_cbranch_execz .LBB6_3820
; %bb.3815:                             ;   in Loop: Header=BB6_2967 Depth=2
	v_cmp_ne_u16_e32 vcc, s69, v18
	v_bfrev_b32_e32 v4, 1
	s_and_saveexec_b64 s[58:59], vcc
	s_cbranch_execz .LBB6_3819
; %bb.3816:                             ;   in Loop: Header=BB6_2967 Depth=2
	v_and_b32_e32 v5, 0x7f, v18
	v_cmp_ne_u32_e32 vcc, s71, v5
	v_mov_b32_e32 v4, 0x7f800001
	s_and_saveexec_b64 s[60:61], vcc
	s_cbranch_execz .LBB6_3818
; %bb.3817:                             ;   in Loop: Header=BB6_2967 Depth=2
	v_and_b32_e32 v4, 7, v18
	v_ffbh_u32_e32 v6, v4
	v_min_u32_e32 v9, 32, v6
	v_subrev_u32_e32 v6, 28, v9
	v_lshlrev_b64 v[6:7], v6, v[18:19]
	v_lshrrev_b32_e32 v8, 3, v5
	v_sub_u32_e32 v7, 29, v9
	v_and_b32_e32 v6, 7, v6
	v_cmp_gt_u32_e32 vcc, 8, v5
	v_cndmask_b32_e32 v5, v8, v7, vcc
	v_cndmask_b32_e32 v4, v4, v6, vcc
	v_lshlrev_b32_e32 v6, 16, v2
	v_lshlrev_b32_e32 v4, 20, v4
	v_and_b32_e32 v6, 0x80000000, v6
	v_lshl_add_u32 v5, v5, 23, v61
	v_or3_b32 v4, v6, v5, v4
.LBB6_3818:                             ;   in Loop: Header=BB6_2967 Depth=2
	s_or_b64 exec, exec, s[60:61]
.LBB6_3819:                             ;   in Loop: Header=BB6_2967 Depth=2
	s_or_b64 exec, exec, s[58:59]
.LBB6_3820:                             ;   in Loop: Header=BB6_2967 Depth=2
	s_or_b64 exec, exec, s[56:57]
	v_max_f32_e32 v4, v4, v4
	v_max_f32_e32 v3, v3, v3
	;; [unrolled: 1-line block ×3, first 2 shown]
	s_branch .LBB6_3835
.LBB6_3821:                             ;   in Loop: Header=BB6_2967 Depth=2
                                        ; implicit-def: $vgpr3
	s_cbranch_execz .LBB6_3835
; %bb.3822:                             ;   in Loop: Header=BB6_2967 Depth=2
	v_mov_b32_e32 v4, 0
	v_mov_b32_e32 v3, 0
	s_and_saveexec_b64 s[56:57], s[20:21]
	s_cbranch_execz .LBB6_3828
; %bb.3823:                             ;   in Loop: Header=BB6_2967 Depth=2
	v_cmp_ne_u16_e32 vcc, s69, v20
	v_bfrev_b32_e32 v3, 1
	s_and_saveexec_b64 s[20:21], vcc
	s_cbranch_execz .LBB6_3827
; %bb.3824:                             ;   in Loop: Header=BB6_2967 Depth=2
	v_and_b32_e32 v5, 0x7f, v20
	v_cmp_ne_u32_e32 vcc, s71, v5
	v_mov_b32_e32 v3, 0x7f800001
	s_and_saveexec_b64 s[58:59], vcc
	s_cbranch_execz .LBB6_3826
; %bb.3825:                             ;   in Loop: Header=BB6_2967 Depth=2
	v_and_b32_e32 v3, 7, v20
	v_ffbh_u32_e32 v6, v3
	v_min_u32_e32 v9, 32, v6
	v_subrev_u32_e32 v6, 28, v9
	v_lshlrev_b64 v[6:7], v6, v[20:21]
	v_lshrrev_b32_e32 v8, 3, v5
	v_sub_u32_e32 v7, 29, v9
	v_and_b32_e32 v6, 7, v6
	v_cmp_gt_u32_e32 vcc, 8, v5
	v_cndmask_b32_e32 v5, v8, v7, vcc
	v_cndmask_b32_e32 v3, v3, v6, vcc
	v_lshlrev_b32_e32 v6, 16, v52
	v_lshlrev_b32_e32 v3, 20, v3
	v_and_b32_e32 v6, 0x80000000, v6
	v_lshl_add_u32 v5, v5, 23, v61
	v_or3_b32 v3, v6, v5, v3
.LBB6_3826:                             ;   in Loop: Header=BB6_2967 Depth=2
	s_or_b64 exec, exec, s[58:59]
.LBB6_3827:                             ;   in Loop: Header=BB6_2967 Depth=2
	s_or_b64 exec, exec, s[20:21]
.LBB6_3828:                             ;   in Loop: Header=BB6_2967 Depth=2
	s_or_b64 exec, exec, s[56:57]
	v_cmp_ne_u16_e32 vcc, 0, v18
	s_and_saveexec_b64 s[20:21], vcc
	s_cbranch_execz .LBB6_3834
; %bb.3829:                             ;   in Loop: Header=BB6_2967 Depth=2
	v_cmp_ne_u16_e32 vcc, s69, v18
	v_bfrev_b32_e32 v4, 1
	s_and_saveexec_b64 s[56:57], vcc
	s_cbranch_execz .LBB6_3833
; %bb.3830:                             ;   in Loop: Header=BB6_2967 Depth=2
	v_and_b32_e32 v5, 0x7f, v18
	v_cmp_ne_u32_e32 vcc, s71, v5
	v_mov_b32_e32 v4, 0x7f800001
	s_and_saveexec_b64 s[58:59], vcc
	s_cbranch_execz .LBB6_3832
; %bb.3831:                             ;   in Loop: Header=BB6_2967 Depth=2
	v_and_b32_e32 v4, 7, v18
	v_ffbh_u32_e32 v6, v4
	v_min_u32_e32 v9, 32, v6
	v_subrev_u32_e32 v6, 28, v9
	v_lshlrev_b64 v[6:7], v6, v[18:19]
	v_lshrrev_b32_e32 v8, 3, v5
	v_sub_u32_e32 v7, 29, v9
	v_and_b32_e32 v6, 7, v6
	v_cmp_gt_u32_e32 vcc, 8, v5
	v_cndmask_b32_e32 v5, v8, v7, vcc
	v_cndmask_b32_e32 v4, v4, v6, vcc
	v_lshlrev_b32_e32 v2, 16, v2
	v_lshlrev_b32_e32 v4, 20, v4
	v_and_b32_e32 v2, 0x80000000, v2
	v_lshl_add_u32 v5, v5, 23, v61
	v_or3_b32 v4, v2, v5, v4
.LBB6_3832:                             ;   in Loop: Header=BB6_2967 Depth=2
	s_or_b64 exec, exec, s[58:59]
.LBB6_3833:                             ;   in Loop: Header=BB6_2967 Depth=2
	s_or_b64 exec, exec, s[56:57]
.LBB6_3834:                             ;   in Loop: Header=BB6_2967 Depth=2
	s_or_b64 exec, exec, s[20:21]
	v_max_f32_e32 v2, v4, v4
	v_max_f32_e32 v3, v3, v3
	v_min_f32_e32 v3, v3, v2
.LBB6_3835:                             ;   in Loop: Header=BB6_2967 Depth=2
	v_and_b32_sdwa v4, v3, s69 dst_sel:DWORD dst_unused:UNUSED_PAD src0_sel:BYTE_3 src1_sel:DWORD
	v_and_b32_e32 v6, 0x7f800000, v3
	v_mov_b32_e32 v7, v53
	v_and_b32_e32 v52, 0x7fffff, v3
	v_or_b32_e32 v19, 0x7e, v4
	v_cmp_ne_u64_e32 vcc, s[40:41], v[6:7]
	s_and_saveexec_b64 s[20:21], vcc
	s_xor_b64 s[56:57], exec, s[20:21]
	s_cbranch_execz .LBB6_3845
; %bb.3836:                             ;   in Loop: Header=BB6_2967 Depth=2
	v_and_b32_e32 v6, 0x7fffffff, v3
	v_mov_b32_e32 v7, v53
	v_cmp_gt_u64_e32 vcc, s[42:43], v[6:7]
	s_and_saveexec_b64 s[58:59], vcc
	s_cbranch_execz .LBB6_3844
; %bb.3837:                             ;   in Loop: Header=BB6_2967 Depth=2
	v_cmp_ne_u32_e32 vcc, 0, v3
	v_mov_b32_e32 v19, 0
	s_and_saveexec_b64 s[60:61], vcc
	s_cbranch_execz .LBB6_3843
; %bb.3838:                             ;   in Loop: Header=BB6_2967 Depth=2
	v_bfe_u32 v2, v3, 23, 8
	v_sub_u32_e32 v5, 0x79, v2
	v_cmp_gt_u32_e32 vcc, s73, v2
	v_cndmask_b32_e32 v5, 0, v5, vcc
	v_cmp_eq_u32_e32 vcc, 0, v2
	v_or_b32_e32 v6, 0x800000, v52
	v_cndmask_b32_e32 v5, v5, v32, vcc
	v_add_u32_e32 v3, 0xffffff81, v2
	v_cndmask_b32_e32 v52, v6, v52, vcc
	v_add_u32_e32 v2, 20, v5
	v_cndmask_b32_e32 v18, v3, v33, vcc
	v_lshlrev_b64 v[2:3], v2, -1
	v_lshrrev_b64 v[8:9], v5, v[52:53]
	v_not_b32_e32 v3, v3
	v_not_b32_e32 v2, v2
	v_add_u32_e32 v6, 19, v5
	v_lshrrev_b32_e32 v19, 23, v8
	v_and_b32_e32 v3, 0, v3
	v_and_b32_e32 v2, v52, v2
	v_lshlrev_b64 v[6:7], v6, 1
	v_add3_u32 v19, v5, v18, v19
	v_bfe_u32 v5, v8, 20, 1
	v_add_u32_e32 v5, -1, v5
	v_cmp_eq_u64_e32 vcc, v[2:3], v[6:7]
	v_cndmask_b32_e32 v2, 0, v5, vcc
	v_add_u32_e32 v2, v2, v8
	v_and_b32_e32 v2, 0xfffff, v2
	v_add_co_u32_e32 v2, vcc, v2, v8
	v_add_u32_e32 v18, 6, v19
	v_addc_co_u32_e32 v3, vcc, 0, v9, vcc
	v_cmp_ne_u32_e32 vcc, 0, v18
                                        ; implicit-def: $vgpr5
	s_and_saveexec_b64 s[20:21], vcc
	s_xor_b64 s[20:21], exec, s[20:21]
; %bb.3839:                             ;   in Loop: Header=BB6_2967 Depth=2
	v_cmp_lt_u64_e32 vcc, s[46:47], v[2:3]
	v_add_u32_e32 v5, 7, v19
	v_cndmask_b32_e64 v6, 0, 1, vcc
	v_cndmask_b32_e32 v5, v18, v5, vcc
	v_lshrrev_b64 v[2:3], v6, v[2:3]
; %bb.3840:                             ;   in Loop: Header=BB6_2967 Depth=2
	s_andn2_saveexec_b64 s[20:21], s[20:21]
; %bb.3841:                             ;   in Loop: Header=BB6_2967 Depth=2
	v_bfe_u32 v5, v2, 23, 1
; %bb.3842:                             ;   in Loop: Header=BB6_2967 Depth=2
	s_or_b64 exec, exec, s[20:21]
	v_lshrrev_b64 v[2:3], 20, v[2:3]
	v_cmp_gt_i32_e32 vcc, 16, v5
	v_cndmask_b32_e32 v3, 0, v3, vcc
	v_cndmask_b32_e32 v2, 7, v2, vcc
	v_cmp_eq_u64_e64 s[20:21], 0, v[2:3]
	v_min_i32_e32 v3, 15, v5
	v_cmp_eq_u32_e32 vcc, 0, v5
	v_lshlrev_b32_e32 v3, 3, v3
	v_and_or_b32 v2, v2, 7, v3
	s_and_b64 s[20:21], vcc, s[20:21]
	v_cndmask_b32_e64 v2, v2, 0, s[20:21]
	v_or_b32_e32 v19, v2, v4
.LBB6_3843:                             ;   in Loop: Header=BB6_2967 Depth=2
	s_or_b64 exec, exec, s[60:61]
.LBB6_3844:                             ;   in Loop: Header=BB6_2967 Depth=2
	s_or_b64 exec, exec, s[58:59]
                                        ; implicit-def: $vgpr3
.LBB6_3845:                             ;   in Loop: Header=BB6_2967 Depth=2
	s_andn2_saveexec_b64 s[20:21], s[56:57]
; %bb.3846:                             ;   in Loop: Header=BB6_2967 Depth=2
	v_or_b32_sdwa v2, v3, s71 dst_sel:DWORD dst_unused:UNUSED_PAD src0_sel:BYTE_3 src1_sel:DWORD
	v_cmp_eq_u64_e32 vcc, 0, v[52:53]
	v_cndmask_b32_e32 v19, v2, v19, vcc
; %bb.3847:                             ;   in Loop: Header=BB6_2967 Depth=2
	s_or_b64 exec, exec, s[20:21]
	v_lshrrev_b32_e32 v18, 16, v15
	v_lshrrev_b32_e32 v2, 16, v11
	s_and_b64 vcc, exec, s[18:19]
	v_cmp_ne_u16_sdwa s[20:21], v18, v53 src0_sel:BYTE_0 src1_sel:DWORD
	s_cbranch_vccnz .LBB6_3861
; %bb.3848:                             ;   in Loop: Header=BB6_2967 Depth=2
	v_mov_b32_e32 v4, 0
	v_mov_b32_e32 v3, 0
	s_and_saveexec_b64 s[56:57], s[20:21]
	s_cbranch_execz .LBB6_3854
; %bb.3849:                             ;   in Loop: Header=BB6_2967 Depth=2
	v_cmp_ne_u16_sdwa vcc, v18, s69 src0_sel:BYTE_0 src1_sel:DWORD
	v_bfrev_b32_e32 v3, 1
	s_and_saveexec_b64 s[58:59], vcc
	s_cbranch_execz .LBB6_3853
; %bb.3850:                             ;   in Loop: Header=BB6_2967 Depth=2
	v_bfe_u32 v5, v15, 16, 7
	v_cmp_ne_u32_e32 vcc, s71, v5
	v_mov_b32_e32 v3, 0x7f800001
	s_and_saveexec_b64 s[60:61], vcc
	s_cbranch_execz .LBB6_3852
; %bb.3851:                             ;   in Loop: Header=BB6_2967 Depth=2
	v_and_b32_e32 v3, 7, v18
	v_ffbh_u32_e32 v6, v3
	v_min_u32_e32 v9, 32, v6
	v_subrev_u32_e32 v6, 28, v9
	v_lshlrev_b64 v[6:7], v6, v[18:19]
	v_lshrrev_b32_e32 v8, 3, v5
	v_sub_u32_e32 v7, 29, v9
	v_and_b32_e32 v6, 7, v6
	v_cmp_gt_u32_e32 vcc, 8, v5
	v_cndmask_b32_e32 v5, v8, v7, vcc
	v_cndmask_b32_e32 v3, v3, v6, vcc
	v_lshlrev_b32_e32 v6, 24, v18
	v_lshlrev_b32_e32 v3, 20, v3
	v_and_b32_e32 v6, 0x80000000, v6
	v_lshl_add_u32 v5, v5, 23, v61
	v_or3_b32 v3, v6, v5, v3
.LBB6_3852:                             ;   in Loop: Header=BB6_2967 Depth=2
	s_or_b64 exec, exec, s[60:61]
.LBB6_3853:                             ;   in Loop: Header=BB6_2967 Depth=2
	s_or_b64 exec, exec, s[58:59]
.LBB6_3854:                             ;   in Loop: Header=BB6_2967 Depth=2
	s_or_b64 exec, exec, s[56:57]
	v_cmp_ne_u16_sdwa vcc, v2, v53 src0_sel:BYTE_0 src1_sel:DWORD
	s_and_saveexec_b64 s[56:57], vcc
	s_cbranch_execz .LBB6_3860
; %bb.3855:                             ;   in Loop: Header=BB6_2967 Depth=2
	v_cmp_ne_u16_sdwa vcc, v2, s69 src0_sel:BYTE_0 src1_sel:DWORD
	v_bfrev_b32_e32 v4, 1
	s_and_saveexec_b64 s[58:59], vcc
	s_cbranch_execz .LBB6_3859
; %bb.3856:                             ;   in Loop: Header=BB6_2967 Depth=2
	v_bfe_u32 v5, v11, 16, 7
	v_cmp_ne_u32_e32 vcc, s71, v5
	v_mov_b32_e32 v4, 0x7f800001
	s_and_saveexec_b64 s[60:61], vcc
	s_cbranch_execz .LBB6_3858
; %bb.3857:                             ;   in Loop: Header=BB6_2967 Depth=2
	v_and_b32_e32 v4, 7, v2
	v_ffbh_u32_e32 v6, v4
	v_min_u32_e32 v9, 32, v6
	v_subrev_u32_e32 v6, 28, v9
	v_lshlrev_b64 v[6:7], v6, v[2:3]
	v_lshrrev_b32_e32 v8, 3, v5
	v_sub_u32_e32 v7, 29, v9
	v_and_b32_e32 v6, 7, v6
	v_cmp_gt_u32_e32 vcc, 8, v5
	v_cndmask_b32_e32 v5, v8, v7, vcc
	v_cndmask_b32_e32 v4, v4, v6, vcc
	v_lshlrev_b32_e32 v6, 24, v2
	v_lshlrev_b32_e32 v4, 20, v4
	v_and_b32_e32 v6, 0x80000000, v6
	v_lshl_add_u32 v5, v5, 23, v61
	v_or3_b32 v4, v6, v5, v4
.LBB6_3858:                             ;   in Loop: Header=BB6_2967 Depth=2
	s_or_b64 exec, exec, s[60:61]
.LBB6_3859:                             ;   in Loop: Header=BB6_2967 Depth=2
	s_or_b64 exec, exec, s[58:59]
.LBB6_3860:                             ;   in Loop: Header=BB6_2967 Depth=2
	s_or_b64 exec, exec, s[56:57]
	v_max_f32_e32 v4, v4, v4
	v_max_f32_e32 v3, v3, v3
	;; [unrolled: 1-line block ×3, first 2 shown]
	s_branch .LBB6_3875
.LBB6_3861:                             ;   in Loop: Header=BB6_2967 Depth=2
                                        ; implicit-def: $vgpr3
	s_cbranch_execz .LBB6_3875
; %bb.3862:                             ;   in Loop: Header=BB6_2967 Depth=2
	v_mov_b32_e32 v4, 0
	v_mov_b32_e32 v3, 0
	s_and_saveexec_b64 s[56:57], s[20:21]
	s_cbranch_execz .LBB6_3868
; %bb.3863:                             ;   in Loop: Header=BB6_2967 Depth=2
	v_cmp_ne_u16_sdwa vcc, v18, s69 src0_sel:BYTE_0 src1_sel:DWORD
	v_bfrev_b32_e32 v3, 1
	s_and_saveexec_b64 s[20:21], vcc
	s_cbranch_execz .LBB6_3867
; %bb.3864:                             ;   in Loop: Header=BB6_2967 Depth=2
	v_bfe_u32 v5, v15, 16, 7
	v_cmp_ne_u32_e32 vcc, s71, v5
	v_mov_b32_e32 v3, 0x7f800001
	s_and_saveexec_b64 s[58:59], vcc
	s_cbranch_execz .LBB6_3866
; %bb.3865:                             ;   in Loop: Header=BB6_2967 Depth=2
	v_and_b32_e32 v3, 7, v18
	v_ffbh_u32_e32 v6, v3
	v_min_u32_e32 v9, 32, v6
	v_subrev_u32_e32 v6, 28, v9
	v_lshlrev_b64 v[6:7], v6, v[18:19]
	v_lshrrev_b32_e32 v8, 3, v5
	v_sub_u32_e32 v7, 29, v9
	v_and_b32_e32 v6, 7, v6
	v_cmp_gt_u32_e32 vcc, 8, v5
	v_cndmask_b32_e32 v5, v8, v7, vcc
	v_cndmask_b32_e32 v3, v3, v6, vcc
	v_lshlrev_b32_e32 v6, 24, v18
	v_lshlrev_b32_e32 v3, 20, v3
	v_and_b32_e32 v6, 0x80000000, v6
	v_lshl_add_u32 v5, v5, 23, v61
	v_or3_b32 v3, v6, v5, v3
.LBB6_3866:                             ;   in Loop: Header=BB6_2967 Depth=2
	s_or_b64 exec, exec, s[58:59]
.LBB6_3867:                             ;   in Loop: Header=BB6_2967 Depth=2
	s_or_b64 exec, exec, s[20:21]
.LBB6_3868:                             ;   in Loop: Header=BB6_2967 Depth=2
	s_or_b64 exec, exec, s[56:57]
	v_cmp_ne_u16_sdwa vcc, v2, v53 src0_sel:BYTE_0 src1_sel:DWORD
	s_and_saveexec_b64 s[20:21], vcc
	s_cbranch_execz .LBB6_3874
; %bb.3869:                             ;   in Loop: Header=BB6_2967 Depth=2
	v_cmp_ne_u16_sdwa vcc, v2, s69 src0_sel:BYTE_0 src1_sel:DWORD
	v_bfrev_b32_e32 v4, 1
	s_and_saveexec_b64 s[56:57], vcc
	s_cbranch_execz .LBB6_3873
; %bb.3870:                             ;   in Loop: Header=BB6_2967 Depth=2
	v_bfe_u32 v5, v11, 16, 7
	v_cmp_ne_u32_e32 vcc, s71, v5
	v_mov_b32_e32 v4, 0x7f800001
	s_and_saveexec_b64 s[58:59], vcc
	s_cbranch_execz .LBB6_3872
; %bb.3871:                             ;   in Loop: Header=BB6_2967 Depth=2
	v_and_b32_e32 v4, 7, v2
	v_ffbh_u32_e32 v6, v4
	v_min_u32_e32 v9, 32, v6
	v_subrev_u32_e32 v6, 28, v9
	v_lshlrev_b64 v[6:7], v6, v[2:3]
	v_lshrrev_b32_e32 v8, 3, v5
	v_sub_u32_e32 v7, 29, v9
	v_and_b32_e32 v6, 7, v6
	v_cmp_gt_u32_e32 vcc, 8, v5
	v_cndmask_b32_e32 v5, v8, v7, vcc
	v_cndmask_b32_e32 v4, v4, v6, vcc
	v_lshlrev_b32_e32 v2, 24, v2
	v_lshlrev_b32_e32 v4, 20, v4
	v_and_b32_e32 v2, 0x80000000, v2
	v_lshl_add_u32 v5, v5, 23, v61
	v_or3_b32 v4, v2, v5, v4
.LBB6_3872:                             ;   in Loop: Header=BB6_2967 Depth=2
	s_or_b64 exec, exec, s[58:59]
.LBB6_3873:                             ;   in Loop: Header=BB6_2967 Depth=2
	s_or_b64 exec, exec, s[56:57]
.LBB6_3874:                             ;   in Loop: Header=BB6_2967 Depth=2
	s_or_b64 exec, exec, s[20:21]
	v_max_f32_e32 v2, v4, v4
	v_max_f32_e32 v3, v3, v3
	v_min_f32_e32 v3, v3, v2
.LBB6_3875:                             ;   in Loop: Header=BB6_2967 Depth=2
	v_and_b32_sdwa v4, v3, s69 dst_sel:DWORD dst_unused:UNUSED_PAD src0_sel:BYTE_3 src1_sel:DWORD
	v_and_b32_e32 v6, 0x7f800000, v3
	v_mov_b32_e32 v7, v53
	v_and_b32_e32 v52, 0x7fffff, v3
	v_or_b32_e32 v20, 0x7e, v4
	v_cmp_ne_u64_e32 vcc, s[40:41], v[6:7]
	s_and_saveexec_b64 s[20:21], vcc
	s_xor_b64 s[56:57], exec, s[20:21]
	s_cbranch_execz .LBB6_3885
; %bb.3876:                             ;   in Loop: Header=BB6_2967 Depth=2
	v_and_b32_e32 v6, 0x7fffffff, v3
	v_mov_b32_e32 v7, v53
	v_cmp_gt_u64_e32 vcc, s[42:43], v[6:7]
	s_and_saveexec_b64 s[58:59], vcc
	s_cbranch_execz .LBB6_3884
; %bb.3877:                             ;   in Loop: Header=BB6_2967 Depth=2
	v_cmp_ne_u32_e32 vcc, 0, v3
	v_mov_b32_e32 v20, 0
	s_and_saveexec_b64 s[60:61], vcc
	s_cbranch_execz .LBB6_3883
; %bb.3878:                             ;   in Loop: Header=BB6_2967 Depth=2
	v_bfe_u32 v2, v3, 23, 8
	v_sub_u32_e32 v5, 0x79, v2
	v_cmp_gt_u32_e32 vcc, s73, v2
	v_cndmask_b32_e32 v5, 0, v5, vcc
	v_cmp_eq_u32_e32 vcc, 0, v2
	v_or_b32_e32 v6, 0x800000, v52
	v_cndmask_b32_e32 v5, v5, v32, vcc
	v_add_u32_e32 v3, 0xffffff81, v2
	v_cndmask_b32_e32 v52, v6, v52, vcc
	v_add_u32_e32 v2, 20, v5
	v_cndmask_b32_e32 v18, v3, v33, vcc
	v_lshlrev_b64 v[2:3], v2, -1
	v_lshrrev_b64 v[8:9], v5, v[52:53]
	v_not_b32_e32 v3, v3
	v_not_b32_e32 v2, v2
	v_add_u32_e32 v6, 19, v5
	v_lshrrev_b32_e32 v20, 23, v8
	v_and_b32_e32 v3, 0, v3
	v_and_b32_e32 v2, v52, v2
	v_lshlrev_b64 v[6:7], v6, 1
	v_add3_u32 v20, v5, v18, v20
	v_bfe_u32 v5, v8, 20, 1
	v_add_u32_e32 v5, -1, v5
	v_cmp_eq_u64_e32 vcc, v[2:3], v[6:7]
	v_cndmask_b32_e32 v2, 0, v5, vcc
	v_add_u32_e32 v2, v2, v8
	v_and_b32_e32 v2, 0xfffff, v2
	v_add_co_u32_e32 v2, vcc, v2, v8
	v_add_u32_e32 v18, 6, v20
	v_addc_co_u32_e32 v3, vcc, 0, v9, vcc
	v_cmp_ne_u32_e32 vcc, 0, v18
                                        ; implicit-def: $vgpr5
	s_and_saveexec_b64 s[20:21], vcc
	s_xor_b64 s[20:21], exec, s[20:21]
; %bb.3879:                             ;   in Loop: Header=BB6_2967 Depth=2
	v_cmp_lt_u64_e32 vcc, s[46:47], v[2:3]
	v_add_u32_e32 v5, 7, v20
	v_cndmask_b32_e64 v6, 0, 1, vcc
	v_cndmask_b32_e32 v5, v18, v5, vcc
	v_lshrrev_b64 v[2:3], v6, v[2:3]
; %bb.3880:                             ;   in Loop: Header=BB6_2967 Depth=2
	s_andn2_saveexec_b64 s[20:21], s[20:21]
; %bb.3881:                             ;   in Loop: Header=BB6_2967 Depth=2
	v_bfe_u32 v5, v2, 23, 1
; %bb.3882:                             ;   in Loop: Header=BB6_2967 Depth=2
	s_or_b64 exec, exec, s[20:21]
	v_lshrrev_b64 v[2:3], 20, v[2:3]
	v_cmp_gt_i32_e32 vcc, 16, v5
	v_cndmask_b32_e32 v3, 0, v3, vcc
	v_cndmask_b32_e32 v2, 7, v2, vcc
	v_cmp_eq_u64_e64 s[20:21], 0, v[2:3]
	v_min_i32_e32 v3, 15, v5
	v_lshlrev_b32_e32 v3, 3, v3
	v_cmp_eq_u32_e32 vcc, 0, v5
	v_and_b32_e32 v3, 0xf8, v3
	v_and_or_b32 v2, v2, 7, v3
	s_and_b64 s[20:21], vcc, s[20:21]
	v_cndmask_b32_e64 v2, v2, 0, s[20:21]
	v_or_b32_e32 v20, v2, v4
.LBB6_3883:                             ;   in Loop: Header=BB6_2967 Depth=2
	s_or_b64 exec, exec, s[60:61]
.LBB6_3884:                             ;   in Loop: Header=BB6_2967 Depth=2
	s_or_b64 exec, exec, s[58:59]
                                        ; implicit-def: $vgpr3
.LBB6_3885:                             ;   in Loop: Header=BB6_2967 Depth=2
	s_andn2_saveexec_b64 s[20:21], s[56:57]
; %bb.3886:                             ;   in Loop: Header=BB6_2967 Depth=2
	v_or_b32_sdwa v2, v3, s71 dst_sel:DWORD dst_unused:UNUSED_PAD src0_sel:BYTE_3 src1_sel:DWORD
	v_cmp_eq_u64_e32 vcc, 0, v[52:53]
	v_cndmask_b32_e32 v20, v2, v20, vcc
; %bb.3887:                             ;   in Loop: Header=BB6_2967 Depth=2
	s_or_b64 exec, exec, s[20:21]
	v_lshrrev_b32_e32 v18, 24, v15
	v_lshrrev_b32_e32 v2, 24, v11
	s_and_b64 vcc, exec, s[18:19]
	v_cmp_lt_u64_e64 s[20:21], s[44:45], v[14:15]
	s_cbranch_vccnz .LBB6_3901
; %bb.3888:                             ;   in Loop: Header=BB6_2967 Depth=2
	v_mov_b32_e32 v4, 0
	v_mov_b32_e32 v3, 0
	s_and_saveexec_b64 s[56:57], s[20:21]
	s_cbranch_execz .LBB6_3894
; %bb.3889:                             ;   in Loop: Header=BB6_2967 Depth=2
	v_cmp_ne_u32_e32 vcc, s69, v18
	v_bfrev_b32_e32 v3, 1
	s_and_saveexec_b64 s[58:59], vcc
	s_cbranch_execz .LBB6_3893
; %bb.3890:                             ;   in Loop: Header=BB6_2967 Depth=2
	v_bfe_u32 v5, v15, 24, 7
	v_cmp_ne_u32_e32 vcc, s71, v5
	v_mov_b32_e32 v3, 0x7f800001
	s_and_saveexec_b64 s[60:61], vcc
	s_cbranch_execz .LBB6_3892
; %bb.3891:                             ;   in Loop: Header=BB6_2967 Depth=2
	v_and_b32_e32 v3, 7, v18
	v_ffbh_u32_e32 v6, v3
	v_min_u32_e32 v9, 32, v6
	v_subrev_u32_e32 v6, 28, v9
	v_lshlrev_b64 v[6:7], v6, v[18:19]
	v_lshrrev_b32_e32 v8, 3, v5
	v_sub_u32_e32 v7, 29, v9
	v_and_b32_e32 v6, 7, v6
	v_cmp_gt_u32_e32 vcc, 8, v5
	v_cndmask_b32_e32 v5, v8, v7, vcc
	v_cndmask_b32_e32 v3, v3, v6, vcc
	v_lshlrev_b32_e32 v6, 24, v18
	v_lshlrev_b32_e32 v3, 20, v3
	v_and_b32_e32 v6, 0x80000000, v6
	v_lshl_add_u32 v5, v5, 23, v61
	v_or3_b32 v3, v6, v5, v3
.LBB6_3892:                             ;   in Loop: Header=BB6_2967 Depth=2
	s_or_b64 exec, exec, s[60:61]
.LBB6_3893:                             ;   in Loop: Header=BB6_2967 Depth=2
	s_or_b64 exec, exec, s[58:59]
.LBB6_3894:                             ;   in Loop: Header=BB6_2967 Depth=2
	s_or_b64 exec, exec, s[56:57]
	v_cmp_lt_u64_e32 vcc, s[44:45], v[10:11]
	s_and_saveexec_b64 s[56:57], vcc
	s_cbranch_execz .LBB6_3900
; %bb.3895:                             ;   in Loop: Header=BB6_2967 Depth=2
	v_cmp_ne_u32_e32 vcc, s69, v2
	v_bfrev_b32_e32 v4, 1
	s_and_saveexec_b64 s[58:59], vcc
	s_cbranch_execz .LBB6_3899
; %bb.3896:                             ;   in Loop: Header=BB6_2967 Depth=2
	v_bfe_u32 v5, v11, 24, 7
	v_cmp_ne_u32_e32 vcc, s71, v5
	v_mov_b32_e32 v4, 0x7f800001
	s_and_saveexec_b64 s[60:61], vcc
	s_cbranch_execz .LBB6_3898
; %bb.3897:                             ;   in Loop: Header=BB6_2967 Depth=2
	v_and_b32_e32 v4, 7, v2
	v_ffbh_u32_e32 v6, v4
	v_min_u32_e32 v9, 32, v6
	v_subrev_u32_e32 v6, 28, v9
	v_lshlrev_b64 v[6:7], v6, v[2:3]
	v_lshrrev_b32_e32 v8, 3, v5
	v_sub_u32_e32 v7, 29, v9
	v_and_b32_e32 v6, 7, v6
	v_cmp_gt_u32_e32 vcc, 8, v5
	v_cndmask_b32_e32 v5, v8, v7, vcc
	v_cndmask_b32_e32 v4, v4, v6, vcc
	v_lshlrev_b32_e32 v6, 24, v2
	v_lshlrev_b32_e32 v4, 20, v4
	v_and_b32_e32 v6, 0x80000000, v6
	v_lshl_add_u32 v5, v5, 23, v61
	v_or3_b32 v4, v6, v5, v4
.LBB6_3898:                             ;   in Loop: Header=BB6_2967 Depth=2
	s_or_b64 exec, exec, s[60:61]
.LBB6_3899:                             ;   in Loop: Header=BB6_2967 Depth=2
	s_or_b64 exec, exec, s[58:59]
.LBB6_3900:                             ;   in Loop: Header=BB6_2967 Depth=2
	s_or_b64 exec, exec, s[56:57]
	v_max_f32_e32 v4, v4, v4
	v_max_f32_e32 v3, v3, v3
	;; [unrolled: 1-line block ×3, first 2 shown]
	s_branch .LBB6_3915
.LBB6_3901:                             ;   in Loop: Header=BB6_2967 Depth=2
                                        ; implicit-def: $vgpr3
	s_cbranch_execz .LBB6_3915
; %bb.3902:                             ;   in Loop: Header=BB6_2967 Depth=2
	v_mov_b32_e32 v4, 0
	v_mov_b32_e32 v3, 0
	s_and_saveexec_b64 s[56:57], s[20:21]
	s_cbranch_execz .LBB6_3908
; %bb.3903:                             ;   in Loop: Header=BB6_2967 Depth=2
	v_cmp_ne_u32_e32 vcc, s69, v18
	v_bfrev_b32_e32 v3, 1
	s_and_saveexec_b64 s[20:21], vcc
	s_cbranch_execz .LBB6_3907
; %bb.3904:                             ;   in Loop: Header=BB6_2967 Depth=2
	v_bfe_u32 v5, v15, 24, 7
	v_cmp_ne_u32_e32 vcc, s71, v5
	v_mov_b32_e32 v3, 0x7f800001
	s_and_saveexec_b64 s[58:59], vcc
	s_cbranch_execz .LBB6_3906
; %bb.3905:                             ;   in Loop: Header=BB6_2967 Depth=2
	v_and_b32_e32 v3, 7, v18
	v_ffbh_u32_e32 v6, v3
	v_min_u32_e32 v9, 32, v6
	v_subrev_u32_e32 v6, 28, v9
	v_lshlrev_b64 v[6:7], v6, v[18:19]
	v_lshrrev_b32_e32 v8, 3, v5
	v_sub_u32_e32 v7, 29, v9
	v_and_b32_e32 v6, 7, v6
	v_cmp_gt_u32_e32 vcc, 8, v5
	v_cndmask_b32_e32 v5, v8, v7, vcc
	v_cndmask_b32_e32 v3, v3, v6, vcc
	v_lshlrev_b32_e32 v6, 24, v18
	v_lshlrev_b32_e32 v3, 20, v3
	v_and_b32_e32 v6, 0x80000000, v6
	v_lshl_add_u32 v5, v5, 23, v61
	v_or3_b32 v3, v6, v5, v3
.LBB6_3906:                             ;   in Loop: Header=BB6_2967 Depth=2
	s_or_b64 exec, exec, s[58:59]
.LBB6_3907:                             ;   in Loop: Header=BB6_2967 Depth=2
	s_or_b64 exec, exec, s[20:21]
.LBB6_3908:                             ;   in Loop: Header=BB6_2967 Depth=2
	s_or_b64 exec, exec, s[56:57]
	v_cmp_lt_u64_e32 vcc, s[44:45], v[10:11]
	s_and_saveexec_b64 s[20:21], vcc
	s_cbranch_execz .LBB6_3914
; %bb.3909:                             ;   in Loop: Header=BB6_2967 Depth=2
	v_cmp_ne_u32_e32 vcc, s69, v2
	v_bfrev_b32_e32 v4, 1
	s_and_saveexec_b64 s[56:57], vcc
	s_cbranch_execz .LBB6_3913
; %bb.3910:                             ;   in Loop: Header=BB6_2967 Depth=2
	v_bfe_u32 v5, v11, 24, 7
	v_cmp_ne_u32_e32 vcc, s71, v5
	v_mov_b32_e32 v4, 0x7f800001
	s_and_saveexec_b64 s[58:59], vcc
	s_cbranch_execz .LBB6_3912
; %bb.3911:                             ;   in Loop: Header=BB6_2967 Depth=2
	v_and_b32_e32 v4, 7, v2
	v_ffbh_u32_e32 v6, v4
	v_min_u32_e32 v9, 32, v6
	v_subrev_u32_e32 v6, 28, v9
	v_lshlrev_b64 v[6:7], v6, v[2:3]
	v_lshrrev_b32_e32 v8, 3, v5
	v_sub_u32_e32 v7, 29, v9
	v_and_b32_e32 v6, 7, v6
	v_cmp_gt_u32_e32 vcc, 8, v5
	v_cndmask_b32_e32 v5, v8, v7, vcc
	v_cndmask_b32_e32 v4, v4, v6, vcc
	v_lshlrev_b32_e32 v2, 24, v2
	v_lshlrev_b32_e32 v4, 20, v4
	v_and_b32_e32 v2, 0x80000000, v2
	v_lshl_add_u32 v5, v5, 23, v61
	v_or3_b32 v4, v2, v5, v4
.LBB6_3912:                             ;   in Loop: Header=BB6_2967 Depth=2
	s_or_b64 exec, exec, s[58:59]
.LBB6_3913:                             ;   in Loop: Header=BB6_2967 Depth=2
	s_or_b64 exec, exec, s[56:57]
.LBB6_3914:                             ;   in Loop: Header=BB6_2967 Depth=2
	s_or_b64 exec, exec, s[20:21]
	v_max_f32_e32 v2, v4, v4
	v_max_f32_e32 v3, v3, v3
	v_min_f32_e32 v3, v3, v2
.LBB6_3915:                             ;   in Loop: Header=BB6_2967 Depth=2
	v_and_b32_sdwa v4, v3, s69 dst_sel:DWORD dst_unused:UNUSED_PAD src0_sel:BYTE_3 src1_sel:DWORD
	v_and_b32_e32 v6, 0x7f800000, v3
	v_mov_b32_e32 v7, v53
	v_and_b32_e32 v52, 0x7fffff, v3
	v_or_b32_e32 v15, 0x7e, v4
	v_cmp_ne_u64_e32 vcc, s[40:41], v[6:7]
	s_and_saveexec_b64 s[20:21], vcc
	s_xor_b64 s[56:57], exec, s[20:21]
	s_cbranch_execnz .LBB6_3931
; %bb.3916:                             ;   in Loop: Header=BB6_2967 Depth=2
	s_andn2_saveexec_b64 s[20:21], s[56:57]
	s_cbranch_execnz .LBB6_3940
.LBB6_3917:                             ;   in Loop: Header=BB6_2967 Depth=2
	s_or_b64 exec, exec, s[20:21]
	s_and_b64 vcc, exec, s[18:19]
	v_cmp_ne_u16_sdwa s[20:21], v16, v53 src0_sel:BYTE_0 src1_sel:DWORD
	s_cbranch_vccnz .LBB6_3941
.LBB6_3918:                             ;   in Loop: Header=BB6_2967 Depth=2
	v_mov_b32_e32 v3, 0
	v_mov_b32_e32 v2, 0
	s_and_saveexec_b64 s[56:57], s[20:21]
	s_cbranch_execz .LBB6_3924
; %bb.3919:                             ;   in Loop: Header=BB6_2967 Depth=2
	v_cmp_ne_u16_sdwa vcc, v16, s69 src0_sel:BYTE_0 src1_sel:DWORD
	v_bfrev_b32_e32 v2, 1
	s_and_saveexec_b64 s[58:59], vcc
	s_cbranch_execz .LBB6_3923
; %bb.3920:                             ;   in Loop: Header=BB6_2967 Depth=2
	v_and_b32_e32 v4, 0x7f, v16
	v_cmp_ne_u32_e32 vcc, s71, v4
	v_mov_b32_e32 v2, 0x7f800001
	s_and_saveexec_b64 s[60:61], vcc
	s_cbranch_execz .LBB6_3922
; %bb.3921:                             ;   in Loop: Header=BB6_2967 Depth=2
	v_and_b32_e32 v2, 7, v16
	v_ffbh_u32_e32 v2, v2
	v_min_u32_e32 v2, 32, v2
	v_subrev_u32_e32 v6, 28, v2
	v_cmp_gt_u32_e32 vcc, 8, v4
	v_lshrrev_b32_e32 v5, 3, v4
	v_sub_u32_e32 v2, 29, v2
	v_cndmask_b32_e32 v4, 0, v6, vcc
	v_cndmask_b32_e32 v2, v5, v2, vcc
	v_lshlrev_b64 v[4:5], v4, v[16:17]
	v_lshlrev_b32_e32 v4, 20, v4
	v_lshlrev_b32_e32 v5, 24, v16
	v_and_b32_e32 v4, 0x700000, v4
	v_and_b32_e32 v5, 0x80000000, v5
	v_lshl_add_u32 v2, v2, 23, v61
	v_or3_b32 v2, v5, v2, v4
.LBB6_3922:                             ;   in Loop: Header=BB6_2967 Depth=2
	s_or_b64 exec, exec, s[60:61]
.LBB6_3923:                             ;   in Loop: Header=BB6_2967 Depth=2
	s_or_b64 exec, exec, s[58:59]
.LBB6_3924:                             ;   in Loop: Header=BB6_2967 Depth=2
	s_or_b64 exec, exec, s[56:57]
	v_cmp_ne_u16_sdwa vcc, v12, v53 src0_sel:BYTE_0 src1_sel:DWORD
	s_and_saveexec_b64 s[56:57], vcc
	s_cbranch_execz .LBB6_3930
; %bb.3925:                             ;   in Loop: Header=BB6_2967 Depth=2
	v_cmp_ne_u16_sdwa vcc, v12, s69 src0_sel:BYTE_0 src1_sel:DWORD
	v_bfrev_b32_e32 v3, 1
	s_and_saveexec_b64 s[58:59], vcc
	s_cbranch_execz .LBB6_3929
; %bb.3926:                             ;   in Loop: Header=BB6_2967 Depth=2
	v_and_b32_e32 v4, 0x7f, v12
	v_cmp_ne_u32_e32 vcc, s71, v4
	v_mov_b32_e32 v3, 0x7f800001
	s_and_saveexec_b64 s[60:61], vcc
	s_cbranch_execz .LBB6_3928
; %bb.3927:                             ;   in Loop: Header=BB6_2967 Depth=2
	v_and_b32_e32 v3, 7, v12
	v_ffbh_u32_e32 v3, v3
	v_min_u32_e32 v3, 32, v3
	v_subrev_u32_e32 v6, 28, v3
	v_cmp_gt_u32_e32 vcc, 8, v4
	v_lshrrev_b32_e32 v5, 3, v4
	v_sub_u32_e32 v3, 29, v3
	v_cndmask_b32_e32 v4, 0, v6, vcc
	v_cndmask_b32_e32 v3, v5, v3, vcc
	v_lshlrev_b64 v[4:5], v4, v[12:13]
	v_lshlrev_b32_e32 v4, 20, v4
	v_lshlrev_b32_e32 v5, 24, v12
	v_and_b32_e32 v4, 0x700000, v4
	v_and_b32_e32 v5, 0x80000000, v5
	v_lshl_add_u32 v3, v3, 23, v61
	v_or3_b32 v3, v5, v3, v4
.LBB6_3928:                             ;   in Loop: Header=BB6_2967 Depth=2
	s_or_b64 exec, exec, s[60:61]
.LBB6_3929:                             ;   in Loop: Header=BB6_2967 Depth=2
	s_or_b64 exec, exec, s[58:59]
.LBB6_3930:                             ;   in Loop: Header=BB6_2967 Depth=2
	s_or_b64 exec, exec, s[56:57]
	v_max_f32_e32 v3, v3, v3
	v_max_f32_e32 v2, v2, v2
	;; [unrolled: 1-line block ×3, first 2 shown]
	s_branch .LBB6_3955
.LBB6_3931:                             ;   in Loop: Header=BB6_2967 Depth=2
	v_and_b32_e32 v6, 0x7fffffff, v3
	v_mov_b32_e32 v7, v53
	v_cmp_gt_u64_e32 vcc, s[42:43], v[6:7]
	s_and_saveexec_b64 s[58:59], vcc
	s_cbranch_execz .LBB6_3939
; %bb.3932:                             ;   in Loop: Header=BB6_2967 Depth=2
	v_cmp_ne_u32_e32 vcc, 0, v3
	v_mov_b32_e32 v15, 0
	s_and_saveexec_b64 s[60:61], vcc
	s_cbranch_execz .LBB6_3938
; %bb.3933:                             ;   in Loop: Header=BB6_2967 Depth=2
	v_bfe_u32 v2, v3, 23, 8
	v_sub_u32_e32 v5, 0x79, v2
	v_cmp_gt_u32_e32 vcc, s73, v2
	v_cndmask_b32_e32 v5, 0, v5, vcc
	v_cmp_eq_u32_e32 vcc, 0, v2
	v_or_b32_e32 v6, 0x800000, v52
	v_cndmask_b32_e32 v5, v5, v32, vcc
	v_add_u32_e32 v3, 0xffffff81, v2
	v_cndmask_b32_e32 v52, v6, v52, vcc
	v_add_u32_e32 v2, 20, v5
	v_cndmask_b32_e32 v10, v3, v33, vcc
	v_lshlrev_b64 v[2:3], v2, -1
	v_lshrrev_b64 v[8:9], v5, v[52:53]
	v_not_b32_e32 v3, v3
	v_not_b32_e32 v2, v2
	v_add_u32_e32 v6, 19, v5
	v_lshrrev_b32_e32 v11, 23, v8
	v_and_b32_e32 v3, 0, v3
	v_and_b32_e32 v2, v52, v2
	v_lshlrev_b64 v[6:7], v6, 1
	v_add3_u32 v11, v5, v10, v11
	v_bfe_u32 v5, v8, 20, 1
	v_add_u32_e32 v5, -1, v5
	v_cmp_eq_u64_e32 vcc, v[2:3], v[6:7]
	v_cndmask_b32_e32 v2, 0, v5, vcc
	v_add_u32_e32 v2, v2, v8
	v_and_b32_e32 v2, 0xfffff, v2
	v_add_co_u32_e32 v2, vcc, v2, v8
	v_add_u32_e32 v10, 6, v11
	v_addc_co_u32_e32 v3, vcc, 0, v9, vcc
	v_cmp_ne_u32_e32 vcc, 0, v10
                                        ; implicit-def: $vgpr5
	s_and_saveexec_b64 s[20:21], vcc
	s_xor_b64 s[20:21], exec, s[20:21]
; %bb.3934:                             ;   in Loop: Header=BB6_2967 Depth=2
	v_cmp_lt_u64_e32 vcc, s[46:47], v[2:3]
	v_add_u32_e32 v5, 7, v11
	v_cndmask_b32_e64 v6, 0, 1, vcc
	v_cndmask_b32_e32 v5, v10, v5, vcc
	v_lshrrev_b64 v[2:3], v6, v[2:3]
; %bb.3935:                             ;   in Loop: Header=BB6_2967 Depth=2
	s_andn2_saveexec_b64 s[20:21], s[20:21]
; %bb.3936:                             ;   in Loop: Header=BB6_2967 Depth=2
	v_bfe_u32 v5, v2, 23, 1
; %bb.3937:                             ;   in Loop: Header=BB6_2967 Depth=2
	s_or_b64 exec, exec, s[20:21]
	v_lshrrev_b64 v[2:3], 20, v[2:3]
	v_cmp_gt_i32_e32 vcc, 16, v5
	v_cndmask_b32_e32 v3, 0, v3, vcc
	v_cndmask_b32_e32 v2, 7, v2, vcc
	v_cmp_eq_u64_e64 s[20:21], 0, v[2:3]
	v_min_i32_e32 v3, 15, v5
	v_lshlrev_b32_e32 v3, 3, v3
	v_cmp_eq_u32_e32 vcc, 0, v5
	v_and_b32_e32 v3, 0xf8, v3
	v_and_or_b32 v2, v2, 7, v3
	s_and_b64 s[20:21], vcc, s[20:21]
	v_cndmask_b32_e64 v2, v2, 0, s[20:21]
	v_or_b32_e32 v15, v2, v4
.LBB6_3938:                             ;   in Loop: Header=BB6_2967 Depth=2
	s_or_b64 exec, exec, s[60:61]
.LBB6_3939:                             ;   in Loop: Header=BB6_2967 Depth=2
	s_or_b64 exec, exec, s[58:59]
                                        ; implicit-def: $vgpr3
	s_andn2_saveexec_b64 s[20:21], s[56:57]
	s_cbranch_execz .LBB6_3917
.LBB6_3940:                             ;   in Loop: Header=BB6_2967 Depth=2
	v_or_b32_sdwa v2, v3, s71 dst_sel:DWORD dst_unused:UNUSED_PAD src0_sel:BYTE_3 src1_sel:DWORD
	v_cmp_eq_u64_e32 vcc, 0, v[52:53]
	v_cndmask_b32_e32 v15, v2, v15, vcc
	s_or_b64 exec, exec, s[20:21]
	s_and_b64 vcc, exec, s[18:19]
	v_cmp_ne_u16_sdwa s[20:21], v16, v53 src0_sel:BYTE_0 src1_sel:DWORD
	s_cbranch_vccz .LBB6_3918
.LBB6_3941:                             ;   in Loop: Header=BB6_2967 Depth=2
                                        ; implicit-def: $vgpr2
	s_cbranch_execz .LBB6_3955
; %bb.3942:                             ;   in Loop: Header=BB6_2967 Depth=2
	v_mov_b32_e32 v3, 0
	v_mov_b32_e32 v2, 0
	s_and_saveexec_b64 s[56:57], s[20:21]
	s_cbranch_execz .LBB6_3948
; %bb.3943:                             ;   in Loop: Header=BB6_2967 Depth=2
	v_cmp_ne_u16_sdwa vcc, v16, s69 src0_sel:BYTE_0 src1_sel:DWORD
	v_bfrev_b32_e32 v2, 1
	s_and_saveexec_b64 s[20:21], vcc
	s_cbranch_execz .LBB6_3947
; %bb.3944:                             ;   in Loop: Header=BB6_2967 Depth=2
	v_and_b32_e32 v4, 0x7f, v16
	v_cmp_ne_u32_e32 vcc, s71, v4
	v_mov_b32_e32 v2, 0x7f800001
	s_and_saveexec_b64 s[58:59], vcc
	s_cbranch_execz .LBB6_3946
; %bb.3945:                             ;   in Loop: Header=BB6_2967 Depth=2
	v_and_b32_e32 v2, 7, v16
	v_ffbh_u32_e32 v2, v2
	v_min_u32_e32 v2, 32, v2
	v_subrev_u32_e32 v6, 28, v2
	v_cmp_gt_u32_e32 vcc, 8, v4
	v_lshrrev_b32_e32 v5, 3, v4
	v_sub_u32_e32 v2, 29, v2
	v_cndmask_b32_e32 v4, 0, v6, vcc
	v_cndmask_b32_e32 v2, v5, v2, vcc
	v_lshlrev_b64 v[4:5], v4, v[16:17]
	v_lshlrev_b32_e32 v4, 20, v4
	v_lshlrev_b32_e32 v5, 24, v16
	v_and_b32_e32 v4, 0x700000, v4
	v_and_b32_e32 v5, 0x80000000, v5
	v_lshl_add_u32 v2, v2, 23, v61
	v_or3_b32 v2, v5, v2, v4
.LBB6_3946:                             ;   in Loop: Header=BB6_2967 Depth=2
	s_or_b64 exec, exec, s[58:59]
.LBB6_3947:                             ;   in Loop: Header=BB6_2967 Depth=2
	s_or_b64 exec, exec, s[20:21]
.LBB6_3948:                             ;   in Loop: Header=BB6_2967 Depth=2
	s_or_b64 exec, exec, s[56:57]
	v_cmp_ne_u16_sdwa vcc, v12, v53 src0_sel:BYTE_0 src1_sel:DWORD
	s_and_saveexec_b64 s[20:21], vcc
	s_cbranch_execz .LBB6_3954
; %bb.3949:                             ;   in Loop: Header=BB6_2967 Depth=2
	v_cmp_ne_u16_sdwa vcc, v12, s69 src0_sel:BYTE_0 src1_sel:DWORD
	v_bfrev_b32_e32 v3, 1
	s_and_saveexec_b64 s[56:57], vcc
	s_cbranch_execz .LBB6_3953
; %bb.3950:                             ;   in Loop: Header=BB6_2967 Depth=2
	v_and_b32_e32 v4, 0x7f, v12
	v_cmp_ne_u32_e32 vcc, s71, v4
	v_mov_b32_e32 v3, 0x7f800001
	s_and_saveexec_b64 s[58:59], vcc
	s_cbranch_execz .LBB6_3952
; %bb.3951:                             ;   in Loop: Header=BB6_2967 Depth=2
	v_and_b32_e32 v3, 7, v12
	v_ffbh_u32_e32 v3, v3
	v_min_u32_e32 v3, 32, v3
	v_subrev_u32_e32 v6, 28, v3
	v_cmp_gt_u32_e32 vcc, 8, v4
	v_lshrrev_b32_e32 v5, 3, v4
	v_sub_u32_e32 v3, 29, v3
	v_cndmask_b32_e32 v4, 0, v6, vcc
	v_cndmask_b32_e32 v3, v5, v3, vcc
	v_lshlrev_b64 v[4:5], v4, v[12:13]
	v_lshlrev_b32_e32 v4, 20, v4
	v_lshlrev_b32_e32 v5, 24, v12
	v_and_b32_e32 v4, 0x700000, v4
	v_and_b32_e32 v5, 0x80000000, v5
	v_lshl_add_u32 v3, v3, 23, v61
	v_or3_b32 v3, v5, v3, v4
.LBB6_3952:                             ;   in Loop: Header=BB6_2967 Depth=2
	s_or_b64 exec, exec, s[58:59]
.LBB6_3953:                             ;   in Loop: Header=BB6_2967 Depth=2
	s_or_b64 exec, exec, s[56:57]
.LBB6_3954:                             ;   in Loop: Header=BB6_2967 Depth=2
	s_or_b64 exec, exec, s[20:21]
	v_max_f32_e32 v3, v3, v3
	v_max_f32_e32 v2, v2, v2
	v_min_f32_e32 v2, v2, v3
.LBB6_3955:                             ;   in Loop: Header=BB6_2967 Depth=2
	v_and_b32_sdwa v4, v2, s69 dst_sel:DWORD dst_unused:UNUSED_PAD src0_sel:BYTE_3 src1_sel:DWORD
	v_and_b32_e32 v6, 0x7f800000, v2
	v_mov_b32_e32 v7, v53
	v_and_b32_e32 v52, 0x7fffff, v2
	v_or_b32_e32 v18, 0x7e, v4
	v_cmp_ne_u64_e32 vcc, s[40:41], v[6:7]
	s_and_saveexec_b64 s[20:21], vcc
	s_xor_b64 s[56:57], exec, s[20:21]
	s_cbranch_execz .LBB6_3965
; %bb.3956:                             ;   in Loop: Header=BB6_2967 Depth=2
	v_and_b32_e32 v6, 0x7fffffff, v2
	v_mov_b32_e32 v7, v53
	v_cmp_gt_u64_e32 vcc, s[42:43], v[6:7]
	s_and_saveexec_b64 s[58:59], vcc
	s_cbranch_execz .LBB6_3964
; %bb.3957:                             ;   in Loop: Header=BB6_2967 Depth=2
	v_cmp_ne_u32_e32 vcc, 0, v2
	v_mov_b32_e32 v18, 0
	s_and_saveexec_b64 s[60:61], vcc
	s_cbranch_execz .LBB6_3963
; %bb.3958:                             ;   in Loop: Header=BB6_2967 Depth=2
	v_bfe_u32 v2, v2, 23, 8
	v_sub_u32_e32 v5, 0x79, v2
	v_cmp_gt_u32_e32 vcc, s73, v2
	v_cndmask_b32_e32 v5, 0, v5, vcc
	v_cmp_eq_u32_e32 vcc, 0, v2
	v_or_b32_e32 v6, 0x800000, v52
	v_cndmask_b32_e32 v5, v5, v32, vcc
	v_add_u32_e32 v3, 0xffffff81, v2
	v_cndmask_b32_e32 v52, v6, v52, vcc
	v_add_u32_e32 v2, 20, v5
	v_cndmask_b32_e32 v10, v3, v33, vcc
	v_lshlrev_b64 v[2:3], v2, -1
	v_lshrrev_b64 v[8:9], v5, v[52:53]
	v_not_b32_e32 v3, v3
	v_not_b32_e32 v2, v2
	v_add_u32_e32 v6, 19, v5
	v_lshrrev_b32_e32 v11, 23, v8
	v_and_b32_e32 v3, 0, v3
	v_and_b32_e32 v2, v52, v2
	v_lshlrev_b64 v[6:7], v6, 1
	v_add3_u32 v11, v5, v10, v11
	v_bfe_u32 v5, v8, 20, 1
	v_add_u32_e32 v5, -1, v5
	v_cmp_eq_u64_e32 vcc, v[2:3], v[6:7]
	v_cndmask_b32_e32 v2, 0, v5, vcc
	v_add_u32_e32 v2, v2, v8
	v_and_b32_e32 v2, 0xfffff, v2
	v_add_co_u32_e32 v2, vcc, v2, v8
	v_add_u32_e32 v10, 6, v11
	v_addc_co_u32_e32 v3, vcc, 0, v9, vcc
	v_cmp_ne_u32_e32 vcc, 0, v10
                                        ; implicit-def: $vgpr5
	s_and_saveexec_b64 s[20:21], vcc
	s_xor_b64 s[20:21], exec, s[20:21]
; %bb.3959:                             ;   in Loop: Header=BB6_2967 Depth=2
	v_cmp_lt_u64_e32 vcc, s[46:47], v[2:3]
	v_add_u32_e32 v5, 7, v11
	v_cndmask_b32_e64 v6, 0, 1, vcc
	v_cndmask_b32_e32 v5, v10, v5, vcc
	v_lshrrev_b64 v[2:3], v6, v[2:3]
; %bb.3960:                             ;   in Loop: Header=BB6_2967 Depth=2
	s_andn2_saveexec_b64 s[20:21], s[20:21]
; %bb.3961:                             ;   in Loop: Header=BB6_2967 Depth=2
	v_bfe_u32 v5, v2, 23, 1
; %bb.3962:                             ;   in Loop: Header=BB6_2967 Depth=2
	s_or_b64 exec, exec, s[20:21]
	v_lshrrev_b64 v[2:3], 20, v[2:3]
	v_cmp_gt_i32_e32 vcc, 16, v5
	v_cndmask_b32_e32 v3, 0, v3, vcc
	v_cndmask_b32_e32 v2, 7, v2, vcc
	v_cmp_eq_u64_e64 s[20:21], 0, v[2:3]
	v_min_i32_e32 v3, 15, v5
	v_cmp_eq_u32_e32 vcc, 0, v5
	v_lshlrev_b32_e32 v3, 3, v3
	v_and_or_b32 v2, v2, 7, v3
	s_and_b64 s[20:21], vcc, s[20:21]
	v_cndmask_b32_e64 v2, v2, 0, s[20:21]
	v_or_b32_e32 v18, v2, v4
.LBB6_3963:                             ;   in Loop: Header=BB6_2967 Depth=2
	s_or_b64 exec, exec, s[60:61]
.LBB6_3964:                             ;   in Loop: Header=BB6_2967 Depth=2
	s_or_b64 exec, exec, s[58:59]
                                        ; implicit-def: $vgpr2
.LBB6_3965:                             ;   in Loop: Header=BB6_2967 Depth=2
	s_andn2_saveexec_b64 s[20:21], s[56:57]
; %bb.3966:                             ;   in Loop: Header=BB6_2967 Depth=2
	v_or_b32_sdwa v2, v2, s71 dst_sel:DWORD dst_unused:UNUSED_PAD src0_sel:BYTE_3 src1_sel:DWORD
	v_cmp_eq_u64_e32 vcc, 0, v[52:53]
	v_cndmask_b32_e32 v18, v2, v18, vcc
; %bb.3967:                             ;   in Loop: Header=BB6_2967 Depth=2
	s_or_b64 exec, exec, s[20:21]
	v_lshrrev_b16_e32 v10, 8, v16
	v_lshrrev_b16_e32 v2, 8, v12
	s_and_b64 vcc, exec, s[18:19]
	v_cmp_ne_u16_e64 s[20:21], 0, v10
	s_cbranch_vccnz .LBB6_3981
; %bb.3968:                             ;   in Loop: Header=BB6_2967 Depth=2
	v_mov_b32_e32 v4, 0
	v_mov_b32_e32 v3, 0
	s_and_saveexec_b64 s[56:57], s[20:21]
	s_cbranch_execz .LBB6_3974
; %bb.3969:                             ;   in Loop: Header=BB6_2967 Depth=2
	v_cmp_ne_u16_e32 vcc, s69, v10
	v_bfrev_b32_e32 v3, 1
	s_and_saveexec_b64 s[58:59], vcc
	s_cbranch_execz .LBB6_3973
; %bb.3970:                             ;   in Loop: Header=BB6_2967 Depth=2
	v_and_b32_e32 v5, 0x7f, v10
	v_cmp_ne_u32_e32 vcc, s71, v5
	v_mov_b32_e32 v3, 0x7f800001
	s_and_saveexec_b64 s[60:61], vcc
	s_cbranch_execz .LBB6_3972
; %bb.3971:                             ;   in Loop: Header=BB6_2967 Depth=2
	v_and_b32_e32 v3, 7, v10
	v_ffbh_u32_e32 v6, v3
	v_min_u32_e32 v9, 32, v6
	v_subrev_u32_e32 v6, 28, v9
	v_lshlrev_b64 v[6:7], v6, v[10:11]
	v_lshrrev_b32_e32 v8, 3, v5
	v_sub_u32_e32 v7, 29, v9
	v_and_b32_e32 v6, 7, v6
	v_cmp_gt_u32_e32 vcc, 8, v5
	v_cndmask_b32_e32 v5, v8, v7, vcc
	v_cndmask_b32_e32 v3, v3, v6, vcc
	v_lshlrev_b32_e32 v6, 16, v16
	v_lshlrev_b32_e32 v3, 20, v3
	v_and_b32_e32 v6, 0x80000000, v6
	v_lshl_add_u32 v5, v5, 23, v61
	v_or3_b32 v3, v6, v5, v3
.LBB6_3972:                             ;   in Loop: Header=BB6_2967 Depth=2
	s_or_b64 exec, exec, s[60:61]
.LBB6_3973:                             ;   in Loop: Header=BB6_2967 Depth=2
	s_or_b64 exec, exec, s[58:59]
.LBB6_3974:                             ;   in Loop: Header=BB6_2967 Depth=2
	s_or_b64 exec, exec, s[56:57]
	v_cmp_ne_u16_e32 vcc, 0, v2
	s_and_saveexec_b64 s[56:57], vcc
	s_cbranch_execz .LBB6_3980
; %bb.3975:                             ;   in Loop: Header=BB6_2967 Depth=2
	v_cmp_ne_u16_e32 vcc, s69, v2
	v_bfrev_b32_e32 v4, 1
	s_and_saveexec_b64 s[58:59], vcc
	s_cbranch_execz .LBB6_3979
; %bb.3976:                             ;   in Loop: Header=BB6_2967 Depth=2
	v_and_b32_e32 v5, 0x7f, v2
	v_cmp_ne_u32_e32 vcc, s71, v5
	v_mov_b32_e32 v4, 0x7f800001
	s_and_saveexec_b64 s[60:61], vcc
	s_cbranch_execz .LBB6_3978
; %bb.3977:                             ;   in Loop: Header=BB6_2967 Depth=2
	v_and_b32_e32 v4, 7, v2
	v_ffbh_u32_e32 v6, v4
	v_min_u32_e32 v9, 32, v6
	v_subrev_u32_e32 v6, 28, v9
	v_lshlrev_b64 v[6:7], v6, v[2:3]
	v_lshrrev_b32_e32 v8, 3, v5
	v_sub_u32_e32 v7, 29, v9
	v_and_b32_e32 v6, 7, v6
	v_cmp_gt_u32_e32 vcc, 8, v5
	v_cndmask_b32_e32 v5, v8, v7, vcc
	v_cndmask_b32_e32 v4, v4, v6, vcc
	v_lshlrev_b32_e32 v6, 16, v12
	v_lshlrev_b32_e32 v4, 20, v4
	v_and_b32_e32 v6, 0x80000000, v6
	v_lshl_add_u32 v5, v5, 23, v61
	v_or3_b32 v4, v6, v5, v4
.LBB6_3978:                             ;   in Loop: Header=BB6_2967 Depth=2
	s_or_b64 exec, exec, s[60:61]
.LBB6_3979:                             ;   in Loop: Header=BB6_2967 Depth=2
	s_or_b64 exec, exec, s[58:59]
.LBB6_3980:                             ;   in Loop: Header=BB6_2967 Depth=2
	s_or_b64 exec, exec, s[56:57]
	v_max_f32_e32 v4, v4, v4
	v_max_f32_e32 v3, v3, v3
	;; [unrolled: 1-line block ×3, first 2 shown]
	s_branch .LBB6_3995
.LBB6_3981:                             ;   in Loop: Header=BB6_2967 Depth=2
                                        ; implicit-def: $vgpr3
	s_cbranch_execz .LBB6_3995
; %bb.3982:                             ;   in Loop: Header=BB6_2967 Depth=2
	v_mov_b32_e32 v4, 0
	v_mov_b32_e32 v3, 0
	s_and_saveexec_b64 s[56:57], s[20:21]
	s_cbranch_execz .LBB6_3988
; %bb.3983:                             ;   in Loop: Header=BB6_2967 Depth=2
	v_cmp_ne_u16_e32 vcc, s69, v10
	v_bfrev_b32_e32 v3, 1
	s_and_saveexec_b64 s[20:21], vcc
	s_cbranch_execz .LBB6_3987
; %bb.3984:                             ;   in Loop: Header=BB6_2967 Depth=2
	v_and_b32_e32 v5, 0x7f, v10
	v_cmp_ne_u32_e32 vcc, s71, v5
	v_mov_b32_e32 v3, 0x7f800001
	s_and_saveexec_b64 s[58:59], vcc
	s_cbranch_execz .LBB6_3986
; %bb.3985:                             ;   in Loop: Header=BB6_2967 Depth=2
	v_and_b32_e32 v3, 7, v10
	v_ffbh_u32_e32 v6, v3
	v_min_u32_e32 v9, 32, v6
	v_subrev_u32_e32 v6, 28, v9
	v_lshlrev_b64 v[6:7], v6, v[10:11]
	v_lshrrev_b32_e32 v8, 3, v5
	v_sub_u32_e32 v7, 29, v9
	v_and_b32_e32 v6, 7, v6
	v_cmp_gt_u32_e32 vcc, 8, v5
	v_cndmask_b32_e32 v5, v8, v7, vcc
	v_cndmask_b32_e32 v3, v3, v6, vcc
	v_lshlrev_b32_e32 v6, 16, v16
	v_lshlrev_b32_e32 v3, 20, v3
	v_and_b32_e32 v6, 0x80000000, v6
	v_lshl_add_u32 v5, v5, 23, v61
	v_or3_b32 v3, v6, v5, v3
.LBB6_3986:                             ;   in Loop: Header=BB6_2967 Depth=2
	s_or_b64 exec, exec, s[58:59]
.LBB6_3987:                             ;   in Loop: Header=BB6_2967 Depth=2
	s_or_b64 exec, exec, s[20:21]
.LBB6_3988:                             ;   in Loop: Header=BB6_2967 Depth=2
	s_or_b64 exec, exec, s[56:57]
	v_cmp_ne_u16_e32 vcc, 0, v2
	s_and_saveexec_b64 s[20:21], vcc
	s_cbranch_execz .LBB6_3994
; %bb.3989:                             ;   in Loop: Header=BB6_2967 Depth=2
	v_cmp_ne_u16_e32 vcc, s69, v2
	v_bfrev_b32_e32 v4, 1
	s_and_saveexec_b64 s[56:57], vcc
	s_cbranch_execz .LBB6_3993
; %bb.3990:                             ;   in Loop: Header=BB6_2967 Depth=2
	v_and_b32_e32 v5, 0x7f, v2
	v_cmp_ne_u32_e32 vcc, s71, v5
	v_mov_b32_e32 v4, 0x7f800001
	s_and_saveexec_b64 s[58:59], vcc
	s_cbranch_execz .LBB6_3992
; %bb.3991:                             ;   in Loop: Header=BB6_2967 Depth=2
	v_and_b32_e32 v4, 7, v2
	v_ffbh_u32_e32 v6, v4
	v_min_u32_e32 v9, 32, v6
	v_subrev_u32_e32 v6, 28, v9
	v_lshlrev_b64 v[6:7], v6, v[2:3]
	v_lshrrev_b32_e32 v8, 3, v5
	v_sub_u32_e32 v2, 29, v9
	v_and_b32_e32 v6, 7, v6
	v_cmp_gt_u32_e32 vcc, 8, v5
	v_cndmask_b32_e32 v2, v8, v2, vcc
	v_cndmask_b32_e32 v4, v4, v6, vcc
	v_lshlrev_b32_e32 v5, 16, v12
	v_lshlrev_b32_e32 v4, 20, v4
	v_and_b32_e32 v5, 0x80000000, v5
	v_lshl_add_u32 v2, v2, 23, v61
	v_or3_b32 v4, v5, v2, v4
.LBB6_3992:                             ;   in Loop: Header=BB6_2967 Depth=2
	s_or_b64 exec, exec, s[58:59]
.LBB6_3993:                             ;   in Loop: Header=BB6_2967 Depth=2
	s_or_b64 exec, exec, s[56:57]
.LBB6_3994:                             ;   in Loop: Header=BB6_2967 Depth=2
	s_or_b64 exec, exec, s[20:21]
	v_max_f32_e32 v2, v4, v4
	v_max_f32_e32 v3, v3, v3
	v_min_f32_e32 v3, v3, v2
.LBB6_3995:                             ;   in Loop: Header=BB6_2967 Depth=2
	v_and_b32_sdwa v4, v3, s69 dst_sel:DWORD dst_unused:UNUSED_PAD src0_sel:BYTE_3 src1_sel:DWORD
	v_and_b32_e32 v6, 0x7f800000, v3
	v_mov_b32_e32 v7, v53
	v_and_b32_e32 v52, 0x7fffff, v3
	v_or_b32_e32 v48, 0x7e, v4
	v_cmp_ne_u64_e32 vcc, s[40:41], v[6:7]
	s_and_saveexec_b64 s[20:21], vcc
	s_xor_b64 s[56:57], exec, s[20:21]
	s_cbranch_execz .LBB6_4005
; %bb.3996:                             ;   in Loop: Header=BB6_2967 Depth=2
	v_and_b32_e32 v6, 0x7fffffff, v3
	v_mov_b32_e32 v7, v53
	v_cmp_gt_u64_e32 vcc, s[42:43], v[6:7]
	s_and_saveexec_b64 s[58:59], vcc
	s_cbranch_execz .LBB6_4004
; %bb.3997:                             ;   in Loop: Header=BB6_2967 Depth=2
	v_cmp_ne_u32_e32 vcc, 0, v3
	v_mov_b32_e32 v48, 0
	s_and_saveexec_b64 s[60:61], vcc
	s_cbranch_execz .LBB6_4003
; %bb.3998:                             ;   in Loop: Header=BB6_2967 Depth=2
	v_bfe_u32 v2, v3, 23, 8
	v_sub_u32_e32 v5, 0x79, v2
	v_cmp_gt_u32_e32 vcc, s73, v2
	v_cndmask_b32_e32 v5, 0, v5, vcc
	v_cmp_eq_u32_e32 vcc, 0, v2
	v_or_b32_e32 v6, 0x800000, v52
	v_cndmask_b32_e32 v5, v5, v32, vcc
	v_add_u32_e32 v3, 0xffffff81, v2
	v_cndmask_b32_e32 v52, v6, v52, vcc
	v_add_u32_e32 v2, 20, v5
	v_cndmask_b32_e32 v10, v3, v33, vcc
	v_lshlrev_b64 v[2:3], v2, -1
	v_lshrrev_b64 v[8:9], v5, v[52:53]
	v_not_b32_e32 v3, v3
	v_not_b32_e32 v2, v2
	v_add_u32_e32 v6, 19, v5
	v_lshrrev_b32_e32 v11, 23, v8
	v_and_b32_e32 v3, 0, v3
	v_and_b32_e32 v2, v52, v2
	v_lshlrev_b64 v[6:7], v6, 1
	v_add3_u32 v11, v5, v10, v11
	v_bfe_u32 v5, v8, 20, 1
	v_add_u32_e32 v5, -1, v5
	v_cmp_eq_u64_e32 vcc, v[2:3], v[6:7]
	v_cndmask_b32_e32 v2, 0, v5, vcc
	v_add_u32_e32 v2, v2, v8
	v_and_b32_e32 v2, 0xfffff, v2
	v_add_co_u32_e32 v2, vcc, v2, v8
	v_add_u32_e32 v10, 6, v11
	v_addc_co_u32_e32 v3, vcc, 0, v9, vcc
	v_cmp_ne_u32_e32 vcc, 0, v10
                                        ; implicit-def: $vgpr5
	s_and_saveexec_b64 s[20:21], vcc
	s_xor_b64 s[20:21], exec, s[20:21]
; %bb.3999:                             ;   in Loop: Header=BB6_2967 Depth=2
	v_cmp_lt_u64_e32 vcc, s[46:47], v[2:3]
	v_add_u32_e32 v5, 7, v11
	v_cndmask_b32_e64 v6, 0, 1, vcc
	v_cndmask_b32_e32 v5, v10, v5, vcc
	v_lshrrev_b64 v[2:3], v6, v[2:3]
; %bb.4000:                             ;   in Loop: Header=BB6_2967 Depth=2
	s_andn2_saveexec_b64 s[20:21], s[20:21]
; %bb.4001:                             ;   in Loop: Header=BB6_2967 Depth=2
	v_bfe_u32 v5, v2, 23, 1
; %bb.4002:                             ;   in Loop: Header=BB6_2967 Depth=2
	s_or_b64 exec, exec, s[20:21]
	v_lshrrev_b64 v[2:3], 20, v[2:3]
	v_cmp_gt_i32_e32 vcc, 16, v5
	v_cndmask_b32_e32 v3, 0, v3, vcc
	v_cndmask_b32_e32 v2, 7, v2, vcc
	v_cmp_eq_u64_e64 s[20:21], 0, v[2:3]
	v_min_i32_e32 v3, 15, v5
	v_cmp_eq_u32_e32 vcc, 0, v5
	v_lshlrev_b32_e32 v3, 3, v3
	v_and_or_b32 v2, v2, 7, v3
	s_and_b64 s[20:21], vcc, s[20:21]
	v_cndmask_b32_e64 v2, v2, 0, s[20:21]
	v_or_b32_e32 v48, v2, v4
.LBB6_4003:                             ;   in Loop: Header=BB6_2967 Depth=2
	s_or_b64 exec, exec, s[60:61]
.LBB6_4004:                             ;   in Loop: Header=BB6_2967 Depth=2
	s_or_b64 exec, exec, s[58:59]
                                        ; implicit-def: $vgpr3
.LBB6_4005:                             ;   in Loop: Header=BB6_2967 Depth=2
	s_andn2_saveexec_b64 s[20:21], s[56:57]
; %bb.4006:                             ;   in Loop: Header=BB6_2967 Depth=2
	v_or_b32_sdwa v2, v3, s71 dst_sel:DWORD dst_unused:UNUSED_PAD src0_sel:BYTE_3 src1_sel:DWORD
	v_cmp_eq_u64_e32 vcc, 0, v[52:53]
	v_cndmask_b32_e32 v48, v2, v48, vcc
; %bb.4007:                             ;   in Loop: Header=BB6_2967 Depth=2
	s_or_b64 exec, exec, s[20:21]
	v_lshrrev_b32_e32 v10, 16, v16
	v_lshrrev_b32_e32 v2, 16, v12
	s_and_b64 vcc, exec, s[18:19]
	v_cmp_ne_u16_sdwa s[20:21], v10, v53 src0_sel:BYTE_0 src1_sel:DWORD
	s_cbranch_vccnz .LBB6_4021
; %bb.4008:                             ;   in Loop: Header=BB6_2967 Depth=2
	v_mov_b32_e32 v4, 0
	v_mov_b32_e32 v3, 0
	s_and_saveexec_b64 s[56:57], s[20:21]
	s_cbranch_execz .LBB6_4014
; %bb.4009:                             ;   in Loop: Header=BB6_2967 Depth=2
	v_cmp_ne_u16_sdwa vcc, v10, s69 src0_sel:BYTE_0 src1_sel:DWORD
	v_bfrev_b32_e32 v3, 1
	s_and_saveexec_b64 s[58:59], vcc
	s_cbranch_execz .LBB6_4013
; %bb.4010:                             ;   in Loop: Header=BB6_2967 Depth=2
	v_bfe_u32 v5, v16, 16, 7
	v_cmp_ne_u32_e32 vcc, s71, v5
	v_mov_b32_e32 v3, 0x7f800001
	s_and_saveexec_b64 s[60:61], vcc
	s_cbranch_execz .LBB6_4012
; %bb.4011:                             ;   in Loop: Header=BB6_2967 Depth=2
	v_and_b32_e32 v3, 7, v10
	v_ffbh_u32_e32 v6, v3
	v_min_u32_e32 v9, 32, v6
	v_subrev_u32_e32 v6, 28, v9
	v_lshlrev_b64 v[6:7], v6, v[10:11]
	v_lshrrev_b32_e32 v8, 3, v5
	v_sub_u32_e32 v7, 29, v9
	v_and_b32_e32 v6, 7, v6
	v_cmp_gt_u32_e32 vcc, 8, v5
	v_cndmask_b32_e32 v5, v8, v7, vcc
	v_cndmask_b32_e32 v3, v3, v6, vcc
	v_lshlrev_b32_e32 v6, 24, v10
	v_lshlrev_b32_e32 v3, 20, v3
	v_and_b32_e32 v6, 0x80000000, v6
	v_lshl_add_u32 v5, v5, 23, v61
	v_or3_b32 v3, v6, v5, v3
.LBB6_4012:                             ;   in Loop: Header=BB6_2967 Depth=2
	s_or_b64 exec, exec, s[60:61]
.LBB6_4013:                             ;   in Loop: Header=BB6_2967 Depth=2
	s_or_b64 exec, exec, s[58:59]
.LBB6_4014:                             ;   in Loop: Header=BB6_2967 Depth=2
	s_or_b64 exec, exec, s[56:57]
	v_cmp_ne_u16_sdwa vcc, v2, v53 src0_sel:BYTE_0 src1_sel:DWORD
	s_and_saveexec_b64 s[56:57], vcc
	s_cbranch_execz .LBB6_4020
; %bb.4015:                             ;   in Loop: Header=BB6_2967 Depth=2
	v_cmp_ne_u16_sdwa vcc, v2, s69 src0_sel:BYTE_0 src1_sel:DWORD
	v_bfrev_b32_e32 v4, 1
	s_and_saveexec_b64 s[58:59], vcc
	s_cbranch_execz .LBB6_4019
; %bb.4016:                             ;   in Loop: Header=BB6_2967 Depth=2
	v_bfe_u32 v5, v12, 16, 7
	v_cmp_ne_u32_e32 vcc, s71, v5
	v_mov_b32_e32 v4, 0x7f800001
	s_and_saveexec_b64 s[60:61], vcc
	s_cbranch_execz .LBB6_4018
; %bb.4017:                             ;   in Loop: Header=BB6_2967 Depth=2
	v_and_b32_e32 v4, 7, v2
	v_ffbh_u32_e32 v6, v4
	v_min_u32_e32 v9, 32, v6
	v_subrev_u32_e32 v6, 28, v9
	v_lshlrev_b64 v[6:7], v6, v[2:3]
	v_lshrrev_b32_e32 v8, 3, v5
	v_sub_u32_e32 v7, 29, v9
	v_and_b32_e32 v6, 7, v6
	v_cmp_gt_u32_e32 vcc, 8, v5
	v_cndmask_b32_e32 v5, v8, v7, vcc
	v_cndmask_b32_e32 v4, v4, v6, vcc
	v_lshlrev_b32_e32 v6, 24, v2
	v_lshlrev_b32_e32 v4, 20, v4
	v_and_b32_e32 v6, 0x80000000, v6
	v_lshl_add_u32 v5, v5, 23, v61
	v_or3_b32 v4, v6, v5, v4
.LBB6_4018:                             ;   in Loop: Header=BB6_2967 Depth=2
	s_or_b64 exec, exec, s[60:61]
.LBB6_4019:                             ;   in Loop: Header=BB6_2967 Depth=2
	s_or_b64 exec, exec, s[58:59]
.LBB6_4020:                             ;   in Loop: Header=BB6_2967 Depth=2
	s_or_b64 exec, exec, s[56:57]
	v_max_f32_e32 v4, v4, v4
	v_max_f32_e32 v3, v3, v3
	;; [unrolled: 1-line block ×3, first 2 shown]
	s_branch .LBB6_4035
.LBB6_4021:                             ;   in Loop: Header=BB6_2967 Depth=2
                                        ; implicit-def: $vgpr3
	s_cbranch_execz .LBB6_4035
; %bb.4022:                             ;   in Loop: Header=BB6_2967 Depth=2
	v_mov_b32_e32 v4, 0
	v_mov_b32_e32 v3, 0
	s_and_saveexec_b64 s[56:57], s[20:21]
	s_cbranch_execz .LBB6_4028
; %bb.4023:                             ;   in Loop: Header=BB6_2967 Depth=2
	v_cmp_ne_u16_sdwa vcc, v10, s69 src0_sel:BYTE_0 src1_sel:DWORD
	v_bfrev_b32_e32 v3, 1
	s_and_saveexec_b64 s[20:21], vcc
	s_cbranch_execz .LBB6_4027
; %bb.4024:                             ;   in Loop: Header=BB6_2967 Depth=2
	v_bfe_u32 v5, v16, 16, 7
	v_cmp_ne_u32_e32 vcc, s71, v5
	v_mov_b32_e32 v3, 0x7f800001
	s_and_saveexec_b64 s[58:59], vcc
	s_cbranch_execz .LBB6_4026
; %bb.4025:                             ;   in Loop: Header=BB6_2967 Depth=2
	v_and_b32_e32 v3, 7, v10
	v_ffbh_u32_e32 v6, v3
	v_min_u32_e32 v9, 32, v6
	v_subrev_u32_e32 v6, 28, v9
	v_lshlrev_b64 v[6:7], v6, v[10:11]
	v_lshrrev_b32_e32 v8, 3, v5
	v_sub_u32_e32 v7, 29, v9
	v_and_b32_e32 v6, 7, v6
	v_cmp_gt_u32_e32 vcc, 8, v5
	v_cndmask_b32_e32 v5, v8, v7, vcc
	v_cndmask_b32_e32 v3, v3, v6, vcc
	v_lshlrev_b32_e32 v6, 24, v10
	v_lshlrev_b32_e32 v3, 20, v3
	v_and_b32_e32 v6, 0x80000000, v6
	v_lshl_add_u32 v5, v5, 23, v61
	v_or3_b32 v3, v6, v5, v3
.LBB6_4026:                             ;   in Loop: Header=BB6_2967 Depth=2
	s_or_b64 exec, exec, s[58:59]
.LBB6_4027:                             ;   in Loop: Header=BB6_2967 Depth=2
	s_or_b64 exec, exec, s[20:21]
.LBB6_4028:                             ;   in Loop: Header=BB6_2967 Depth=2
	s_or_b64 exec, exec, s[56:57]
	v_cmp_ne_u16_sdwa vcc, v2, v53 src0_sel:BYTE_0 src1_sel:DWORD
	s_and_saveexec_b64 s[20:21], vcc
	s_cbranch_execz .LBB6_4034
; %bb.4029:                             ;   in Loop: Header=BB6_2967 Depth=2
	v_cmp_ne_u16_sdwa vcc, v2, s69 src0_sel:BYTE_0 src1_sel:DWORD
	v_bfrev_b32_e32 v4, 1
	s_and_saveexec_b64 s[56:57], vcc
	s_cbranch_execz .LBB6_4033
; %bb.4030:                             ;   in Loop: Header=BB6_2967 Depth=2
	v_bfe_u32 v5, v12, 16, 7
	v_cmp_ne_u32_e32 vcc, s71, v5
	v_mov_b32_e32 v4, 0x7f800001
	s_and_saveexec_b64 s[58:59], vcc
	s_cbranch_execz .LBB6_4032
; %bb.4031:                             ;   in Loop: Header=BB6_2967 Depth=2
	v_and_b32_e32 v4, 7, v2
	v_ffbh_u32_e32 v6, v4
	v_min_u32_e32 v9, 32, v6
	v_subrev_u32_e32 v6, 28, v9
	v_lshlrev_b64 v[6:7], v6, v[2:3]
	v_lshrrev_b32_e32 v8, 3, v5
	v_sub_u32_e32 v7, 29, v9
	v_and_b32_e32 v6, 7, v6
	v_cmp_gt_u32_e32 vcc, 8, v5
	v_cndmask_b32_e32 v5, v8, v7, vcc
	v_cndmask_b32_e32 v4, v4, v6, vcc
	v_lshlrev_b32_e32 v2, 24, v2
	v_lshlrev_b32_e32 v4, 20, v4
	v_and_b32_e32 v2, 0x80000000, v2
	v_lshl_add_u32 v5, v5, 23, v61
	v_or3_b32 v4, v2, v5, v4
.LBB6_4032:                             ;   in Loop: Header=BB6_2967 Depth=2
	s_or_b64 exec, exec, s[58:59]
.LBB6_4033:                             ;   in Loop: Header=BB6_2967 Depth=2
	s_or_b64 exec, exec, s[56:57]
.LBB6_4034:                             ;   in Loop: Header=BB6_2967 Depth=2
	s_or_b64 exec, exec, s[20:21]
	v_max_f32_e32 v2, v4, v4
	v_max_f32_e32 v3, v3, v3
	v_min_f32_e32 v3, v3, v2
.LBB6_4035:                             ;   in Loop: Header=BB6_2967 Depth=2
	v_and_b32_sdwa v4, v3, s69 dst_sel:DWORD dst_unused:UNUSED_PAD src0_sel:BYTE_3 src1_sel:DWORD
	v_and_b32_e32 v6, 0x7f800000, v3
	v_mov_b32_e32 v7, v53
	v_and_b32_e32 v52, 0x7fffff, v3
	v_or_b32_e32 v49, 0x7e, v4
	v_cmp_ne_u64_e32 vcc, s[40:41], v[6:7]
	s_and_saveexec_b64 s[20:21], vcc
	s_xor_b64 s[56:57], exec, s[20:21]
	s_cbranch_execz .LBB6_4045
; %bb.4036:                             ;   in Loop: Header=BB6_2967 Depth=2
	v_and_b32_e32 v6, 0x7fffffff, v3
	v_mov_b32_e32 v7, v53
	v_cmp_gt_u64_e32 vcc, s[42:43], v[6:7]
	s_and_saveexec_b64 s[58:59], vcc
	s_cbranch_execz .LBB6_4044
; %bb.4037:                             ;   in Loop: Header=BB6_2967 Depth=2
	v_cmp_ne_u32_e32 vcc, 0, v3
	v_mov_b32_e32 v49, 0
	s_and_saveexec_b64 s[60:61], vcc
	s_cbranch_execz .LBB6_4043
; %bb.4038:                             ;   in Loop: Header=BB6_2967 Depth=2
	v_bfe_u32 v2, v3, 23, 8
	v_sub_u32_e32 v5, 0x79, v2
	v_cmp_gt_u32_e32 vcc, s73, v2
	v_cndmask_b32_e32 v5, 0, v5, vcc
	v_cmp_eq_u32_e32 vcc, 0, v2
	v_or_b32_e32 v6, 0x800000, v52
	v_cndmask_b32_e32 v5, v5, v32, vcc
	v_add_u32_e32 v3, 0xffffff81, v2
	v_cndmask_b32_e32 v52, v6, v52, vcc
	v_add_u32_e32 v2, 20, v5
	v_cndmask_b32_e32 v10, v3, v33, vcc
	v_lshlrev_b64 v[2:3], v2, -1
	v_lshrrev_b64 v[8:9], v5, v[52:53]
	v_not_b32_e32 v3, v3
	v_not_b32_e32 v2, v2
	v_add_u32_e32 v6, 19, v5
	v_lshrrev_b32_e32 v11, 23, v8
	v_and_b32_e32 v3, 0, v3
	v_and_b32_e32 v2, v52, v2
	v_lshlrev_b64 v[6:7], v6, 1
	v_add3_u32 v11, v5, v10, v11
	v_bfe_u32 v5, v8, 20, 1
	v_add_u32_e32 v5, -1, v5
	v_cmp_eq_u64_e32 vcc, v[2:3], v[6:7]
	v_cndmask_b32_e32 v2, 0, v5, vcc
	v_add_u32_e32 v2, v2, v8
	v_and_b32_e32 v2, 0xfffff, v2
	v_add_co_u32_e32 v2, vcc, v2, v8
	v_add_u32_e32 v10, 6, v11
	v_addc_co_u32_e32 v3, vcc, 0, v9, vcc
	v_cmp_ne_u32_e32 vcc, 0, v10
                                        ; implicit-def: $vgpr5
	s_and_saveexec_b64 s[20:21], vcc
	s_xor_b64 s[20:21], exec, s[20:21]
; %bb.4039:                             ;   in Loop: Header=BB6_2967 Depth=2
	v_cmp_lt_u64_e32 vcc, s[46:47], v[2:3]
	v_add_u32_e32 v5, 7, v11
	v_cndmask_b32_e64 v6, 0, 1, vcc
	v_cndmask_b32_e32 v5, v10, v5, vcc
	v_lshrrev_b64 v[2:3], v6, v[2:3]
; %bb.4040:                             ;   in Loop: Header=BB6_2967 Depth=2
	s_andn2_saveexec_b64 s[20:21], s[20:21]
; %bb.4041:                             ;   in Loop: Header=BB6_2967 Depth=2
	v_bfe_u32 v5, v2, 23, 1
; %bb.4042:                             ;   in Loop: Header=BB6_2967 Depth=2
	s_or_b64 exec, exec, s[20:21]
	v_lshrrev_b64 v[2:3], 20, v[2:3]
	v_cmp_gt_i32_e32 vcc, 16, v5
	v_cndmask_b32_e32 v3, 0, v3, vcc
	v_cndmask_b32_e32 v2, 7, v2, vcc
	v_cmp_eq_u64_e64 s[20:21], 0, v[2:3]
	v_min_i32_e32 v3, 15, v5
	v_cmp_eq_u32_e32 vcc, 0, v5
	v_lshlrev_b32_e32 v3, 3, v3
	v_and_or_b32 v2, v2, 7, v3
	s_and_b64 s[20:21], vcc, s[20:21]
	v_cndmask_b32_e64 v2, v2, 0, s[20:21]
	v_or_b32_e32 v49, v2, v4
.LBB6_4043:                             ;   in Loop: Header=BB6_2967 Depth=2
	s_or_b64 exec, exec, s[60:61]
.LBB6_4044:                             ;   in Loop: Header=BB6_2967 Depth=2
	s_or_b64 exec, exec, s[58:59]
                                        ; implicit-def: $vgpr3
.LBB6_4045:                             ;   in Loop: Header=BB6_2967 Depth=2
	s_andn2_saveexec_b64 s[20:21], s[56:57]
; %bb.4046:                             ;   in Loop: Header=BB6_2967 Depth=2
	v_or_b32_sdwa v2, v3, s71 dst_sel:DWORD dst_unused:UNUSED_PAD src0_sel:BYTE_3 src1_sel:DWORD
	v_cmp_eq_u64_e32 vcc, 0, v[52:53]
	v_cndmask_b32_e32 v49, v2, v49, vcc
; %bb.4047:                             ;   in Loop: Header=BB6_2967 Depth=2
	s_or_b64 exec, exec, s[20:21]
	v_lshrrev_b32_e32 v10, 24, v16
	v_lshrrev_b32_e32 v2, 24, v12
	s_and_b64 vcc, exec, s[18:19]
	v_cmp_lt_u32_e64 s[20:21], s45, v16
	s_cbranch_vccnz .LBB6_4061
; %bb.4048:                             ;   in Loop: Header=BB6_2967 Depth=2
	v_mov_b32_e32 v4, 0
	v_mov_b32_e32 v3, 0
	s_and_saveexec_b64 s[56:57], s[20:21]
	s_cbranch_execz .LBB6_4054
; %bb.4049:                             ;   in Loop: Header=BB6_2967 Depth=2
	v_cmp_ne_u32_e32 vcc, s69, v10
	v_bfrev_b32_e32 v3, 1
	s_and_saveexec_b64 s[58:59], vcc
	s_cbranch_execz .LBB6_4053
; %bb.4050:                             ;   in Loop: Header=BB6_2967 Depth=2
	v_bfe_u32 v5, v16, 24, 7
	v_cmp_ne_u32_e32 vcc, s71, v5
	v_mov_b32_e32 v3, 0x7f800001
	s_and_saveexec_b64 s[60:61], vcc
	s_cbranch_execz .LBB6_4052
; %bb.4051:                             ;   in Loop: Header=BB6_2967 Depth=2
	v_and_b32_e32 v3, 7, v10
	v_ffbh_u32_e32 v6, v3
	v_min_u32_e32 v9, 32, v6
	v_subrev_u32_e32 v6, 28, v9
	v_lshlrev_b64 v[6:7], v6, v[10:11]
	v_lshrrev_b32_e32 v8, 3, v5
	v_sub_u32_e32 v7, 29, v9
	v_and_b32_e32 v6, 7, v6
	v_cmp_gt_u32_e32 vcc, 8, v5
	v_cndmask_b32_e32 v5, v8, v7, vcc
	v_cndmask_b32_e32 v3, v3, v6, vcc
	v_lshlrev_b32_e32 v6, 24, v10
	v_lshlrev_b32_e32 v3, 20, v3
	v_and_b32_e32 v6, 0x80000000, v6
	v_lshl_add_u32 v5, v5, 23, v61
	v_or3_b32 v3, v6, v5, v3
.LBB6_4052:                             ;   in Loop: Header=BB6_2967 Depth=2
	s_or_b64 exec, exec, s[60:61]
.LBB6_4053:                             ;   in Loop: Header=BB6_2967 Depth=2
	s_or_b64 exec, exec, s[58:59]
.LBB6_4054:                             ;   in Loop: Header=BB6_2967 Depth=2
	s_or_b64 exec, exec, s[56:57]
	v_cmp_lt_u32_e32 vcc, s45, v12
	s_and_saveexec_b64 s[56:57], vcc
	s_cbranch_execz .LBB6_4060
; %bb.4055:                             ;   in Loop: Header=BB6_2967 Depth=2
	v_cmp_ne_u32_e32 vcc, s69, v2
	v_bfrev_b32_e32 v4, 1
	s_and_saveexec_b64 s[58:59], vcc
	s_cbranch_execz .LBB6_4059
; %bb.4056:                             ;   in Loop: Header=BB6_2967 Depth=2
	v_bfe_u32 v5, v12, 24, 7
	v_cmp_ne_u32_e32 vcc, s71, v5
	v_mov_b32_e32 v4, 0x7f800001
	s_and_saveexec_b64 s[60:61], vcc
	s_cbranch_execz .LBB6_4058
; %bb.4057:                             ;   in Loop: Header=BB6_2967 Depth=2
	v_and_b32_e32 v4, 7, v2
	v_ffbh_u32_e32 v6, v4
	v_min_u32_e32 v9, 32, v6
	v_subrev_u32_e32 v6, 28, v9
	v_lshlrev_b64 v[6:7], v6, v[2:3]
	v_lshrrev_b32_e32 v8, 3, v5
	v_sub_u32_e32 v7, 29, v9
	v_and_b32_e32 v6, 7, v6
	v_cmp_gt_u32_e32 vcc, 8, v5
	v_cndmask_b32_e32 v5, v8, v7, vcc
	v_cndmask_b32_e32 v4, v4, v6, vcc
	v_lshlrev_b32_e32 v6, 24, v2
	v_lshlrev_b32_e32 v4, 20, v4
	v_and_b32_e32 v6, 0x80000000, v6
	v_lshl_add_u32 v5, v5, 23, v61
	v_or3_b32 v4, v6, v5, v4
.LBB6_4058:                             ;   in Loop: Header=BB6_2967 Depth=2
	s_or_b64 exec, exec, s[60:61]
.LBB6_4059:                             ;   in Loop: Header=BB6_2967 Depth=2
	s_or_b64 exec, exec, s[58:59]
.LBB6_4060:                             ;   in Loop: Header=BB6_2967 Depth=2
	s_or_b64 exec, exec, s[56:57]
	v_max_f32_e32 v4, v4, v4
	v_max_f32_e32 v3, v3, v3
	;; [unrolled: 1-line block ×3, first 2 shown]
	s_branch .LBB6_4075
.LBB6_4061:                             ;   in Loop: Header=BB6_2967 Depth=2
                                        ; implicit-def: $vgpr3
	s_cbranch_execz .LBB6_4075
; %bb.4062:                             ;   in Loop: Header=BB6_2967 Depth=2
	v_mov_b32_e32 v4, 0
	v_mov_b32_e32 v3, 0
	s_and_saveexec_b64 s[56:57], s[20:21]
	s_cbranch_execz .LBB6_4068
; %bb.4063:                             ;   in Loop: Header=BB6_2967 Depth=2
	v_cmp_ne_u32_e32 vcc, s69, v10
	v_bfrev_b32_e32 v3, 1
	s_and_saveexec_b64 s[20:21], vcc
	s_cbranch_execz .LBB6_4067
; %bb.4064:                             ;   in Loop: Header=BB6_2967 Depth=2
	v_bfe_u32 v5, v16, 24, 7
	v_cmp_ne_u32_e32 vcc, s71, v5
	v_mov_b32_e32 v3, 0x7f800001
	s_and_saveexec_b64 s[58:59], vcc
	s_cbranch_execz .LBB6_4066
; %bb.4065:                             ;   in Loop: Header=BB6_2967 Depth=2
	v_and_b32_e32 v3, 7, v10
	v_ffbh_u32_e32 v6, v3
	v_min_u32_e32 v9, 32, v6
	v_subrev_u32_e32 v6, 28, v9
	v_lshlrev_b64 v[6:7], v6, v[10:11]
	v_lshrrev_b32_e32 v8, 3, v5
	v_sub_u32_e32 v7, 29, v9
	v_and_b32_e32 v6, 7, v6
	v_cmp_gt_u32_e32 vcc, 8, v5
	v_cndmask_b32_e32 v5, v8, v7, vcc
	v_cndmask_b32_e32 v3, v3, v6, vcc
	v_lshlrev_b32_e32 v6, 24, v10
	v_lshlrev_b32_e32 v3, 20, v3
	v_and_b32_e32 v6, 0x80000000, v6
	v_lshl_add_u32 v5, v5, 23, v61
	v_or3_b32 v3, v6, v5, v3
.LBB6_4066:                             ;   in Loop: Header=BB6_2967 Depth=2
	s_or_b64 exec, exec, s[58:59]
.LBB6_4067:                             ;   in Loop: Header=BB6_2967 Depth=2
	s_or_b64 exec, exec, s[20:21]
.LBB6_4068:                             ;   in Loop: Header=BB6_2967 Depth=2
	s_or_b64 exec, exec, s[56:57]
	v_cmp_lt_u32_e32 vcc, s45, v12
	s_and_saveexec_b64 s[20:21], vcc
	s_cbranch_execz .LBB6_4074
; %bb.4069:                             ;   in Loop: Header=BB6_2967 Depth=2
	v_cmp_ne_u32_e32 vcc, s69, v2
	v_bfrev_b32_e32 v4, 1
	s_and_saveexec_b64 s[56:57], vcc
	s_cbranch_execz .LBB6_4073
; %bb.4070:                             ;   in Loop: Header=BB6_2967 Depth=2
	v_bfe_u32 v5, v12, 24, 7
	v_cmp_ne_u32_e32 vcc, s71, v5
	v_mov_b32_e32 v4, 0x7f800001
	s_and_saveexec_b64 s[58:59], vcc
	s_cbranch_execz .LBB6_4072
; %bb.4071:                             ;   in Loop: Header=BB6_2967 Depth=2
	v_and_b32_e32 v4, 7, v2
	v_ffbh_u32_e32 v6, v4
	v_min_u32_e32 v9, 32, v6
	v_subrev_u32_e32 v6, 28, v9
	v_lshlrev_b64 v[6:7], v6, v[2:3]
	v_lshrrev_b32_e32 v8, 3, v5
	v_sub_u32_e32 v7, 29, v9
	v_and_b32_e32 v6, 7, v6
	v_cmp_gt_u32_e32 vcc, 8, v5
	v_cndmask_b32_e32 v5, v8, v7, vcc
	v_cndmask_b32_e32 v4, v4, v6, vcc
	v_lshlrev_b32_e32 v2, 24, v2
	v_lshlrev_b32_e32 v4, 20, v4
	v_and_b32_e32 v2, 0x80000000, v2
	v_lshl_add_u32 v5, v5, 23, v61
	v_or3_b32 v4, v2, v5, v4
.LBB6_4072:                             ;   in Loop: Header=BB6_2967 Depth=2
	s_or_b64 exec, exec, s[58:59]
.LBB6_4073:                             ;   in Loop: Header=BB6_2967 Depth=2
	s_or_b64 exec, exec, s[56:57]
.LBB6_4074:                             ;   in Loop: Header=BB6_2967 Depth=2
	s_or_b64 exec, exec, s[20:21]
	v_max_f32_e32 v2, v4, v4
	v_max_f32_e32 v3, v3, v3
	v_min_f32_e32 v3, v3, v2
.LBB6_4075:                             ;   in Loop: Header=BB6_2967 Depth=2
	v_and_b32_sdwa v5, v3, s69 dst_sel:DWORD dst_unused:UNUSED_PAD src0_sel:BYTE_3 src1_sel:DWORD
	v_and_b32_e32 v6, 0x7f800000, v3
	v_mov_b32_e32 v7, v53
	v_and_b32_e32 v52, 0x7fffff, v3
	v_or_b32_e32 v4, 0x7e, v5
	v_cmp_ne_u64_e32 vcc, s[40:41], v[6:7]
	s_and_saveexec_b64 s[20:21], vcc
	s_xor_b64 s[56:57], exec, s[20:21]
	s_cbranch_execz .LBB6_4085
; %bb.4076:                             ;   in Loop: Header=BB6_2967 Depth=2
	v_and_b32_e32 v6, 0x7fffffff, v3
	v_mov_b32_e32 v7, v53
	v_cmp_gt_u64_e32 vcc, s[42:43], v[6:7]
	s_and_saveexec_b64 s[58:59], vcc
	s_cbranch_execz .LBB6_4084
; %bb.4077:                             ;   in Loop: Header=BB6_2967 Depth=2
	v_cmp_ne_u32_e32 vcc, 0, v3
	v_mov_b32_e32 v4, 0
	s_and_saveexec_b64 s[60:61], vcc
	s_cbranch_execz .LBB6_4083
; %bb.4078:                             ;   in Loop: Header=BB6_2967 Depth=2
	v_bfe_u32 v2, v3, 23, 8
	v_sub_u32_e32 v4, 0x79, v2
	v_cmp_gt_u32_e32 vcc, s73, v2
	v_cndmask_b32_e32 v4, 0, v4, vcc
	v_cmp_eq_u32_e32 vcc, 0, v2
	v_or_b32_e32 v6, 0x800000, v52
	v_cndmask_b32_e32 v4, v4, v32, vcc
	v_add_u32_e32 v3, 0xffffff81, v2
	v_cndmask_b32_e32 v52, v6, v52, vcc
	v_add_u32_e32 v2, 20, v4
	v_cndmask_b32_e32 v10, v3, v33, vcc
	v_lshlrev_b64 v[2:3], v2, -1
	v_lshrrev_b64 v[8:9], v4, v[52:53]
	v_not_b32_e32 v3, v3
	v_not_b32_e32 v2, v2
	v_add_u32_e32 v6, 19, v4
	v_lshrrev_b32_e32 v11, 23, v8
	v_and_b32_e32 v3, 0, v3
	v_and_b32_e32 v2, v52, v2
	v_lshlrev_b64 v[6:7], v6, 1
	v_add3_u32 v11, v4, v10, v11
	v_bfe_u32 v4, v8, 20, 1
	v_add_u32_e32 v4, -1, v4
	v_cmp_eq_u64_e32 vcc, v[2:3], v[6:7]
	v_cndmask_b32_e32 v2, 0, v4, vcc
	v_add_u32_e32 v2, v2, v8
	v_and_b32_e32 v2, 0xfffff, v2
	v_add_co_u32_e32 v2, vcc, v2, v8
	v_add_u32_e32 v10, 6, v11
	v_addc_co_u32_e32 v3, vcc, 0, v9, vcc
	v_cmp_ne_u32_e32 vcc, 0, v10
                                        ; implicit-def: $vgpr4
	s_and_saveexec_b64 s[20:21], vcc
	s_xor_b64 s[20:21], exec, s[20:21]
; %bb.4079:                             ;   in Loop: Header=BB6_2967 Depth=2
	v_cmp_lt_u64_e32 vcc, s[46:47], v[2:3]
	v_add_u32_e32 v4, 7, v11
	v_cndmask_b32_e64 v6, 0, 1, vcc
	v_cndmask_b32_e32 v4, v10, v4, vcc
	v_lshrrev_b64 v[2:3], v6, v[2:3]
; %bb.4080:                             ;   in Loop: Header=BB6_2967 Depth=2
	s_andn2_saveexec_b64 s[20:21], s[20:21]
; %bb.4081:                             ;   in Loop: Header=BB6_2967 Depth=2
	v_bfe_u32 v4, v2, 23, 1
; %bb.4082:                             ;   in Loop: Header=BB6_2967 Depth=2
	s_or_b64 exec, exec, s[20:21]
	v_lshrrev_b64 v[2:3], 20, v[2:3]
	v_cmp_gt_i32_e32 vcc, 16, v4
	v_cndmask_b32_e32 v3, 0, v3, vcc
	v_cndmask_b32_e32 v2, 7, v2, vcc
	v_cmp_eq_u64_e64 s[20:21], 0, v[2:3]
	v_min_i32_e32 v3, 15, v4
	v_cmp_eq_u32_e32 vcc, 0, v4
	v_lshlrev_b32_e32 v3, 3, v3
	v_and_or_b32 v2, v2, 7, v3
	s_and_b64 s[20:21], vcc, s[20:21]
	v_cndmask_b32_e64 v2, v2, 0, s[20:21]
	v_or_b32_e32 v4, v2, v5
.LBB6_4083:                             ;   in Loop: Header=BB6_2967 Depth=2
	s_or_b64 exec, exec, s[60:61]
.LBB6_4084:                             ;   in Loop: Header=BB6_2967 Depth=2
	s_or_b64 exec, exec, s[58:59]
                                        ; implicit-def: $vgpr3
.LBB6_4085:                             ;   in Loop: Header=BB6_2967 Depth=2
	s_andn2_saveexec_b64 s[20:21], s[56:57]
; %bb.4086:                             ;   in Loop: Header=BB6_2967 Depth=2
	v_or_b32_sdwa v2, v3, s71 dst_sel:DWORD dst_unused:UNUSED_PAD src0_sel:BYTE_3 src1_sel:DWORD
	v_cmp_eq_u64_e32 vcc, 0, v[52:53]
	v_cndmask_b32_e32 v4, v2, v4, vcc
; %bb.4087:                             ;   in Loop: Header=BB6_2967 Depth=2
	s_or_b64 exec, exec, s[20:21]
	v_mov_b32_e32 v52, v17
	v_mov_b32_e32 v2, v13
	;; [unrolled: 1-line block ×3, first 2 shown]
	s_and_b64 vcc, exec, s[18:19]
	v_cmp_ne_u16_sdwa s[20:21], v17, v53 src0_sel:BYTE_0 src1_sel:DWORD
	s_cbranch_vccnz .LBB6_4101
; %bb.4088:                             ;   in Loop: Header=BB6_2967 Depth=2
	v_mov_b32_e32 v10, 0
	v_mov_b32_e32 v5, 0
	s_and_saveexec_b64 s[56:57], s[20:21]
	s_cbranch_execz .LBB6_4094
; %bb.4089:                             ;   in Loop: Header=BB6_2967 Depth=2
	v_cmp_ne_u16_sdwa vcc, v17, s69 src0_sel:BYTE_0 src1_sel:DWORD
	v_bfrev_b32_e32 v5, 1
	s_and_saveexec_b64 s[58:59], vcc
	s_cbranch_execz .LBB6_4093
; %bb.4090:                             ;   in Loop: Header=BB6_2967 Depth=2
	v_and_b32_e32 v11, 0x7f, v17
	v_cmp_ne_u32_e32 vcc, s71, v11
	v_mov_b32_e32 v5, 0x7f800001
	s_and_saveexec_b64 s[60:61], vcc
	s_cbranch_execz .LBB6_4092
; %bb.4091:                             ;   in Loop: Header=BB6_2967 Depth=2
	v_and_b32_e32 v5, 7, v17
	v_ffbh_u32_e32 v5, v5
	v_min_u32_e32 v5, 32, v5
	v_lshrrev_b32_e32 v6, 3, v11
	v_subrev_u32_e32 v7, 28, v5
	v_sub_u32_e32 v5, 29, v5
	v_cmp_gt_u32_e32 vcc, 8, v11
	v_cndmask_b32_e32 v5, v6, v5, vcc
	v_cndmask_b32_e32 v6, 0, v7, vcc
	v_lshlrev_b64 v[6:7], v6, v[52:53]
	v_lshlrev_b32_e32 v6, 20, v6
	v_lshlrev_b32_e32 v7, 24, v52
	v_and_b32_e32 v6, 0x700000, v6
	v_and_b32_e32 v7, 0x80000000, v7
	v_lshl_add_u32 v5, v5, 23, v61
	v_or3_b32 v5, v7, v5, v6
.LBB6_4092:                             ;   in Loop: Header=BB6_2967 Depth=2
	s_or_b64 exec, exec, s[60:61]
.LBB6_4093:                             ;   in Loop: Header=BB6_2967 Depth=2
	s_or_b64 exec, exec, s[58:59]
.LBB6_4094:                             ;   in Loop: Header=BB6_2967 Depth=2
	s_or_b64 exec, exec, s[56:57]
	v_cmp_ne_u16_sdwa vcc, v13, v53 src0_sel:BYTE_0 src1_sel:DWORD
	s_and_saveexec_b64 s[56:57], vcc
	s_cbranch_execz .LBB6_4100
; %bb.4095:                             ;   in Loop: Header=BB6_2967 Depth=2
	v_cmp_ne_u16_sdwa vcc, v13, s69 src0_sel:BYTE_0 src1_sel:DWORD
	v_bfrev_b32_e32 v10, 1
	s_and_saveexec_b64 s[58:59], vcc
	s_cbranch_execz .LBB6_4099
; %bb.4096:                             ;   in Loop: Header=BB6_2967 Depth=2
	v_and_b32_e32 v11, 0x7f, v13
	v_cmp_ne_u32_e32 vcc, s71, v11
	v_mov_b32_e32 v10, 0x7f800001
	s_and_saveexec_b64 s[60:61], vcc
	s_cbranch_execz .LBB6_4098
; %bb.4097:                             ;   in Loop: Header=BB6_2967 Depth=2
	v_and_b32_e32 v6, 7, v13
	v_ffbh_u32_e32 v6, v6
	v_min_u32_e32 v6, 32, v6
	v_lshrrev_b32_e32 v7, 3, v11
	v_subrev_u32_e32 v8, 28, v6
	v_sub_u32_e32 v6, 29, v6
	v_cmp_gt_u32_e32 vcc, 8, v11
	v_cndmask_b32_e32 v9, v7, v6, vcc
	v_cndmask_b32_e32 v6, 0, v8, vcc
	v_lshlrev_b64 v[6:7], v6, v[2:3]
	v_lshlrev_b32_e32 v6, 20, v6
	v_lshlrev_b32_e32 v7, 24, v2
	v_and_b32_e32 v6, 0x700000, v6
	v_and_b32_e32 v7, 0x80000000, v7
	v_lshl_add_u32 v8, v9, 23, v61
	v_or3_b32 v10, v7, v8, v6
.LBB6_4098:                             ;   in Loop: Header=BB6_2967 Depth=2
	s_or_b64 exec, exec, s[60:61]
.LBB6_4099:                             ;   in Loop: Header=BB6_2967 Depth=2
	s_or_b64 exec, exec, s[58:59]
.LBB6_4100:                             ;   in Loop: Header=BB6_2967 Depth=2
	s_or_b64 exec, exec, s[56:57]
	v_max_f32_e32 v6, v10, v10
	v_max_f32_e32 v5, v5, v5
	;; [unrolled: 1-line block ×3, first 2 shown]
	s_branch .LBB6_4115
.LBB6_4101:                             ;   in Loop: Header=BB6_2967 Depth=2
                                        ; implicit-def: $vgpr14
	s_cbranch_execz .LBB6_4115
; %bb.4102:                             ;   in Loop: Header=BB6_2967 Depth=2
	v_mov_b32_e32 v10, 0
	v_mov_b32_e32 v5, 0
	s_and_saveexec_b64 s[56:57], s[20:21]
	s_cbranch_execz .LBB6_4108
; %bb.4103:                             ;   in Loop: Header=BB6_2967 Depth=2
	v_cmp_ne_u16_sdwa vcc, v17, s69 src0_sel:BYTE_0 src1_sel:DWORD
	v_bfrev_b32_e32 v5, 1
	s_and_saveexec_b64 s[20:21], vcc
	s_cbranch_execz .LBB6_4107
; %bb.4104:                             ;   in Loop: Header=BB6_2967 Depth=2
	v_and_b32_e32 v11, 0x7f, v17
	v_cmp_ne_u32_e32 vcc, s71, v11
	v_mov_b32_e32 v5, 0x7f800001
	s_and_saveexec_b64 s[58:59], vcc
	s_cbranch_execz .LBB6_4106
; %bb.4105:                             ;   in Loop: Header=BB6_2967 Depth=2
	v_and_b32_e32 v5, 7, v17
	v_ffbh_u32_e32 v5, v5
	v_min_u32_e32 v5, 32, v5
	v_lshrrev_b32_e32 v6, 3, v11
	v_subrev_u32_e32 v7, 28, v5
	v_sub_u32_e32 v5, 29, v5
	v_cmp_gt_u32_e32 vcc, 8, v11
	v_cndmask_b32_e32 v5, v6, v5, vcc
	v_cndmask_b32_e32 v6, 0, v7, vcc
	v_lshlrev_b64 v[6:7], v6, v[52:53]
	v_lshlrev_b32_e32 v6, 20, v6
	v_lshlrev_b32_e32 v7, 24, v52
	v_and_b32_e32 v6, 0x700000, v6
	v_and_b32_e32 v7, 0x80000000, v7
	v_lshl_add_u32 v5, v5, 23, v61
	v_or3_b32 v5, v7, v5, v6
.LBB6_4106:                             ;   in Loop: Header=BB6_2967 Depth=2
	s_or_b64 exec, exec, s[58:59]
.LBB6_4107:                             ;   in Loop: Header=BB6_2967 Depth=2
	s_or_b64 exec, exec, s[20:21]
.LBB6_4108:                             ;   in Loop: Header=BB6_2967 Depth=2
	s_or_b64 exec, exec, s[56:57]
	v_cmp_ne_u16_sdwa vcc, v13, v53 src0_sel:BYTE_0 src1_sel:DWORD
	s_and_saveexec_b64 s[20:21], vcc
	s_cbranch_execz .LBB6_4114
; %bb.4109:                             ;   in Loop: Header=BB6_2967 Depth=2
	v_cmp_ne_u16_sdwa vcc, v13, s69 src0_sel:BYTE_0 src1_sel:DWORD
	v_bfrev_b32_e32 v10, 1
	s_and_saveexec_b64 s[56:57], vcc
	s_cbranch_execz .LBB6_4113
; %bb.4110:                             ;   in Loop: Header=BB6_2967 Depth=2
	v_and_b32_e32 v11, 0x7f, v13
	v_cmp_ne_u32_e32 vcc, s71, v11
	v_mov_b32_e32 v10, 0x7f800001
	s_and_saveexec_b64 s[58:59], vcc
	s_cbranch_execz .LBB6_4112
; %bb.4111:                             ;   in Loop: Header=BB6_2967 Depth=2
	v_and_b32_e32 v6, 7, v13
	v_ffbh_u32_e32 v6, v6
	v_min_u32_e32 v6, 32, v6
	v_lshrrev_b32_e32 v7, 3, v11
	v_subrev_u32_e32 v8, 28, v6
	v_sub_u32_e32 v6, 29, v6
	v_cmp_gt_u32_e32 vcc, 8, v11
	v_cndmask_b32_e32 v9, v7, v6, vcc
	v_cndmask_b32_e32 v6, 0, v8, vcc
	v_lshlrev_b64 v[6:7], v6, v[2:3]
	v_lshlrev_b32_e32 v3, 20, v6
	v_lshlrev_b32_e32 v6, 24, v2
	v_and_b32_e32 v3, 0x700000, v3
	v_and_b32_e32 v6, 0x80000000, v6
	v_lshl_add_u32 v7, v9, 23, v61
	v_or3_b32 v10, v6, v7, v3
.LBB6_4112:                             ;   in Loop: Header=BB6_2967 Depth=2
	s_or_b64 exec, exec, s[58:59]
.LBB6_4113:                             ;   in Loop: Header=BB6_2967 Depth=2
	s_or_b64 exec, exec, s[56:57]
.LBB6_4114:                             ;   in Loop: Header=BB6_2967 Depth=2
	s_or_b64 exec, exec, s[20:21]
	v_max_f32_e32 v3, v10, v10
	v_max_f32_e32 v5, v5, v5
	v_min_f32_e32 v14, v5, v3
.LBB6_4115:                             ;   in Loop: Header=BB6_2967 Depth=2
	v_and_b32_sdwa v3, v14, s69 dst_sel:DWORD dst_unused:UNUSED_PAD src0_sel:BYTE_3 src1_sel:DWORD
	v_and_b32_e32 v6, 0x7f800000, v14
	v_mov_b32_e32 v7, v53
	v_and_b32_e32 v10, 0x7fffff, v14
	v_mov_b32_e32 v11, v53
	v_or_b32_e32 v5, 0x7e, v3
	v_cmp_ne_u64_e32 vcc, s[40:41], v[6:7]
	s_and_saveexec_b64 s[20:21], vcc
	s_xor_b64 s[56:57], exec, s[20:21]
	s_cbranch_execz .LBB6_4125
; %bb.4116:                             ;   in Loop: Header=BB6_2967 Depth=2
	v_and_b32_e32 v6, 0x7fffffff, v14
	v_mov_b32_e32 v7, v53
	v_cmp_gt_u64_e32 vcc, s[42:43], v[6:7]
	s_and_saveexec_b64 s[58:59], vcc
	s_cbranch_execz .LBB6_4124
; %bb.4117:                             ;   in Loop: Header=BB6_2967 Depth=2
	v_cmp_ne_u32_e32 vcc, 0, v14
	v_mov_b32_e32 v5, 0
	s_and_saveexec_b64 s[60:61], vcc
	s_cbranch_execz .LBB6_4123
; %bb.4118:                             ;   in Loop: Header=BB6_2967 Depth=2
	v_bfe_u32 v5, v14, 23, 8
	v_sub_u32_e32 v7, 0x79, v5
	v_cmp_gt_u32_e32 vcc, s73, v5
	v_cndmask_b32_e32 v7, 0, v7, vcc
	v_cmp_eq_u32_e32 vcc, 0, v5
	v_add_u32_e32 v6, 0xffffff81, v5
	v_cndmask_b32_e32 v14, v7, v32, vcc
	v_cndmask_b32_e32 v5, v6, v33, vcc
	v_add_u32_e32 v6, 20, v14
	v_or_b32_e32 v8, 0x800000, v10
	v_lshlrev_b64 v[6:7], v6, -1
	v_cndmask_b32_e32 v10, v8, v10, vcc
	v_not_b32_e32 v6, v6
	v_and_b32_e32 v6, v10, v6
	v_lshrrev_b64 v[10:11], v14, v[10:11]
	v_not_b32_e32 v7, v7
	v_add_u32_e32 v8, 19, v14
	v_lshrrev_b32_e32 v32, 23, v10
	v_and_b32_e32 v7, 0, v7
	v_lshlrev_b64 v[8:9], v8, 1
	v_add3_u32 v38, v14, v5, v32
	v_bfe_u32 v5, v10, 20, 1
	v_add_u32_e32 v5, -1, v5
	v_cmp_eq_u64_e32 vcc, v[6:7], v[8:9]
	v_cndmask_b32_e32 v5, 0, v5, vcc
	v_add_u32_e32 v5, v5, v10
	v_and_b32_e32 v5, 0xfffff, v5
	v_add_co_u32_e32 v10, vcc, v5, v10
	v_add_u32_e32 v14, 6, v38
	v_addc_co_u32_e32 v11, vcc, 0, v11, vcc
	v_cmp_ne_u32_e32 vcc, 0, v14
                                        ; implicit-def: $vgpr5
	s_and_saveexec_b64 s[20:21], vcc
	s_xor_b64 s[20:21], exec, s[20:21]
; %bb.4119:                             ;   in Loop: Header=BB6_2967 Depth=2
	v_cmp_lt_u64_e32 vcc, s[46:47], v[10:11]
	v_add_u32_e32 v5, 7, v38
	v_cndmask_b32_e64 v6, 0, 1, vcc
	v_cndmask_b32_e32 v5, v14, v5, vcc
	v_lshrrev_b64 v[10:11], v6, v[10:11]
; %bb.4120:                             ;   in Loop: Header=BB6_2967 Depth=2
	s_andn2_saveexec_b64 s[20:21], s[20:21]
; %bb.4121:                             ;   in Loop: Header=BB6_2967 Depth=2
	v_bfe_u32 v5, v10, 23, 1
; %bb.4122:                             ;   in Loop: Header=BB6_2967 Depth=2
	s_or_b64 exec, exec, s[20:21]
	v_lshrrev_b64 v[6:7], 20, v[10:11]
	v_cmp_gt_i32_e32 vcc, 16, v5
	v_cndmask_b32_e32 v7, 0, v7, vcc
	v_cndmask_b32_e32 v6, 7, v6, vcc
	v_cmp_eq_u32_e32 vcc, 0, v5
	v_min_i32_e32 v5, 15, v5
	v_cmp_eq_u64_e64 s[20:21], 0, v[6:7]
	v_lshlrev_b32_e32 v5, 3, v5
	v_and_or_b32 v5, v6, 7, v5
	s_and_b64 s[20:21], vcc, s[20:21]
	v_cndmask_b32_e64 v5, v5, 0, s[20:21]
	v_or_b32_e32 v5, v5, v3
	v_mov_b32_e32 v32, 0x78
.LBB6_4123:                             ;   in Loop: Header=BB6_2967 Depth=2
	s_or_b64 exec, exec, s[60:61]
.LBB6_4124:                             ;   in Loop: Header=BB6_2967 Depth=2
	s_or_b64 exec, exec, s[58:59]
                                        ; implicit-def: $vgpr14
                                        ; implicit-def: $vgpr10_vgpr11
.LBB6_4125:                             ;   in Loop: Header=BB6_2967 Depth=2
	s_andn2_saveexec_b64 s[20:21], s[56:57]
; %bb.4126:                             ;   in Loop: Header=BB6_2967 Depth=2
	v_or_b32_sdwa v3, v14, s71 dst_sel:DWORD dst_unused:UNUSED_PAD src0_sel:BYTE_3 src1_sel:DWORD
	v_cmp_eq_u64_e32 vcc, 0, v[10:11]
	v_cndmask_b32_e32 v5, v3, v5, vcc
; %bb.4127:                             ;   in Loop: Header=BB6_2967 Depth=2
	s_or_b64 exec, exec, s[20:21]
	v_lshrrev_b16_e32 v14, 8, v52
	v_lshrrev_b16_e32 v10, 8, v2
	s_and_b64 vcc, exec, s[18:19]
	v_cmp_ne_u16_e64 s[20:21], 0, v14
	s_cbranch_vccnz .LBB6_4141
; %bb.4128:                             ;   in Loop: Header=BB6_2967 Depth=2
	v_mov_b32_e32 v11, 0
	v_mov_b32_e32 v3, 0
	s_and_saveexec_b64 s[56:57], s[20:21]
	s_cbranch_execz .LBB6_4134
; %bb.4129:                             ;   in Loop: Header=BB6_2967 Depth=2
	v_cmp_ne_u16_e32 vcc, s69, v14
	v_bfrev_b32_e32 v3, 1
	s_and_saveexec_b64 s[58:59], vcc
	s_cbranch_execz .LBB6_4133
; %bb.4130:                             ;   in Loop: Header=BB6_2967 Depth=2
	v_and_b32_e32 v38, 0x7f, v14
	v_cmp_ne_u32_e32 vcc, s71, v38
	v_mov_b32_e32 v3, 0x7f800001
	s_and_saveexec_b64 s[60:61], vcc
	s_cbranch_execz .LBB6_4132
; %bb.4131:                             ;   in Loop: Header=BB6_2967 Depth=2
	v_and_b32_e32 v3, 7, v14
	v_ffbh_u32_e32 v6, v3
	v_min_u32_e32 v9, 32, v6
	v_subrev_u32_e32 v6, 28, v9
	v_lshlrev_b64 v[6:7], v6, v[14:15]
	v_lshrrev_b32_e32 v8, 3, v38
	v_sub_u32_e32 v7, 29, v9
	v_and_b32_e32 v6, 7, v6
	v_cmp_gt_u32_e32 vcc, 8, v38
	v_cndmask_b32_e32 v7, v8, v7, vcc
	v_cndmask_b32_e32 v3, v3, v6, vcc
	v_lshlrev_b32_e32 v6, 16, v52
	v_lshlrev_b32_e32 v3, 20, v3
	v_and_b32_e32 v6, 0x80000000, v6
	v_lshl_add_u32 v7, v7, 23, v61
	v_or3_b32 v3, v6, v7, v3
.LBB6_4132:                             ;   in Loop: Header=BB6_2967 Depth=2
	s_or_b64 exec, exec, s[60:61]
.LBB6_4133:                             ;   in Loop: Header=BB6_2967 Depth=2
	s_or_b64 exec, exec, s[58:59]
.LBB6_4134:                             ;   in Loop: Header=BB6_2967 Depth=2
	s_or_b64 exec, exec, s[56:57]
	v_cmp_ne_u16_e32 vcc, 0, v10
	s_and_saveexec_b64 s[56:57], vcc
	s_cbranch_execz .LBB6_4140
; %bb.4135:                             ;   in Loop: Header=BB6_2967 Depth=2
	v_cmp_ne_u16_e32 vcc, s69, v10
	v_bfrev_b32_e32 v11, 1
	s_and_saveexec_b64 s[58:59], vcc
	s_cbranch_execz .LBB6_4139
; %bb.4136:                             ;   in Loop: Header=BB6_2967 Depth=2
	v_and_b32_e32 v38, 0x7f, v10
	v_cmp_ne_u32_e32 vcc, s71, v38
	v_mov_b32_e32 v11, 0x7f800001
	s_and_saveexec_b64 s[60:61], vcc
	s_cbranch_execz .LBB6_4138
; %bb.4137:                             ;   in Loop: Header=BB6_2967 Depth=2
	v_and_b32_e32 v8, 7, v10
	v_ffbh_u32_e32 v6, v8
	v_min_u32_e32 v11, 32, v6
	v_subrev_u32_e32 v6, 28, v11
	v_lshlrev_b64 v[6:7], v6, v[10:11]
	v_lshrrev_b32_e32 v9, 3, v38
	v_sub_u32_e32 v7, 29, v11
	v_and_b32_e32 v6, 7, v6
	v_cmp_gt_u32_e32 vcc, 8, v38
	v_cndmask_b32_e32 v7, v9, v7, vcc
	v_cndmask_b32_e32 v6, v8, v6, vcc
	v_lshlrev_b32_e32 v8, 16, v2
	v_lshlrev_b32_e32 v6, 20, v6
	v_and_b32_e32 v8, 0x80000000, v8
	v_lshl_add_u32 v7, v7, 23, v61
	v_or3_b32 v11, v8, v7, v6
.LBB6_4138:                             ;   in Loop: Header=BB6_2967 Depth=2
	s_or_b64 exec, exec, s[60:61]
.LBB6_4139:                             ;   in Loop: Header=BB6_2967 Depth=2
	s_or_b64 exec, exec, s[58:59]
.LBB6_4140:                             ;   in Loop: Header=BB6_2967 Depth=2
	s_or_b64 exec, exec, s[56:57]
	v_max_f32_e32 v6, v11, v11
	v_max_f32_e32 v3, v3, v3
	;; [unrolled: 1-line block ×3, first 2 shown]
	s_branch .LBB6_4155
.LBB6_4141:                             ;   in Loop: Header=BB6_2967 Depth=2
                                        ; implicit-def: $vgpr3
	s_cbranch_execz .LBB6_4155
; %bb.4142:                             ;   in Loop: Header=BB6_2967 Depth=2
	v_mov_b32_e32 v11, 0
	v_mov_b32_e32 v3, 0
	s_and_saveexec_b64 s[56:57], s[20:21]
	s_cbranch_execz .LBB6_4148
; %bb.4143:                             ;   in Loop: Header=BB6_2967 Depth=2
	v_cmp_ne_u16_e32 vcc, s69, v14
	v_bfrev_b32_e32 v3, 1
	s_and_saveexec_b64 s[20:21], vcc
	s_cbranch_execz .LBB6_4147
; %bb.4144:                             ;   in Loop: Header=BB6_2967 Depth=2
	v_and_b32_e32 v38, 0x7f, v14
	v_cmp_ne_u32_e32 vcc, s71, v38
	v_mov_b32_e32 v3, 0x7f800001
	s_and_saveexec_b64 s[58:59], vcc
	s_cbranch_execz .LBB6_4146
; %bb.4145:                             ;   in Loop: Header=BB6_2967 Depth=2
	v_and_b32_e32 v3, 7, v14
	v_ffbh_u32_e32 v6, v3
	v_min_u32_e32 v9, 32, v6
	v_subrev_u32_e32 v6, 28, v9
	v_lshlrev_b64 v[6:7], v6, v[14:15]
	v_lshrrev_b32_e32 v8, 3, v38
	v_sub_u32_e32 v7, 29, v9
	v_and_b32_e32 v6, 7, v6
	v_cmp_gt_u32_e32 vcc, 8, v38
	v_cndmask_b32_e32 v7, v8, v7, vcc
	v_cndmask_b32_e32 v3, v3, v6, vcc
	v_lshlrev_b32_e32 v6, 16, v52
	v_lshlrev_b32_e32 v3, 20, v3
	v_and_b32_e32 v6, 0x80000000, v6
	v_lshl_add_u32 v7, v7, 23, v61
	v_or3_b32 v3, v6, v7, v3
.LBB6_4146:                             ;   in Loop: Header=BB6_2967 Depth=2
	s_or_b64 exec, exec, s[58:59]
.LBB6_4147:                             ;   in Loop: Header=BB6_2967 Depth=2
	s_or_b64 exec, exec, s[20:21]
.LBB6_4148:                             ;   in Loop: Header=BB6_2967 Depth=2
	s_or_b64 exec, exec, s[56:57]
	v_cmp_ne_u16_e32 vcc, 0, v10
	s_and_saveexec_b64 s[20:21], vcc
	s_cbranch_execz .LBB6_4154
; %bb.4149:                             ;   in Loop: Header=BB6_2967 Depth=2
	v_cmp_ne_u16_e32 vcc, s69, v10
	v_bfrev_b32_e32 v11, 1
	s_and_saveexec_b64 s[56:57], vcc
	s_cbranch_execz .LBB6_4153
; %bb.4150:                             ;   in Loop: Header=BB6_2967 Depth=2
	v_and_b32_e32 v14, 0x7f, v10
	v_cmp_ne_u32_e32 vcc, s71, v14
	v_mov_b32_e32 v11, 0x7f800001
	s_and_saveexec_b64 s[58:59], vcc
	s_cbranch_execz .LBB6_4152
; %bb.4151:                             ;   in Loop: Header=BB6_2967 Depth=2
	v_and_b32_e32 v8, 7, v10
	v_ffbh_u32_e32 v6, v8
	v_min_u32_e32 v11, 32, v6
	v_subrev_u32_e32 v6, 28, v11
	v_lshlrev_b64 v[6:7], v6, v[10:11]
	v_lshrrev_b32_e32 v9, 3, v14
	v_sub_u32_e32 v7, 29, v11
	v_and_b32_e32 v6, 7, v6
	v_cmp_gt_u32_e32 vcc, 8, v14
	v_cndmask_b32_e32 v7, v9, v7, vcc
	v_cndmask_b32_e32 v6, v8, v6, vcc
	v_lshlrev_b32_e32 v2, 16, v2
	v_lshlrev_b32_e32 v6, 20, v6
	v_and_b32_e32 v2, 0x80000000, v2
	v_lshl_add_u32 v7, v7, 23, v61
	v_or3_b32 v11, v2, v7, v6
.LBB6_4152:                             ;   in Loop: Header=BB6_2967 Depth=2
	s_or_b64 exec, exec, s[58:59]
.LBB6_4153:                             ;   in Loop: Header=BB6_2967 Depth=2
	s_or_b64 exec, exec, s[56:57]
.LBB6_4154:                             ;   in Loop: Header=BB6_2967 Depth=2
	s_or_b64 exec, exec, s[20:21]
	v_max_f32_e32 v2, v11, v11
	v_max_f32_e32 v3, v3, v3
	v_min_f32_e32 v3, v3, v2
.LBB6_4155:                             ;   in Loop: Header=BB6_2967 Depth=2
	v_and_b32_sdwa v10, v3, s69 dst_sel:DWORD dst_unused:UNUSED_PAD src0_sel:BYTE_3 src1_sel:DWORD
	v_and_b32_e32 v6, 0x7f800000, v3
	v_mov_b32_e32 v7, v53
	v_and_b32_e32 v52, 0x7fffff, v3
	v_or_b32_e32 v11, 0x7e, v10
	v_cmp_ne_u64_e32 vcc, s[40:41], v[6:7]
	s_and_saveexec_b64 s[20:21], vcc
	s_xor_b64 s[56:57], exec, s[20:21]
	s_cbranch_execz .LBB6_4165
; %bb.4156:                             ;   in Loop: Header=BB6_2967 Depth=2
	v_and_b32_e32 v6, 0x7fffffff, v3
	v_mov_b32_e32 v7, v53
	v_cmp_gt_u64_e32 vcc, s[42:43], v[6:7]
	s_and_saveexec_b64 s[58:59], vcc
	s_cbranch_execz .LBB6_4164
; %bb.4157:                             ;   in Loop: Header=BB6_2967 Depth=2
	v_cmp_ne_u32_e32 vcc, 0, v3
	v_mov_b32_e32 v11, 0
	s_and_saveexec_b64 s[60:61], vcc
	s_cbranch_execz .LBB6_4163
; %bb.4158:                             ;   in Loop: Header=BB6_2967 Depth=2
	v_bfe_u32 v2, v3, 23, 8
	v_sub_u32_e32 v6, 0x79, v2
	v_cmp_gt_u32_e32 vcc, s73, v2
	v_cndmask_b32_e32 v6, 0, v6, vcc
	v_cmp_eq_u32_e32 vcc, 0, v2
	v_or_b32_e32 v7, 0x800000, v52
	v_cndmask_b32_e32 v14, v6, v32, vcc
	v_add_u32_e32 v3, 0xffffff81, v2
	v_cndmask_b32_e32 v52, v7, v52, vcc
	v_add_u32_e32 v2, 20, v14
	v_cndmask_b32_e32 v11, v3, v33, vcc
	v_lshlrev_b64 v[2:3], v2, -1
	v_lshrrev_b64 v[8:9], v14, v[52:53]
	v_not_b32_e32 v3, v3
	v_not_b32_e32 v2, v2
	v_add_u32_e32 v6, 19, v14
	v_lshrrev_b32_e32 v32, 23, v8
	v_and_b32_e32 v3, 0, v3
	v_and_b32_e32 v2, v52, v2
	v_lshlrev_b64 v[6:7], v6, 1
	v_add3_u32 v38, v14, v11, v32
	v_bfe_u32 v11, v8, 20, 1
	v_add_u32_e32 v11, -1, v11
	v_cmp_eq_u64_e32 vcc, v[2:3], v[6:7]
	v_cndmask_b32_e32 v2, 0, v11, vcc
	v_add_u32_e32 v2, v2, v8
	v_and_b32_e32 v2, 0xfffff, v2
	v_add_co_u32_e32 v2, vcc, v2, v8
	v_add_u32_e32 v14, 6, v38
	v_addc_co_u32_e32 v3, vcc, 0, v9, vcc
	v_cmp_ne_u32_e32 vcc, 0, v14
                                        ; implicit-def: $vgpr11
	s_and_saveexec_b64 s[20:21], vcc
	s_xor_b64 s[20:21], exec, s[20:21]
; %bb.4159:                             ;   in Loop: Header=BB6_2967 Depth=2
	v_add_u32_e32 v6, 7, v38
	v_cmp_lt_u64_e32 vcc, s[46:47], v[2:3]
	v_cndmask_b32_e32 v11, v14, v6, vcc
	v_cndmask_b32_e64 v6, 0, 1, vcc
	v_lshrrev_b64 v[2:3], v6, v[2:3]
; %bb.4160:                             ;   in Loop: Header=BB6_2967 Depth=2
	s_andn2_saveexec_b64 s[20:21], s[20:21]
; %bb.4161:                             ;   in Loop: Header=BB6_2967 Depth=2
	v_bfe_u32 v11, v2, 23, 1
; %bb.4162:                             ;   in Loop: Header=BB6_2967 Depth=2
	s_or_b64 exec, exec, s[20:21]
	v_lshrrev_b64 v[2:3], 20, v[2:3]
	v_cmp_gt_i32_e32 vcc, 16, v11
	v_cndmask_b32_e32 v3, 0, v3, vcc
	v_cndmask_b32_e32 v2, 7, v2, vcc
	v_cmp_eq_u64_e64 s[20:21], 0, v[2:3]
	v_min_i32_e32 v3, 15, v11
	v_cmp_eq_u32_e32 vcc, 0, v11
	v_lshlrev_b32_e32 v3, 3, v3
	v_and_or_b32 v2, v2, 7, v3
	s_and_b64 s[20:21], vcc, s[20:21]
	v_cndmask_b32_e64 v2, v2, 0, s[20:21]
	v_or_b32_e32 v11, v2, v10
	v_mov_b32_e32 v32, 0x78
.LBB6_4163:                             ;   in Loop: Header=BB6_2967 Depth=2
	s_or_b64 exec, exec, s[60:61]
.LBB6_4164:                             ;   in Loop: Header=BB6_2967 Depth=2
	s_or_b64 exec, exec, s[58:59]
                                        ; implicit-def: $vgpr3
.LBB6_4165:                             ;   in Loop: Header=BB6_2967 Depth=2
	s_andn2_saveexec_b64 s[20:21], s[56:57]
; %bb.4166:                             ;   in Loop: Header=BB6_2967 Depth=2
	v_or_b32_sdwa v2, v3, s71 dst_sel:DWORD dst_unused:UNUSED_PAD src0_sel:BYTE_3 src1_sel:DWORD
	v_cmp_eq_u64_e32 vcc, 0, v[52:53]
	v_cndmask_b32_e32 v11, v2, v11, vcc
; %bb.4167:                             ;   in Loop: Header=BB6_2967 Depth=2
	s_or_b64 exec, exec, s[20:21]
	v_lshrrev_b32_e32 v10, 16, v17
	v_lshrrev_b32_e32 v2, 16, v13
	s_and_b64 vcc, exec, s[18:19]
	v_cmp_ne_u16_sdwa s[20:21], v10, v53 src0_sel:BYTE_0 src1_sel:DWORD
	s_cbranch_vccnz .LBB6_4181
; %bb.4168:                             ;   in Loop: Header=BB6_2967 Depth=2
	v_mov_b32_e32 v14, 0
	v_mov_b32_e32 v3, 0
	s_and_saveexec_b64 s[56:57], s[20:21]
	s_cbranch_execz .LBB6_4174
; %bb.4169:                             ;   in Loop: Header=BB6_2967 Depth=2
	v_cmp_ne_u16_sdwa vcc, v10, s69 src0_sel:BYTE_0 src1_sel:DWORD
	v_bfrev_b32_e32 v3, 1
	s_and_saveexec_b64 s[58:59], vcc
	s_cbranch_execz .LBB6_4173
; %bb.4170:                             ;   in Loop: Header=BB6_2967 Depth=2
	v_bfe_u32 v38, v17, 16, 7
	v_cmp_ne_u32_e32 vcc, s71, v38
	v_mov_b32_e32 v3, 0x7f800001
	s_and_saveexec_b64 s[60:61], vcc
	s_cbranch_execz .LBB6_4172
; %bb.4171:                             ;   in Loop: Header=BB6_2967 Depth=2
	v_and_b32_e32 v3, 7, v10
	v_ffbh_u32_e32 v6, v3
	v_min_u32_e32 v9, 32, v6
	v_subrev_u32_e32 v6, 28, v9
	v_lshlrev_b64 v[6:7], v6, v[10:11]
	v_lshrrev_b32_e32 v8, 3, v38
	v_sub_u32_e32 v7, 29, v9
	v_and_b32_e32 v6, 7, v6
	v_cmp_gt_u32_e32 vcc, 8, v38
	v_cndmask_b32_e32 v7, v8, v7, vcc
	v_cndmask_b32_e32 v3, v3, v6, vcc
	v_lshlrev_b32_e32 v6, 24, v10
	v_lshlrev_b32_e32 v3, 20, v3
	v_and_b32_e32 v6, 0x80000000, v6
	v_lshl_add_u32 v7, v7, 23, v61
	v_or3_b32 v3, v6, v7, v3
.LBB6_4172:                             ;   in Loop: Header=BB6_2967 Depth=2
	s_or_b64 exec, exec, s[60:61]
.LBB6_4173:                             ;   in Loop: Header=BB6_2967 Depth=2
	s_or_b64 exec, exec, s[58:59]
.LBB6_4174:                             ;   in Loop: Header=BB6_2967 Depth=2
	s_or_b64 exec, exec, s[56:57]
	v_cmp_ne_u16_sdwa vcc, v2, v53 src0_sel:BYTE_0 src1_sel:DWORD
	s_and_saveexec_b64 s[56:57], vcc
	s_cbranch_execz .LBB6_4180
; %bb.4175:                             ;   in Loop: Header=BB6_2967 Depth=2
	v_cmp_ne_u16_sdwa vcc, v2, s69 src0_sel:BYTE_0 src1_sel:DWORD
	v_bfrev_b32_e32 v14, 1
	s_and_saveexec_b64 s[58:59], vcc
	s_cbranch_execz .LBB6_4179
; %bb.4176:                             ;   in Loop: Header=BB6_2967 Depth=2
	v_bfe_u32 v38, v13, 16, 7
	v_cmp_ne_u32_e32 vcc, s71, v38
	v_mov_b32_e32 v14, 0x7f800001
	s_and_saveexec_b64 s[60:61], vcc
	s_cbranch_execz .LBB6_4178
; %bb.4177:                             ;   in Loop: Header=BB6_2967 Depth=2
	v_and_b32_e32 v8, 7, v2
	v_ffbh_u32_e32 v6, v8
	v_min_u32_e32 v14, 32, v6
	v_subrev_u32_e32 v6, 28, v14
	v_lshlrev_b64 v[6:7], v6, v[2:3]
	v_lshrrev_b32_e32 v9, 3, v38
	v_sub_u32_e32 v7, 29, v14
	v_and_b32_e32 v6, 7, v6
	v_cmp_gt_u32_e32 vcc, 8, v38
	v_cndmask_b32_e32 v7, v9, v7, vcc
	v_cndmask_b32_e32 v6, v8, v6, vcc
	v_lshlrev_b32_e32 v8, 24, v2
	v_lshlrev_b32_e32 v6, 20, v6
	v_and_b32_e32 v8, 0x80000000, v8
	v_lshl_add_u32 v7, v7, 23, v61
	v_or3_b32 v14, v8, v7, v6
.LBB6_4178:                             ;   in Loop: Header=BB6_2967 Depth=2
	s_or_b64 exec, exec, s[60:61]
.LBB6_4179:                             ;   in Loop: Header=BB6_2967 Depth=2
	s_or_b64 exec, exec, s[58:59]
.LBB6_4180:                             ;   in Loop: Header=BB6_2967 Depth=2
	s_or_b64 exec, exec, s[56:57]
	v_max_f32_e32 v6, v14, v14
	v_max_f32_e32 v3, v3, v3
	;; [unrolled: 1-line block ×3, first 2 shown]
	s_branch .LBB6_4195
.LBB6_4181:                             ;   in Loop: Header=BB6_2967 Depth=2
                                        ; implicit-def: $vgpr3
	s_cbranch_execz .LBB6_4195
; %bb.4182:                             ;   in Loop: Header=BB6_2967 Depth=2
	v_mov_b32_e32 v14, 0
	v_mov_b32_e32 v3, 0
	s_and_saveexec_b64 s[56:57], s[20:21]
	s_cbranch_execz .LBB6_4188
; %bb.4183:                             ;   in Loop: Header=BB6_2967 Depth=2
	v_cmp_ne_u16_sdwa vcc, v10, s69 src0_sel:BYTE_0 src1_sel:DWORD
	v_bfrev_b32_e32 v3, 1
	s_and_saveexec_b64 s[20:21], vcc
	s_cbranch_execz .LBB6_4187
; %bb.4184:                             ;   in Loop: Header=BB6_2967 Depth=2
	v_bfe_u32 v38, v17, 16, 7
	v_cmp_ne_u32_e32 vcc, s71, v38
	v_mov_b32_e32 v3, 0x7f800001
	s_and_saveexec_b64 s[58:59], vcc
	s_cbranch_execz .LBB6_4186
; %bb.4185:                             ;   in Loop: Header=BB6_2967 Depth=2
	v_and_b32_e32 v3, 7, v10
	v_ffbh_u32_e32 v6, v3
	v_min_u32_e32 v9, 32, v6
	v_subrev_u32_e32 v6, 28, v9
	v_lshlrev_b64 v[6:7], v6, v[10:11]
	v_lshrrev_b32_e32 v8, 3, v38
	v_sub_u32_e32 v7, 29, v9
	v_and_b32_e32 v6, 7, v6
	v_cmp_gt_u32_e32 vcc, 8, v38
	v_cndmask_b32_e32 v7, v8, v7, vcc
	v_cndmask_b32_e32 v3, v3, v6, vcc
	v_lshlrev_b32_e32 v6, 24, v10
	v_lshlrev_b32_e32 v3, 20, v3
	v_and_b32_e32 v6, 0x80000000, v6
	v_lshl_add_u32 v7, v7, 23, v61
	v_or3_b32 v3, v6, v7, v3
.LBB6_4186:                             ;   in Loop: Header=BB6_2967 Depth=2
	s_or_b64 exec, exec, s[58:59]
.LBB6_4187:                             ;   in Loop: Header=BB6_2967 Depth=2
	s_or_b64 exec, exec, s[20:21]
.LBB6_4188:                             ;   in Loop: Header=BB6_2967 Depth=2
	s_or_b64 exec, exec, s[56:57]
	v_cmp_ne_u16_sdwa vcc, v2, v53 src0_sel:BYTE_0 src1_sel:DWORD
	s_and_saveexec_b64 s[20:21], vcc
	s_cbranch_execz .LBB6_4194
; %bb.4189:                             ;   in Loop: Header=BB6_2967 Depth=2
	v_cmp_ne_u16_sdwa vcc, v2, s69 src0_sel:BYTE_0 src1_sel:DWORD
	v_bfrev_b32_e32 v14, 1
	s_and_saveexec_b64 s[56:57], vcc
	s_cbranch_execz .LBB6_4193
; %bb.4190:                             ;   in Loop: Header=BB6_2967 Depth=2
	v_bfe_u32 v10, v13, 16, 7
	v_cmp_ne_u32_e32 vcc, s71, v10
	v_mov_b32_e32 v14, 0x7f800001
	s_and_saveexec_b64 s[58:59], vcc
	s_cbranch_execz .LBB6_4192
; %bb.4191:                             ;   in Loop: Header=BB6_2967 Depth=2
	v_and_b32_e32 v8, 7, v2
	v_ffbh_u32_e32 v6, v8
	v_min_u32_e32 v14, 32, v6
	v_subrev_u32_e32 v6, 28, v14
	v_lshlrev_b64 v[6:7], v6, v[2:3]
	v_lshrrev_b32_e32 v9, 3, v10
	v_sub_u32_e32 v7, 29, v14
	v_and_b32_e32 v6, 7, v6
	v_cmp_gt_u32_e32 vcc, 8, v10
	v_cndmask_b32_e32 v7, v9, v7, vcc
	v_cndmask_b32_e32 v6, v8, v6, vcc
	v_lshlrev_b32_e32 v2, 24, v2
	v_lshlrev_b32_e32 v6, 20, v6
	v_and_b32_e32 v2, 0x80000000, v2
	v_lshl_add_u32 v7, v7, 23, v61
	v_or3_b32 v14, v2, v7, v6
.LBB6_4192:                             ;   in Loop: Header=BB6_2967 Depth=2
	s_or_b64 exec, exec, s[58:59]
.LBB6_4193:                             ;   in Loop: Header=BB6_2967 Depth=2
	s_or_b64 exec, exec, s[56:57]
.LBB6_4194:                             ;   in Loop: Header=BB6_2967 Depth=2
	s_or_b64 exec, exec, s[20:21]
	v_max_f32_e32 v2, v14, v14
	v_max_f32_e32 v3, v3, v3
	v_min_f32_e32 v3, v3, v2
.LBB6_4195:                             ;   in Loop: Header=BB6_2967 Depth=2
	v_and_b32_sdwa v10, v3, s69 dst_sel:DWORD dst_unused:UNUSED_PAD src0_sel:BYTE_3 src1_sel:DWORD
	v_and_b32_e32 v6, 0x7f800000, v3
	v_mov_b32_e32 v7, v53
	v_and_b32_e32 v52, 0x7fffff, v3
	v_or_b32_e32 v14, 0x7e, v10
	v_cmp_ne_u64_e32 vcc, s[40:41], v[6:7]
	s_and_saveexec_b64 s[20:21], vcc
	s_xor_b64 s[56:57], exec, s[20:21]
	s_cbranch_execz .LBB6_4205
; %bb.4196:                             ;   in Loop: Header=BB6_2967 Depth=2
	v_and_b32_e32 v6, 0x7fffffff, v3
	v_mov_b32_e32 v7, v53
	v_cmp_gt_u64_e32 vcc, s[42:43], v[6:7]
	s_and_saveexec_b64 s[58:59], vcc
	s_cbranch_execz .LBB6_4204
; %bb.4197:                             ;   in Loop: Header=BB6_2967 Depth=2
	v_cmp_ne_u32_e32 vcc, 0, v3
	v_mov_b32_e32 v14, 0
	s_and_saveexec_b64 s[60:61], vcc
	s_cbranch_execz .LBB6_4203
; %bb.4198:                             ;   in Loop: Header=BB6_2967 Depth=2
	v_bfe_u32 v2, v3, 23, 8
	v_sub_u32_e32 v6, 0x79, v2
	v_cmp_gt_u32_e32 vcc, s73, v2
	v_add_u32_e32 v3, 0xffffff81, v2
	v_cndmask_b32_e32 v6, 0, v6, vcc
	v_cmp_eq_u32_e32 vcc, 0, v2
	v_mov_b32_e32 v2, 0x78
	v_or_b32_e32 v7, 0x800000, v52
	v_cndmask_b32_e32 v32, v6, v2, vcc
	v_cndmask_b32_e32 v52, v7, v52, vcc
	v_add_u32_e32 v2, 20, v32
	v_cndmask_b32_e32 v14, v3, v33, vcc
	v_lshlrev_b64 v[2:3], v2, -1
	v_lshrrev_b64 v[8:9], v32, v[52:53]
	v_not_b32_e32 v3, v3
	v_not_b32_e32 v2, v2
	v_add_u32_e32 v6, 19, v32
	v_lshrrev_b32_e32 v33, 23, v8
	v_and_b32_e32 v3, 0, v3
	v_and_b32_e32 v2, v52, v2
	v_lshlrev_b64 v[6:7], v6, 1
	v_add3_u32 v38, v32, v14, v33
	v_bfe_u32 v14, v8, 20, 1
	v_add_u32_e32 v14, -1, v14
	v_cmp_eq_u64_e32 vcc, v[2:3], v[6:7]
	v_cndmask_b32_e32 v2, 0, v14, vcc
	v_add_u32_e32 v2, v2, v8
	v_and_b32_e32 v2, 0xfffff, v2
	v_add_co_u32_e32 v2, vcc, v2, v8
	v_add_u32_e32 v52, 6, v38
	v_addc_co_u32_e32 v3, vcc, 0, v9, vcc
	v_cmp_ne_u32_e32 vcc, 0, v52
                                        ; implicit-def: $vgpr14
	s_and_saveexec_b64 s[20:21], vcc
	s_xor_b64 s[20:21], exec, s[20:21]
; %bb.4199:                             ;   in Loop: Header=BB6_2967 Depth=2
	v_add_u32_e32 v6, 7, v38
	v_cmp_lt_u64_e32 vcc, s[46:47], v[2:3]
	v_cndmask_b32_e32 v14, v52, v6, vcc
	v_cndmask_b32_e64 v6, 0, 1, vcc
	v_lshrrev_b64 v[2:3], v6, v[2:3]
; %bb.4200:                             ;   in Loop: Header=BB6_2967 Depth=2
	s_andn2_saveexec_b64 s[20:21], s[20:21]
; %bb.4201:                             ;   in Loop: Header=BB6_2967 Depth=2
	v_bfe_u32 v14, v2, 23, 1
; %bb.4202:                             ;   in Loop: Header=BB6_2967 Depth=2
	s_or_b64 exec, exec, s[20:21]
	v_lshrrev_b64 v[2:3], 20, v[2:3]
	v_cmp_gt_i32_e32 vcc, 16, v14
	v_cndmask_b32_e32 v3, 0, v3, vcc
	v_cndmask_b32_e32 v2, 7, v2, vcc
	v_cmp_eq_u64_e64 s[20:21], 0, v[2:3]
	v_min_i32_e32 v3, 15, v14
	v_lshlrev_b32_e32 v3, 3, v3
	v_cmp_eq_u32_e32 vcc, 0, v14
	v_and_b32_e32 v3, 0xf8, v3
	v_and_or_b32 v2, v2, 7, v3
	s_and_b64 s[20:21], vcc, s[20:21]
	v_cndmask_b32_e64 v2, v2, 0, s[20:21]
	v_or_b32_e32 v14, v2, v10
	v_mov_b32_e32 v33, 0xffffff82
	v_mov_b32_e32 v32, 0x78
.LBB6_4203:                             ;   in Loop: Header=BB6_2967 Depth=2
	s_or_b64 exec, exec, s[60:61]
.LBB6_4204:                             ;   in Loop: Header=BB6_2967 Depth=2
	s_or_b64 exec, exec, s[58:59]
                                        ; implicit-def: $vgpr3
.LBB6_4205:                             ;   in Loop: Header=BB6_2967 Depth=2
	s_andn2_saveexec_b64 s[20:21], s[56:57]
; %bb.4206:                             ;   in Loop: Header=BB6_2967 Depth=2
	v_or_b32_sdwa v2, v3, s71 dst_sel:DWORD dst_unused:UNUSED_PAD src0_sel:BYTE_3 src1_sel:DWORD
	v_cmp_eq_u64_e32 vcc, 0, v[52:53]
	v_cndmask_b32_e32 v14, v2, v14, vcc
; %bb.4207:                             ;   in Loop: Header=BB6_2967 Depth=2
	s_or_b64 exec, exec, s[20:21]
	v_lshrrev_b32_e32 v10, 24, v17
	v_lshrrev_b32_e32 v2, 24, v13
	s_and_b64 vcc, exec, s[18:19]
	v_cmp_lt_u64_e64 s[18:19], s[44:45], v[16:17]
	s_cbranch_vccnz .LBB6_4221
; %bb.4208:                             ;   in Loop: Header=BB6_2967 Depth=2
	v_mov_b32_e32 v16, 0
	v_mov_b32_e32 v3, 0
	s_and_saveexec_b64 s[20:21], s[18:19]
	s_cbranch_execz .LBB6_4214
; %bb.4209:                             ;   in Loop: Header=BB6_2967 Depth=2
	v_cmp_ne_u32_e32 vcc, s69, v10
	v_bfrev_b32_e32 v3, 1
	s_and_saveexec_b64 s[56:57], vcc
	s_cbranch_execz .LBB6_4213
; %bb.4210:                             ;   in Loop: Header=BB6_2967 Depth=2
	v_bfe_u32 v38, v17, 24, 7
	v_cmp_ne_u32_e32 vcc, s71, v38
	v_mov_b32_e32 v3, 0x7f800001
	s_and_saveexec_b64 s[58:59], vcc
	s_cbranch_execz .LBB6_4212
; %bb.4211:                             ;   in Loop: Header=BB6_2967 Depth=2
	v_and_b32_e32 v3, 7, v10
	v_ffbh_u32_e32 v6, v3
	v_min_u32_e32 v9, 32, v6
	v_subrev_u32_e32 v6, 28, v9
	v_lshlrev_b64 v[6:7], v6, v[10:11]
	v_lshrrev_b32_e32 v8, 3, v38
	v_sub_u32_e32 v7, 29, v9
	v_and_b32_e32 v6, 7, v6
	v_cmp_gt_u32_e32 vcc, 8, v38
	v_cndmask_b32_e32 v7, v8, v7, vcc
	v_cndmask_b32_e32 v3, v3, v6, vcc
	v_lshlrev_b32_e32 v6, 24, v10
	v_lshlrev_b32_e32 v3, 20, v3
	v_and_b32_e32 v6, 0x80000000, v6
	v_lshl_add_u32 v7, v7, 23, v61
	v_or3_b32 v3, v6, v7, v3
.LBB6_4212:                             ;   in Loop: Header=BB6_2967 Depth=2
	s_or_b64 exec, exec, s[58:59]
.LBB6_4213:                             ;   in Loop: Header=BB6_2967 Depth=2
	s_or_b64 exec, exec, s[56:57]
.LBB6_4214:                             ;   in Loop: Header=BB6_2967 Depth=2
	s_or_b64 exec, exec, s[20:21]
	v_cmp_lt_u64_e32 vcc, s[44:45], v[12:13]
	s_and_saveexec_b64 s[20:21], vcc
	s_cbranch_execz .LBB6_4220
; %bb.4215:                             ;   in Loop: Header=BB6_2967 Depth=2
	v_cmp_ne_u32_e32 vcc, s69, v2
	v_bfrev_b32_e32 v16, 1
	s_and_saveexec_b64 s[56:57], vcc
	s_cbranch_execz .LBB6_4219
; %bb.4216:                             ;   in Loop: Header=BB6_2967 Depth=2
	v_bfe_u32 v38, v13, 24, 7
	v_cmp_ne_u32_e32 vcc, s71, v38
	v_mov_b32_e32 v16, 0x7f800001
	s_and_saveexec_b64 s[58:59], vcc
	s_cbranch_execz .LBB6_4218
; %bb.4217:                             ;   in Loop: Header=BB6_2967 Depth=2
	v_and_b32_e32 v8, 7, v2
	v_ffbh_u32_e32 v6, v8
	v_min_u32_e32 v16, 32, v6
	v_subrev_u32_e32 v6, 28, v16
	v_lshlrev_b64 v[6:7], v6, v[2:3]
	v_lshrrev_b32_e32 v9, 3, v38
	v_sub_u32_e32 v7, 29, v16
	v_and_b32_e32 v6, 7, v6
	v_cmp_gt_u32_e32 vcc, 8, v38
	v_cndmask_b32_e32 v7, v9, v7, vcc
	v_cndmask_b32_e32 v6, v8, v6, vcc
	v_lshlrev_b32_e32 v8, 24, v2
	v_lshlrev_b32_e32 v6, 20, v6
	v_and_b32_e32 v8, 0x80000000, v8
	v_lshl_add_u32 v7, v7, 23, v61
	v_or3_b32 v16, v8, v7, v6
.LBB6_4218:                             ;   in Loop: Header=BB6_2967 Depth=2
	s_or_b64 exec, exec, s[58:59]
.LBB6_4219:                             ;   in Loop: Header=BB6_2967 Depth=2
	s_or_b64 exec, exec, s[56:57]
.LBB6_4220:                             ;   in Loop: Header=BB6_2967 Depth=2
	s_or_b64 exec, exec, s[20:21]
	v_max_f32_e32 v6, v16, v16
	v_max_f32_e32 v3, v3, v3
	;; [unrolled: 1-line block ×3, first 2 shown]
	s_branch .LBB6_4235
.LBB6_4221:                             ;   in Loop: Header=BB6_2967 Depth=2
                                        ; implicit-def: $vgpr3
	s_cbranch_execz .LBB6_4235
; %bb.4222:                             ;   in Loop: Header=BB6_2967 Depth=2
	v_mov_b32_e32 v16, 0
	v_mov_b32_e32 v3, 0
	s_and_saveexec_b64 s[20:21], s[18:19]
	s_cbranch_execz .LBB6_4228
; %bb.4223:                             ;   in Loop: Header=BB6_2967 Depth=2
	v_cmp_ne_u32_e32 vcc, s69, v10
	v_bfrev_b32_e32 v3, 1
	s_and_saveexec_b64 s[18:19], vcc
	s_cbranch_execz .LBB6_4227
; %bb.4224:                             ;   in Loop: Header=BB6_2967 Depth=2
	v_bfe_u32 v17, v17, 24, 7
	v_cmp_ne_u32_e32 vcc, s71, v17
	v_mov_b32_e32 v3, 0x7f800001
	s_and_saveexec_b64 s[56:57], vcc
	s_cbranch_execz .LBB6_4226
; %bb.4225:                             ;   in Loop: Header=BB6_2967 Depth=2
	v_and_b32_e32 v3, 7, v10
	v_ffbh_u32_e32 v6, v3
	v_min_u32_e32 v9, 32, v6
	v_subrev_u32_e32 v6, 28, v9
	v_lshlrev_b64 v[6:7], v6, v[10:11]
	v_lshrrev_b32_e32 v8, 3, v17
	v_sub_u32_e32 v7, 29, v9
	v_and_b32_e32 v6, 7, v6
	v_cmp_gt_u32_e32 vcc, 8, v17
	v_cndmask_b32_e32 v7, v8, v7, vcc
	v_cndmask_b32_e32 v3, v3, v6, vcc
	v_lshlrev_b32_e32 v6, 24, v10
	v_lshlrev_b32_e32 v3, 20, v3
	v_and_b32_e32 v6, 0x80000000, v6
	v_lshl_add_u32 v7, v7, 23, v61
	v_or3_b32 v3, v6, v7, v3
.LBB6_4226:                             ;   in Loop: Header=BB6_2967 Depth=2
	s_or_b64 exec, exec, s[56:57]
.LBB6_4227:                             ;   in Loop: Header=BB6_2967 Depth=2
	s_or_b64 exec, exec, s[18:19]
.LBB6_4228:                             ;   in Loop: Header=BB6_2967 Depth=2
	s_or_b64 exec, exec, s[20:21]
	v_cmp_lt_u64_e32 vcc, s[44:45], v[12:13]
	s_and_saveexec_b64 s[18:19], vcc
	s_cbranch_execz .LBB6_4234
; %bb.4229:                             ;   in Loop: Header=BB6_2967 Depth=2
	v_cmp_ne_u32_e32 vcc, s69, v2
	v_bfrev_b32_e32 v16, 1
	s_and_saveexec_b64 s[20:21], vcc
	s_cbranch_execz .LBB6_4233
; %bb.4230:                             ;   in Loop: Header=BB6_2967 Depth=2
	v_bfe_u32 v10, v13, 24, 7
	v_cmp_ne_u32_e32 vcc, s71, v10
	v_mov_b32_e32 v16, 0x7f800001
	s_and_saveexec_b64 s[56:57], vcc
	s_cbranch_execz .LBB6_4232
; %bb.4231:                             ;   in Loop: Header=BB6_2967 Depth=2
	v_and_b32_e32 v8, 7, v2
	v_ffbh_u32_e32 v6, v8
	v_min_u32_e32 v12, 32, v6
	v_subrev_u32_e32 v6, 28, v12
	v_lshlrev_b64 v[6:7], v6, v[2:3]
	v_lshrrev_b32_e32 v9, 3, v10
	v_sub_u32_e32 v7, 29, v12
	v_and_b32_e32 v6, 7, v6
	v_cmp_gt_u32_e32 vcc, 8, v10
	v_cndmask_b32_e32 v7, v9, v7, vcc
	v_cndmask_b32_e32 v6, v8, v6, vcc
	v_lshlrev_b32_e32 v2, 24, v2
	v_lshlrev_b32_e32 v6, 20, v6
	v_and_b32_e32 v2, 0x80000000, v2
	v_lshl_add_u32 v7, v7, 23, v61
	v_or3_b32 v16, v2, v7, v6
.LBB6_4232:                             ;   in Loop: Header=BB6_2967 Depth=2
	s_or_b64 exec, exec, s[56:57]
.LBB6_4233:                             ;   in Loop: Header=BB6_2967 Depth=2
	s_or_b64 exec, exec, s[20:21]
.LBB6_4234:                             ;   in Loop: Header=BB6_2967 Depth=2
	s_or_b64 exec, exec, s[18:19]
	v_max_f32_e32 v2, v16, v16
	v_max_f32_e32 v3, v3, v3
	v_min_f32_e32 v3, v3, v2
.LBB6_4235:                             ;   in Loop: Header=BB6_2967 Depth=2
	v_and_b32_sdwa v10, v3, s69 dst_sel:DWORD dst_unused:UNUSED_PAD src0_sel:BYTE_3 src1_sel:DWORD
	v_and_b32_e32 v6, 0x7f800000, v3
	v_mov_b32_e32 v7, v53
	v_and_b32_e32 v52, 0x7fffff, v3
	v_or_b32_e32 v2, 0x7e, v10
	v_cmp_ne_u64_e32 vcc, s[40:41], v[6:7]
	s_and_saveexec_b64 s[18:19], vcc
	s_xor_b64 s[20:21], exec, s[18:19]
	s_cbranch_execz .LBB6_4245
; %bb.4236:                             ;   in Loop: Header=BB6_2967 Depth=2
	v_and_b32_e32 v6, 0x7fffffff, v3
	v_mov_b32_e32 v7, v53
	v_cmp_gt_u64_e32 vcc, s[42:43], v[6:7]
	s_and_saveexec_b64 s[56:57], vcc
	s_cbranch_execz .LBB6_4244
; %bb.4237:                             ;   in Loop: Header=BB6_2967 Depth=2
	v_cmp_ne_u32_e32 vcc, 0, v3
	v_mov_b32_e32 v2, 0
	s_and_saveexec_b64 s[58:59], vcc
	s_cbranch_execz .LBB6_4243
; %bb.4238:                             ;   in Loop: Header=BB6_2967 Depth=2
	v_bfe_u32 v2, v3, 23, 8
	v_sub_u32_e32 v6, 0x79, v2
	v_cmp_gt_u32_e32 vcc, s73, v2
	v_cndmask_b32_e32 v6, 0, v6, vcc
	v_cmp_eq_u32_e32 vcc, 0, v2
	v_or_b32_e32 v7, 0x800000, v52
	v_cndmask_b32_e32 v13, v6, v32, vcc
	v_add_u32_e32 v3, 0xffffff81, v2
	v_cndmask_b32_e32 v52, v7, v52, vcc
	v_add_u32_e32 v2, 20, v13
	v_cndmask_b32_e32 v12, v3, v33, vcc
	v_lshlrev_b64 v[2:3], v2, -1
	v_lshrrev_b64 v[8:9], v13, v[52:53]
	v_not_b32_e32 v3, v3
	v_not_b32_e32 v2, v2
	v_add_u32_e32 v6, 19, v13
	v_lshrrev_b32_e32 v16, 23, v8
	v_and_b32_e32 v3, 0, v3
	v_and_b32_e32 v2, v52, v2
	v_lshlrev_b64 v[6:7], v6, 1
	v_add3_u32 v16, v13, v12, v16
	v_bfe_u32 v12, v8, 20, 1
	v_add_u32_e32 v12, -1, v12
	v_cmp_eq_u64_e32 vcc, v[2:3], v[6:7]
	v_cndmask_b32_e32 v2, 0, v12, vcc
	v_add_u32_e32 v2, v2, v8
	v_and_b32_e32 v2, 0xfffff, v2
	v_add_co_u32_e32 v2, vcc, v2, v8
	v_add_u32_e32 v13, 6, v16
	v_addc_co_u32_e32 v3, vcc, 0, v9, vcc
	v_cmp_ne_u32_e32 vcc, 0, v13
                                        ; implicit-def: $vgpr12
	s_and_saveexec_b64 s[18:19], vcc
	s_xor_b64 s[18:19], exec, s[18:19]
; %bb.4239:                             ;   in Loop: Header=BB6_2967 Depth=2
	v_add_u32_e32 v6, 7, v16
	v_cmp_lt_u64_e32 vcc, s[46:47], v[2:3]
	v_cndmask_b32_e32 v12, v13, v6, vcc
	v_cndmask_b32_e64 v6, 0, 1, vcc
	v_lshrrev_b64 v[2:3], v6, v[2:3]
; %bb.4240:                             ;   in Loop: Header=BB6_2967 Depth=2
	s_andn2_saveexec_b64 s[18:19], s[18:19]
; %bb.4241:                             ;   in Loop: Header=BB6_2967 Depth=2
	v_bfe_u32 v12, v2, 23, 1
; %bb.4242:                             ;   in Loop: Header=BB6_2967 Depth=2
	s_or_b64 exec, exec, s[18:19]
	v_lshrrev_b64 v[2:3], 20, v[2:3]
	v_cmp_gt_i32_e32 vcc, 16, v12
	v_cndmask_b32_e32 v3, 0, v3, vcc
	v_cndmask_b32_e32 v2, 7, v2, vcc
	v_cmp_eq_u64_e64 s[18:19], 0, v[2:3]
	v_min_i32_e32 v3, 15, v12
	v_lshlrev_b32_e32 v3, 3, v3
	v_cmp_eq_u32_e32 vcc, 0, v12
	v_and_b32_e32 v3, 0xf8, v3
	v_and_or_b32 v2, v2, 7, v3
	s_and_b64 s[18:19], vcc, s[18:19]
	v_cndmask_b32_e64 v2, v2, 0, s[18:19]
	v_or_b32_e32 v2, v2, v10
.LBB6_4243:                             ;   in Loop: Header=BB6_2967 Depth=2
	s_or_b64 exec, exec, s[58:59]
.LBB6_4244:                             ;   in Loop: Header=BB6_2967 Depth=2
	s_or_b64 exec, exec, s[56:57]
                                        ; implicit-def: $vgpr3
.LBB6_4245:                             ;   in Loop: Header=BB6_2967 Depth=2
	s_andn2_saveexec_b64 s[18:19], s[20:21]
	s_cbranch_execz .LBB6_2966
; %bb.4246:                             ;   in Loop: Header=BB6_2967 Depth=2
	v_or_b32_sdwa v3, v3, s71 dst_sel:DWORD dst_unused:UNUSED_PAD src0_sel:BYTE_3 src1_sel:DWORD
	v_cmp_eq_u64_e32 vcc, 0, v[52:53]
	v_cndmask_b32_e32 v2, v3, v2, vcc
	s_branch .LBB6_2966
.LBB6_4247:                             ;   in Loop: Header=BB6_2894 Depth=1
	s_or_b64 exec, exec, s[52:53]
	v_accvgpr_read_b32 v58, a1
	v_accvgpr_read_b32 v51, a31
	;; [unrolled: 1-line block ×5, first 2 shown]
.LBB6_4248:                             ;   in Loop: Header=BB6_2894 Depth=1
	s_or_b64 exec, exec, s[22:23]
	v_and_b32_e32 v2, 0x3ffff800, v55
	v_cmp_ne_u32_e32 vcc, v2, v55
	s_mov_b64 s[18:19], 0
	v_mov_b32_e32 v17, 0
                                        ; implicit-def: $vgpr18
                                        ; implicit-def: $vgpr19
                                        ; implicit-def: $vgpr1
	s_and_saveexec_b64 s[22:23], vcc
	s_cbranch_execz .LBB6_4896
; %bb.4249:                             ;   in Loop: Header=BB6_2894 Depth=1
	v_lshlrev_b32_e32 v0, 6, v0
	v_accvgpr_read_b32 v1, a9
	v_sub_u32_e32 v0, v1, v0
	v_ashrrev_i32_e32 v1, 31, v0
	v_lshrrev_b32_e32 v1, 26, v1
	v_add_u32_e32 v1, v0, v1
	v_ashrrev_i32_e32 v4, 6, v1
	v_and_b32_e32 v1, 0xffffffc0, v1
	v_and_b32_e32 v3, 0x7ff, v55
	v_sub_u32_e32 v0, v0, v1
	v_and_b32_e32 v6, 0x400, v55
	v_lshlrev_b32_e32 v1, 4, v0
	v_sub_u32_e32 v29, v3, v6
	v_lshl_add_u32 v1, v4, 10, v1
	v_bfe_u32 v5, v55, 10, 1
	v_cmp_lt_i32_e64 s[18:19], 15, v29
	v_sub_u32_e32 v30, v3, v1
	v_addc_co_u32_e64 v3, vcc, 0, v5, s[18:19]
	v_sub_u32_e32 v26, v3, v4
	v_cmp_lt_i32_e32 vcc, 15, v30
	s_and_saveexec_b64 s[52:53], vcc
	s_cbranch_execz .LBB6_4893
; %bb.4250:                             ;   in Loop: Header=BB6_2894 Depth=1
	s_trap 2
	ds_read_b128 v[4:7], v0
	v_add_u32_e32 v1, v1, v2
	ds_read_b64 v[2:3], v0
	v_ashrrev_i32_e32 v8, 31, v1
	s_bitcmp1_b32 s64, 0
	s_waitcnt lgkmcnt(0)
	v_add_co_u32_e32 v18, vcc, v4, v1
	v_addc_co_u32_e32 v19, vcc, v5, v8, vcc
	v_add_co_u32_e32 v20, vcc, v6, v1
	v_addc_co_u32_e32 v21, vcc, v7, v8, vcc
	s_waitcnt lgkmcnt(0)
	v_add_co_u32_e32 v22, vcc, v2, v1
	v_addc_co_u32_e32 v23, vcc, v3, v8, vcc
	s_mov_b64 s[54:55], 0
	s_cselect_b64 s[56:57], -1, 0
	s_branch .LBB6_4252
.LBB6_4251:                             ;   in Loop: Header=BB6_4252 Depth=2
	s_or_b64 exec, exec, s[20:21]
	v_lshlrev_b32_e32 v3, 8, v25
	v_perm_b32 v3, v3, v35, s74
	v_lshl_or_b32 v3, v28, 16, v3
	v_lshl_or_b32 v7, v15, 24, v3
	v_and_b32_e32 v3, 0xff, v27
	v_lshlrev_b32_e32 v6, 8, v34
	v_lshlrev_b32_e32 v1, 24, v1
	;; [unrolled: 1-line block ×3, first 2 shown]
	v_perm_b32 v6, v6, v31, s74
	v_or3_b32 v6, v1, v3, v6
	v_and_b32_e32 v1, 0xff, v49
	v_lshlrev_b32_e32 v3, 24, v4
	v_lshlrev_b32_e32 v4, 8, v48
	;; [unrolled: 1-line block ×3, first 2 shown]
	v_perm_b32 v4, v4, v24, s74
	v_or3_b32 v8, v3, v1, v4
	v_lshlrev_b32_e32 v1, 8, v11
	v_add_co_u32_e32 v18, vcc, v18, v41
	v_perm_b32 v1, v1, v5, s74
	v_addc_co_u32_e32 v19, vcc, v19, v60, vcc
	v_lshl_or_b32 v1, v14, 16, v1
	v_add_co_u32_e32 v20, vcc, v20, v41
	v_lshl_or_b32 v9, v2, 24, v1
	v_addc_co_u32_e32 v21, vcc, v21, v60, vcc
	global_store_dwordx4 v[22:23], v[6:9], off glc slc
	v_add_co_u32_e32 v22, vcc, v22, v41
	v_addc_co_u32_e32 v23, vcc, v23, v60, vcc
	v_sub_u32_e32 v30, v30, v51
	v_cmp_gt_i32_e32 vcc, 16, v30
	v_accvgpr_read_b32 v2, a8
	s_or_b64 s[54:55], vcc, s[54:55]
	v_sub_u32_e32 v26, v26, v2
	s_andn2_b64 exec, exec, s[54:55]
	s_cbranch_execz .LBB6_4892
.LBB6_4252:                             ;   Parent Loop BB6_2894 Depth=1
                                        ; =>  This Inner Loop Header: Depth=2
	global_load_dwordx4 v[14:17], v[18:19], off glc slc
	global_load_dwordx4 v[10:13], v[20:21], off glc slc
	s_and_b64 vcc, exec, s[56:57]
	s_waitcnt vmcnt(0)
	v_cmp_ne_u16_sdwa s[20:21], v14, v53 src0_sel:BYTE_0 src1_sel:DWORD
	s_cbranch_vccz .LBB6_4266
; %bb.4253:                             ;   in Loop: Header=BB6_4252 Depth=2
	v_mov_b32_e32 v2, 0
	v_mov_b32_e32 v1, 0
	s_and_saveexec_b64 s[58:59], s[20:21]
	s_cbranch_execz .LBB6_4259
; %bb.4254:                             ;   in Loop: Header=BB6_4252 Depth=2
	v_cmp_ne_u16_sdwa vcc, v14, s69 src0_sel:BYTE_0 src1_sel:DWORD
	v_bfrev_b32_e32 v1, 1
	s_and_saveexec_b64 s[60:61], vcc
	s_cbranch_execz .LBB6_4258
; %bb.4255:                             ;   in Loop: Header=BB6_4252 Depth=2
	v_and_b32_e32 v3, 0x7f, v14
	v_cmp_ne_u32_e32 vcc, s71, v3
	v_mov_b32_e32 v1, 0x7f800001
	s_and_saveexec_b64 s[62:63], vcc
	s_cbranch_execz .LBB6_4257
; %bb.4256:                             ;   in Loop: Header=BB6_4252 Depth=2
	v_and_b32_e32 v1, 7, v14
	v_ffbh_u32_e32 v1, v1
	v_min_u32_e32 v1, 32, v1
	v_subrev_u32_e32 v5, 28, v1
	v_cmp_gt_u32_e32 vcc, 8, v3
	v_lshrrev_b32_e32 v4, 3, v3
	v_sub_u32_e32 v1, 29, v1
	v_cndmask_b32_e32 v3, 0, v5, vcc
	v_cndmask_b32_e32 v1, v4, v1, vcc
	v_lshlrev_b64 v[4:5], v3, v[14:15]
	v_lshlrev_b32_e32 v3, 20, v4
	v_lshlrev_b32_e32 v4, 24, v14
	v_and_b32_e32 v3, 0x700000, v3
	v_and_b32_e32 v4, 0x80000000, v4
	v_lshl_add_u32 v1, v1, 23, v61
	v_or3_b32 v1, v4, v1, v3
.LBB6_4257:                             ;   in Loop: Header=BB6_4252 Depth=2
	s_or_b64 exec, exec, s[62:63]
.LBB6_4258:                             ;   in Loop: Header=BB6_4252 Depth=2
	s_or_b64 exec, exec, s[60:61]
.LBB6_4259:                             ;   in Loop: Header=BB6_4252 Depth=2
	s_or_b64 exec, exec, s[58:59]
	s_waitcnt vmcnt(0)
	v_cmp_ne_u16_sdwa vcc, v10, v53 src0_sel:BYTE_0 src1_sel:DWORD
	s_and_saveexec_b64 s[58:59], vcc
	s_cbranch_execz .LBB6_4265
; %bb.4260:                             ;   in Loop: Header=BB6_4252 Depth=2
	v_cmp_ne_u16_sdwa vcc, v10, s69 src0_sel:BYTE_0 src1_sel:DWORD
	v_bfrev_b32_e32 v2, 1
	s_and_saveexec_b64 s[60:61], vcc
	s_cbranch_execz .LBB6_4264
; %bb.4261:                             ;   in Loop: Header=BB6_4252 Depth=2
	v_and_b32_e32 v3, 0x7f, v10
	v_cmp_ne_u32_e32 vcc, s71, v3
	v_mov_b32_e32 v2, 0x7f800001
	s_and_saveexec_b64 s[62:63], vcc
	s_cbranch_execz .LBB6_4263
; %bb.4262:                             ;   in Loop: Header=BB6_4252 Depth=2
	v_and_b32_e32 v2, 7, v10
	v_ffbh_u32_e32 v2, v2
	v_min_u32_e32 v2, 32, v2
	v_lshrrev_b32_e32 v4, 3, v3
	v_subrev_u32_e32 v5, 28, v2
	v_sub_u32_e32 v2, 29, v2
	v_cmp_gt_u32_e32 vcc, 8, v3
	v_cndmask_b32_e32 v4, v4, v2, vcc
	v_cndmask_b32_e32 v2, 0, v5, vcc
	v_lshlrev_b64 v[2:3], v2, v[10:11]
	v_lshlrev_b32_e32 v2, 20, v2
	v_lshlrev_b32_e32 v3, 24, v10
	v_and_b32_e32 v2, 0x700000, v2
	v_and_b32_e32 v3, 0x80000000, v3
	v_lshl_add_u32 v4, v4, 23, v61
	v_or3_b32 v2, v3, v4, v2
.LBB6_4263:                             ;   in Loop: Header=BB6_4252 Depth=2
	s_or_b64 exec, exec, s[62:63]
.LBB6_4264:                             ;   in Loop: Header=BB6_4252 Depth=2
	s_or_b64 exec, exec, s[60:61]
.LBB6_4265:                             ;   in Loop: Header=BB6_4252 Depth=2
	s_or_b64 exec, exec, s[58:59]
	v_max_f32_e32 v2, v2, v2
	v_max_f32_e32 v1, v1, v1
	;; [unrolled: 1-line block ×3, first 2 shown]
	s_branch .LBB6_4280
.LBB6_4266:                             ;   in Loop: Header=BB6_4252 Depth=2
                                        ; implicit-def: $vgpr2
	s_cbranch_execz .LBB6_4280
; %bb.4267:                             ;   in Loop: Header=BB6_4252 Depth=2
	v_mov_b32_e32 v2, 0
	v_mov_b32_e32 v1, 0
	s_and_saveexec_b64 s[58:59], s[20:21]
	s_cbranch_execz .LBB6_4273
; %bb.4268:                             ;   in Loop: Header=BB6_4252 Depth=2
	v_cmp_ne_u16_sdwa vcc, v14, s69 src0_sel:BYTE_0 src1_sel:DWORD
	v_bfrev_b32_e32 v1, 1
	s_and_saveexec_b64 s[20:21], vcc
	s_cbranch_execz .LBB6_4272
; %bb.4269:                             ;   in Loop: Header=BB6_4252 Depth=2
	v_and_b32_e32 v3, 0x7f, v14
	v_cmp_ne_u32_e32 vcc, s71, v3
	v_mov_b32_e32 v1, 0x7f800001
	s_and_saveexec_b64 s[60:61], vcc
	s_cbranch_execz .LBB6_4271
; %bb.4270:                             ;   in Loop: Header=BB6_4252 Depth=2
	v_and_b32_e32 v1, 7, v14
	v_ffbh_u32_e32 v1, v1
	v_min_u32_e32 v1, 32, v1
	v_subrev_u32_e32 v5, 28, v1
	v_cmp_gt_u32_e32 vcc, 8, v3
	v_lshrrev_b32_e32 v4, 3, v3
	v_sub_u32_e32 v1, 29, v1
	v_cndmask_b32_e32 v3, 0, v5, vcc
	v_cndmask_b32_e32 v1, v4, v1, vcc
	v_lshlrev_b64 v[4:5], v3, v[14:15]
	v_lshlrev_b32_e32 v3, 20, v4
	v_lshlrev_b32_e32 v4, 24, v14
	v_and_b32_e32 v3, 0x700000, v3
	v_and_b32_e32 v4, 0x80000000, v4
	v_lshl_add_u32 v1, v1, 23, v61
	v_or3_b32 v1, v4, v1, v3
.LBB6_4271:                             ;   in Loop: Header=BB6_4252 Depth=2
	s_or_b64 exec, exec, s[60:61]
.LBB6_4272:                             ;   in Loop: Header=BB6_4252 Depth=2
	s_or_b64 exec, exec, s[20:21]
.LBB6_4273:                             ;   in Loop: Header=BB6_4252 Depth=2
	s_or_b64 exec, exec, s[58:59]
	s_waitcnt vmcnt(0)
	v_cmp_ne_u16_sdwa vcc, v10, v53 src0_sel:BYTE_0 src1_sel:DWORD
	s_and_saveexec_b64 s[20:21], vcc
	s_cbranch_execz .LBB6_4279
; %bb.4274:                             ;   in Loop: Header=BB6_4252 Depth=2
	v_cmp_ne_u16_sdwa vcc, v10, s69 src0_sel:BYTE_0 src1_sel:DWORD
	v_bfrev_b32_e32 v2, 1
	s_and_saveexec_b64 s[58:59], vcc
	s_cbranch_execz .LBB6_4278
; %bb.4275:                             ;   in Loop: Header=BB6_4252 Depth=2
	v_and_b32_e32 v3, 0x7f, v10
	v_cmp_ne_u32_e32 vcc, s71, v3
	v_mov_b32_e32 v2, 0x7f800001
	s_and_saveexec_b64 s[60:61], vcc
	s_cbranch_execz .LBB6_4277
; %bb.4276:                             ;   in Loop: Header=BB6_4252 Depth=2
	v_and_b32_e32 v2, 7, v10
	v_ffbh_u32_e32 v2, v2
	v_min_u32_e32 v2, 32, v2
	v_lshrrev_b32_e32 v4, 3, v3
	v_subrev_u32_e32 v5, 28, v2
	v_sub_u32_e32 v2, 29, v2
	v_cmp_gt_u32_e32 vcc, 8, v3
	v_cndmask_b32_e32 v4, v4, v2, vcc
	v_cndmask_b32_e32 v2, 0, v5, vcc
	v_lshlrev_b64 v[2:3], v2, v[10:11]
	v_lshlrev_b32_e32 v2, 20, v2
	v_lshlrev_b32_e32 v3, 24, v10
	v_and_b32_e32 v2, 0x700000, v2
	v_and_b32_e32 v3, 0x80000000, v3
	v_lshl_add_u32 v4, v4, 23, v61
	v_or3_b32 v2, v3, v4, v2
.LBB6_4277:                             ;   in Loop: Header=BB6_4252 Depth=2
	s_or_b64 exec, exec, s[60:61]
.LBB6_4278:                             ;   in Loop: Header=BB6_4252 Depth=2
	s_or_b64 exec, exec, s[58:59]
.LBB6_4279:                             ;   in Loop: Header=BB6_4252 Depth=2
	s_or_b64 exec, exec, s[20:21]
	v_max_f32_e32 v2, v2, v2
	v_max_f32_e32 v1, v1, v1
	v_min_f32_e32 v2, v1, v2
.LBB6_4280:                             ;   in Loop: Header=BB6_4252 Depth=2
	v_and_b32_sdwa v1, v2, s69 dst_sel:DWORD dst_unused:UNUSED_PAD src0_sel:BYTE_3 src1_sel:DWORD
	v_and_b32_e32 v4, 0x7f800000, v2
	v_mov_b32_e32 v5, v53
	v_and_b32_e32 v52, 0x7fffff, v2
	v_or_b32_e32 v31, 0x7e, v1
	v_cmp_ne_u64_e32 vcc, s[40:41], v[4:5]
	s_and_saveexec_b64 s[20:21], vcc
	s_xor_b64 s[58:59], exec, s[20:21]
	s_cbranch_execz .LBB6_4290
; %bb.4281:                             ;   in Loop: Header=BB6_4252 Depth=2
	v_and_b32_e32 v4, 0x7fffffff, v2
	v_mov_b32_e32 v5, v53
	v_cmp_gt_u64_e32 vcc, s[42:43], v[4:5]
	s_and_saveexec_b64 s[60:61], vcc
	s_cbranch_execz .LBB6_4289
; %bb.4282:                             ;   in Loop: Header=BB6_4252 Depth=2
	v_cmp_ne_u32_e32 vcc, 0, v2
	v_mov_b32_e32 v31, 0
	s_and_saveexec_b64 s[62:63], vcc
	s_cbranch_execz .LBB6_4288
; %bb.4283:                             ;   in Loop: Header=BB6_4252 Depth=2
	v_bfe_u32 v2, v2, 23, 8
	v_sub_u32_e32 v4, 0x79, v2
	v_cmp_gt_u32_e32 vcc, s73, v2
	v_cndmask_b32_e32 v4, 0, v4, vcc
	v_cmp_eq_u32_e32 vcc, 0, v2
	v_or_b32_e32 v5, 0x800000, v52
	v_cndmask_b32_e32 v4, v4, v32, vcc
	v_add_u32_e32 v3, 0xffffff81, v2
	v_cndmask_b32_e32 v52, v5, v52, vcc
	v_add_u32_e32 v2, 20, v4
	v_cndmask_b32_e32 v24, v3, v33, vcc
	v_lshlrev_b64 v[2:3], v2, -1
	v_add_u32_e32 v5, 19, v4
	v_lshrrev_b64 v[8:9], v4, v[52:53]
	v_not_b32_e32 v3, v3
	v_not_b32_e32 v2, v2
	v_lshlrev_b64 v[6:7], v5, 1
	v_lshrrev_b32_e32 v5, 23, v8
	v_and_b32_e32 v3, 0, v3
	v_and_b32_e32 v2, v52, v2
	v_add3_u32 v24, v4, v24, v5
	v_bfe_u32 v4, v8, 20, 1
	v_add_u32_e32 v4, -1, v4
	v_cmp_eq_u64_e32 vcc, v[2:3], v[6:7]
	v_cndmask_b32_e32 v2, 0, v4, vcc
	v_add_u32_e32 v2, v2, v8
	v_and_b32_e32 v2, 0xfffff, v2
	v_add_co_u32_e32 v2, vcc, v2, v8
	v_add_u32_e32 v5, 6, v24
	v_addc_co_u32_e32 v3, vcc, 0, v9, vcc
	v_cmp_ne_u32_e32 vcc, 0, v5
                                        ; implicit-def: $vgpr4
	s_and_saveexec_b64 s[20:21], vcc
	s_xor_b64 s[20:21], exec, s[20:21]
; %bb.4284:                             ;   in Loop: Header=BB6_4252 Depth=2
	v_add_u32_e32 v4, 7, v24
	v_cmp_lt_u64_e32 vcc, s[46:47], v[2:3]
	v_cndmask_b32_e32 v4, v5, v4, vcc
	v_cndmask_b32_e64 v5, 0, 1, vcc
	v_lshrrev_b64 v[2:3], v5, v[2:3]
; %bb.4285:                             ;   in Loop: Header=BB6_4252 Depth=2
	s_andn2_saveexec_b64 s[20:21], s[20:21]
; %bb.4286:                             ;   in Loop: Header=BB6_4252 Depth=2
	v_bfe_u32 v4, v2, 23, 1
; %bb.4287:                             ;   in Loop: Header=BB6_4252 Depth=2
	s_or_b64 exec, exec, s[20:21]
	v_lshrrev_b64 v[2:3], 20, v[2:3]
	v_cmp_gt_i32_e32 vcc, 16, v4
	v_cndmask_b32_e32 v3, 0, v3, vcc
	v_cndmask_b32_e32 v2, 7, v2, vcc
	v_cmp_eq_u64_e64 s[20:21], 0, v[2:3]
	v_min_i32_e32 v3, 15, v4
	v_cmp_eq_u32_e32 vcc, 0, v4
	v_lshlrev_b32_e32 v3, 3, v3
	v_and_or_b32 v2, v2, 7, v3
	s_and_b64 s[20:21], vcc, s[20:21]
	v_cndmask_b32_e64 v2, v2, 0, s[20:21]
	v_or_b32_e32 v31, v2, v1
.LBB6_4288:                             ;   in Loop: Header=BB6_4252 Depth=2
	s_or_b64 exec, exec, s[62:63]
.LBB6_4289:                             ;   in Loop: Header=BB6_4252 Depth=2
	s_or_b64 exec, exec, s[60:61]
                                        ; implicit-def: $vgpr2
.LBB6_4290:                             ;   in Loop: Header=BB6_4252 Depth=2
	s_andn2_saveexec_b64 s[20:21], s[58:59]
; %bb.4291:                             ;   in Loop: Header=BB6_4252 Depth=2
	v_or_b32_sdwa v1, v2, s71 dst_sel:DWORD dst_unused:UNUSED_PAD src0_sel:BYTE_3 src1_sel:DWORD
	v_cmp_eq_u64_e32 vcc, 0, v[52:53]
	v_cndmask_b32_e32 v31, v1, v31, vcc
; %bb.4292:                             ;   in Loop: Header=BB6_4252 Depth=2
	s_or_b64 exec, exec, s[20:21]
	v_lshrrev_b16_e32 v24, 8, v14
	s_waitcnt vmcnt(0)
	v_lshrrev_b16_e32 v2, 8, v10
	v_cmp_ne_u16_e64 s[20:21], 0, v24
	s_and_b64 vcc, exec, s[56:57]
	s_cbranch_vccz .LBB6_4306
; %bb.4293:                             ;   in Loop: Header=BB6_4252 Depth=2
	v_mov_b32_e32 v3, 0
	v_mov_b32_e32 v1, 0
	s_and_saveexec_b64 s[58:59], s[20:21]
	s_cbranch_execz .LBB6_4299
; %bb.4294:                             ;   in Loop: Header=BB6_4252 Depth=2
	v_cmp_ne_u16_e32 vcc, s69, v24
	v_bfrev_b32_e32 v1, 1
	s_and_saveexec_b64 s[60:61], vcc
	s_cbranch_execz .LBB6_4298
; %bb.4295:                             ;   in Loop: Header=BB6_4252 Depth=2
	v_and_b32_e32 v4, 0x7f, v24
	v_cmp_ne_u32_e32 vcc, s71, v4
	v_mov_b32_e32 v1, 0x7f800001
	s_and_saveexec_b64 s[62:63], vcc
	s_cbranch_execz .LBB6_4297
; %bb.4296:                             ;   in Loop: Header=BB6_4252 Depth=2
	v_and_b32_e32 v1, 7, v24
	v_ffbh_u32_e32 v6, v1
	v_min_u32_e32 v8, 32, v6
	v_subrev_u32_e32 v6, 28, v8
	v_lshlrev_b64 v[6:7], v6, v[24:25]
	v_lshrrev_b32_e32 v5, 3, v4
	v_sub_u32_e32 v7, 29, v8
	v_and_b32_e32 v6, 7, v6
	v_cmp_gt_u32_e32 vcc, 8, v4
	v_cndmask_b32_e32 v4, v5, v7, vcc
	v_cndmask_b32_e32 v1, v1, v6, vcc
	v_lshlrev_b32_e32 v5, 16, v14
	v_lshlrev_b32_e32 v1, 20, v1
	v_and_b32_e32 v5, 0x80000000, v5
	v_lshl_add_u32 v4, v4, 23, v61
	v_or3_b32 v1, v5, v4, v1
.LBB6_4297:                             ;   in Loop: Header=BB6_4252 Depth=2
	s_or_b64 exec, exec, s[62:63]
.LBB6_4298:                             ;   in Loop: Header=BB6_4252 Depth=2
	s_or_b64 exec, exec, s[60:61]
.LBB6_4299:                             ;   in Loop: Header=BB6_4252 Depth=2
	s_or_b64 exec, exec, s[58:59]
	v_cmp_ne_u16_e32 vcc, 0, v2
	s_and_saveexec_b64 s[58:59], vcc
	s_cbranch_execz .LBB6_4305
; %bb.4300:                             ;   in Loop: Header=BB6_4252 Depth=2
	v_cmp_ne_u16_e32 vcc, s69, v2
	v_bfrev_b32_e32 v3, 1
	s_and_saveexec_b64 s[60:61], vcc
	s_cbranch_execz .LBB6_4304
; %bb.4301:                             ;   in Loop: Header=BB6_4252 Depth=2
	v_and_b32_e32 v4, 0x7f, v2
	v_cmp_ne_u32_e32 vcc, s71, v4
	v_mov_b32_e32 v3, 0x7f800001
	s_and_saveexec_b64 s[62:63], vcc
	s_cbranch_execz .LBB6_4303
; %bb.4302:                             ;   in Loop: Header=BB6_4252 Depth=2
	v_and_b32_e32 v3, 7, v2
	v_ffbh_u32_e32 v6, v3
	v_min_u32_e32 v8, 32, v6
	v_subrev_u32_e32 v6, 28, v8
	v_lshlrev_b64 v[6:7], v6, v[2:3]
	v_lshrrev_b32_e32 v5, 3, v4
	v_sub_u32_e32 v7, 29, v8
	v_and_b32_e32 v6, 7, v6
	v_cmp_gt_u32_e32 vcc, 8, v4
	v_cndmask_b32_e32 v4, v5, v7, vcc
	v_cndmask_b32_e32 v3, v3, v6, vcc
	v_lshlrev_b32_e32 v5, 16, v10
	v_lshlrev_b32_e32 v3, 20, v3
	v_and_b32_e32 v5, 0x80000000, v5
	v_lshl_add_u32 v4, v4, 23, v61
	v_or3_b32 v3, v5, v4, v3
.LBB6_4303:                             ;   in Loop: Header=BB6_4252 Depth=2
	s_or_b64 exec, exec, s[62:63]
.LBB6_4304:                             ;   in Loop: Header=BB6_4252 Depth=2
	s_or_b64 exec, exec, s[60:61]
.LBB6_4305:                             ;   in Loop: Header=BB6_4252 Depth=2
	s_or_b64 exec, exec, s[58:59]
	v_max_f32_e32 v3, v3, v3
	v_max_f32_e32 v1, v1, v1
	;; [unrolled: 1-line block ×3, first 2 shown]
	s_branch .LBB6_4320
.LBB6_4306:                             ;   in Loop: Header=BB6_4252 Depth=2
                                        ; implicit-def: $vgpr3
	s_cbranch_execz .LBB6_4320
; %bb.4307:                             ;   in Loop: Header=BB6_4252 Depth=2
	v_mov_b32_e32 v3, 0
	v_mov_b32_e32 v1, 0
	s_and_saveexec_b64 s[58:59], s[20:21]
	s_cbranch_execz .LBB6_4313
; %bb.4308:                             ;   in Loop: Header=BB6_4252 Depth=2
	v_cmp_ne_u16_e32 vcc, s69, v24
	v_bfrev_b32_e32 v1, 1
	s_and_saveexec_b64 s[20:21], vcc
	s_cbranch_execz .LBB6_4312
; %bb.4309:                             ;   in Loop: Header=BB6_4252 Depth=2
	v_and_b32_e32 v4, 0x7f, v24
	v_cmp_ne_u32_e32 vcc, s71, v4
	v_mov_b32_e32 v1, 0x7f800001
	s_and_saveexec_b64 s[60:61], vcc
	s_cbranch_execz .LBB6_4311
; %bb.4310:                             ;   in Loop: Header=BB6_4252 Depth=2
	v_and_b32_e32 v1, 7, v24
	v_ffbh_u32_e32 v6, v1
	v_min_u32_e32 v8, 32, v6
	v_subrev_u32_e32 v6, 28, v8
	v_lshlrev_b64 v[6:7], v6, v[24:25]
	v_lshrrev_b32_e32 v5, 3, v4
	v_sub_u32_e32 v7, 29, v8
	v_and_b32_e32 v6, 7, v6
	v_cmp_gt_u32_e32 vcc, 8, v4
	v_cndmask_b32_e32 v4, v5, v7, vcc
	v_cndmask_b32_e32 v1, v1, v6, vcc
	v_lshlrev_b32_e32 v5, 16, v14
	v_lshlrev_b32_e32 v1, 20, v1
	v_and_b32_e32 v5, 0x80000000, v5
	v_lshl_add_u32 v4, v4, 23, v61
	v_or3_b32 v1, v5, v4, v1
.LBB6_4311:                             ;   in Loop: Header=BB6_4252 Depth=2
	s_or_b64 exec, exec, s[60:61]
.LBB6_4312:                             ;   in Loop: Header=BB6_4252 Depth=2
	s_or_b64 exec, exec, s[20:21]
.LBB6_4313:                             ;   in Loop: Header=BB6_4252 Depth=2
	s_or_b64 exec, exec, s[58:59]
	v_cmp_ne_u16_e32 vcc, 0, v2
	s_and_saveexec_b64 s[20:21], vcc
	s_cbranch_execz .LBB6_4319
; %bb.4314:                             ;   in Loop: Header=BB6_4252 Depth=2
	v_cmp_ne_u16_e32 vcc, s69, v2
	v_bfrev_b32_e32 v3, 1
	s_and_saveexec_b64 s[58:59], vcc
	s_cbranch_execz .LBB6_4318
; %bb.4315:                             ;   in Loop: Header=BB6_4252 Depth=2
	v_and_b32_e32 v4, 0x7f, v2
	v_cmp_ne_u32_e32 vcc, s71, v4
	v_mov_b32_e32 v3, 0x7f800001
	s_and_saveexec_b64 s[60:61], vcc
	s_cbranch_execz .LBB6_4317
; %bb.4316:                             ;   in Loop: Header=BB6_4252 Depth=2
	v_and_b32_e32 v5, 7, v2
	v_ffbh_u32_e32 v3, v5
	v_min_u32_e32 v7, 32, v3
	v_subrev_u32_e32 v3, 28, v7
	v_lshlrev_b64 v[2:3], v3, v[2:3]
	v_lshrrev_b32_e32 v6, 3, v4
	v_sub_u32_e32 v3, 29, v7
	v_and_b32_e32 v2, 7, v2
	v_cmp_gt_u32_e32 vcc, 8, v4
	v_cndmask_b32_e32 v3, v6, v3, vcc
	v_cndmask_b32_e32 v2, v5, v2, vcc
	v_lshlrev_b32_e32 v4, 16, v10
	v_lshlrev_b32_e32 v2, 20, v2
	v_and_b32_e32 v4, 0x80000000, v4
	v_lshl_add_u32 v3, v3, 23, v61
	v_or3_b32 v3, v4, v3, v2
.LBB6_4317:                             ;   in Loop: Header=BB6_4252 Depth=2
	s_or_b64 exec, exec, s[60:61]
.LBB6_4318:                             ;   in Loop: Header=BB6_4252 Depth=2
	s_or_b64 exec, exec, s[58:59]
.LBB6_4319:                             ;   in Loop: Header=BB6_4252 Depth=2
	s_or_b64 exec, exec, s[20:21]
	v_max_f32_e32 v2, v3, v3
	v_max_f32_e32 v1, v1, v1
	v_min_f32_e32 v3, v1, v2
.LBB6_4320:                             ;   in Loop: Header=BB6_4252 Depth=2
	v_and_b32_sdwa v1, v3, s69 dst_sel:DWORD dst_unused:UNUSED_PAD src0_sel:BYTE_3 src1_sel:DWORD
	v_and_b32_e32 v4, 0x7f800000, v3
	v_mov_b32_e32 v5, v53
	v_and_b32_e32 v52, 0x7fffff, v3
	v_or_b32_e32 v34, 0x7e, v1
	v_cmp_ne_u64_e32 vcc, s[40:41], v[4:5]
	s_and_saveexec_b64 s[20:21], vcc
	s_xor_b64 s[58:59], exec, s[20:21]
	s_cbranch_execz .LBB6_4330
; %bb.4321:                             ;   in Loop: Header=BB6_4252 Depth=2
	v_and_b32_e32 v4, 0x7fffffff, v3
	v_mov_b32_e32 v5, v53
	v_cmp_gt_u64_e32 vcc, s[42:43], v[4:5]
	s_and_saveexec_b64 s[60:61], vcc
	s_cbranch_execz .LBB6_4329
; %bb.4322:                             ;   in Loop: Header=BB6_4252 Depth=2
	v_cmp_ne_u32_e32 vcc, 0, v3
	v_mov_b32_e32 v34, 0
	s_and_saveexec_b64 s[62:63], vcc
	s_cbranch_execz .LBB6_4328
; %bb.4323:                             ;   in Loop: Header=BB6_4252 Depth=2
	v_bfe_u32 v2, v3, 23, 8
	v_sub_u32_e32 v4, 0x79, v2
	v_cmp_gt_u32_e32 vcc, s73, v2
	v_cndmask_b32_e32 v4, 0, v4, vcc
	v_cmp_eq_u32_e32 vcc, 0, v2
	v_or_b32_e32 v5, 0x800000, v52
	v_cndmask_b32_e32 v4, v4, v32, vcc
	v_add_u32_e32 v3, 0xffffff81, v2
	v_cndmask_b32_e32 v52, v5, v52, vcc
	v_add_u32_e32 v2, 20, v4
	v_cndmask_b32_e32 v24, v3, v33, vcc
	v_lshlrev_b64 v[2:3], v2, -1
	v_add_u32_e32 v5, 19, v4
	v_lshrrev_b64 v[8:9], v4, v[52:53]
	v_not_b32_e32 v3, v3
	v_not_b32_e32 v2, v2
	v_lshlrev_b64 v[6:7], v5, 1
	v_lshrrev_b32_e32 v5, 23, v8
	v_and_b32_e32 v3, 0, v3
	v_and_b32_e32 v2, v52, v2
	v_add3_u32 v24, v4, v24, v5
	v_bfe_u32 v4, v8, 20, 1
	v_add_u32_e32 v4, -1, v4
	v_cmp_eq_u64_e32 vcc, v[2:3], v[6:7]
	v_cndmask_b32_e32 v2, 0, v4, vcc
	v_add_u32_e32 v2, v2, v8
	v_and_b32_e32 v2, 0xfffff, v2
	v_add_co_u32_e32 v2, vcc, v2, v8
	v_add_u32_e32 v5, 6, v24
	v_addc_co_u32_e32 v3, vcc, 0, v9, vcc
	v_cmp_ne_u32_e32 vcc, 0, v5
                                        ; implicit-def: $vgpr4
	s_and_saveexec_b64 s[20:21], vcc
	s_xor_b64 s[20:21], exec, s[20:21]
; %bb.4324:                             ;   in Loop: Header=BB6_4252 Depth=2
	v_add_u32_e32 v4, 7, v24
	v_cmp_lt_u64_e32 vcc, s[46:47], v[2:3]
	v_cndmask_b32_e32 v4, v5, v4, vcc
	v_cndmask_b32_e64 v5, 0, 1, vcc
	v_lshrrev_b64 v[2:3], v5, v[2:3]
; %bb.4325:                             ;   in Loop: Header=BB6_4252 Depth=2
	s_andn2_saveexec_b64 s[20:21], s[20:21]
; %bb.4326:                             ;   in Loop: Header=BB6_4252 Depth=2
	v_bfe_u32 v4, v2, 23, 1
; %bb.4327:                             ;   in Loop: Header=BB6_4252 Depth=2
	s_or_b64 exec, exec, s[20:21]
	v_lshrrev_b64 v[2:3], 20, v[2:3]
	v_cmp_gt_i32_e32 vcc, 16, v4
	v_cndmask_b32_e32 v3, 0, v3, vcc
	v_cndmask_b32_e32 v2, 7, v2, vcc
	v_cmp_eq_u64_e64 s[20:21], 0, v[2:3]
	v_min_i32_e32 v3, 15, v4
	v_cmp_eq_u32_e32 vcc, 0, v4
	v_lshlrev_b32_e32 v3, 3, v3
	v_and_or_b32 v2, v2, 7, v3
	s_and_b64 s[20:21], vcc, s[20:21]
	v_cndmask_b32_e64 v2, v2, 0, s[20:21]
	v_or_b32_e32 v34, v2, v1
.LBB6_4328:                             ;   in Loop: Header=BB6_4252 Depth=2
	s_or_b64 exec, exec, s[62:63]
.LBB6_4329:                             ;   in Loop: Header=BB6_4252 Depth=2
	s_or_b64 exec, exec, s[60:61]
                                        ; implicit-def: $vgpr3
.LBB6_4330:                             ;   in Loop: Header=BB6_4252 Depth=2
	s_andn2_saveexec_b64 s[20:21], s[58:59]
; %bb.4331:                             ;   in Loop: Header=BB6_4252 Depth=2
	v_or_b32_sdwa v1, v3, s71 dst_sel:DWORD dst_unused:UNUSED_PAD src0_sel:BYTE_3 src1_sel:DWORD
	v_cmp_eq_u64_e32 vcc, 0, v[52:53]
	v_cndmask_b32_e32 v34, v1, v34, vcc
; %bb.4332:                             ;   in Loop: Header=BB6_4252 Depth=2
	s_or_b64 exec, exec, s[20:21]
	v_lshrrev_b32_e32 v24, 16, v14
	v_lshrrev_b32_e32 v2, 16, v10
	v_cmp_ne_u16_sdwa s[20:21], v24, v53 src0_sel:BYTE_0 src1_sel:DWORD
	s_and_b64 vcc, exec, s[56:57]
	s_cbranch_vccz .LBB6_4346
; %bb.4333:                             ;   in Loop: Header=BB6_4252 Depth=2
	v_mov_b32_e32 v3, 0
	v_mov_b32_e32 v1, 0
	s_and_saveexec_b64 s[58:59], s[20:21]
	s_cbranch_execz .LBB6_4339
; %bb.4334:                             ;   in Loop: Header=BB6_4252 Depth=2
	v_cmp_ne_u16_sdwa vcc, v24, s69 src0_sel:BYTE_0 src1_sel:DWORD
	v_bfrev_b32_e32 v1, 1
	s_and_saveexec_b64 s[60:61], vcc
	s_cbranch_execz .LBB6_4338
; %bb.4335:                             ;   in Loop: Header=BB6_4252 Depth=2
	v_bfe_u32 v4, v14, 16, 7
	v_cmp_ne_u32_e32 vcc, s71, v4
	v_mov_b32_e32 v1, 0x7f800001
	s_and_saveexec_b64 s[62:63], vcc
	s_cbranch_execz .LBB6_4337
; %bb.4336:                             ;   in Loop: Header=BB6_4252 Depth=2
	v_and_b32_e32 v1, 7, v24
	v_ffbh_u32_e32 v6, v1
	v_min_u32_e32 v8, 32, v6
	v_subrev_u32_e32 v6, 28, v8
	v_lshlrev_b64 v[6:7], v6, v[24:25]
	v_lshrrev_b32_e32 v5, 3, v4
	v_sub_u32_e32 v7, 29, v8
	v_and_b32_e32 v6, 7, v6
	v_cmp_gt_u32_e32 vcc, 8, v4
	v_cndmask_b32_e32 v4, v5, v7, vcc
	v_cndmask_b32_e32 v1, v1, v6, vcc
	v_lshlrev_b32_e32 v5, 24, v24
	v_lshlrev_b32_e32 v1, 20, v1
	v_and_b32_e32 v5, 0x80000000, v5
	v_lshl_add_u32 v4, v4, 23, v61
	v_or3_b32 v1, v5, v4, v1
.LBB6_4337:                             ;   in Loop: Header=BB6_4252 Depth=2
	s_or_b64 exec, exec, s[62:63]
.LBB6_4338:                             ;   in Loop: Header=BB6_4252 Depth=2
	s_or_b64 exec, exec, s[60:61]
.LBB6_4339:                             ;   in Loop: Header=BB6_4252 Depth=2
	s_or_b64 exec, exec, s[58:59]
	v_cmp_ne_u16_sdwa vcc, v2, v53 src0_sel:BYTE_0 src1_sel:DWORD
	s_and_saveexec_b64 s[58:59], vcc
	s_cbranch_execz .LBB6_4345
; %bb.4340:                             ;   in Loop: Header=BB6_4252 Depth=2
	v_cmp_ne_u16_sdwa vcc, v2, s69 src0_sel:BYTE_0 src1_sel:DWORD
	v_bfrev_b32_e32 v3, 1
	s_and_saveexec_b64 s[60:61], vcc
	s_cbranch_execz .LBB6_4344
; %bb.4341:                             ;   in Loop: Header=BB6_4252 Depth=2
	v_bfe_u32 v4, v10, 16, 7
	v_cmp_ne_u32_e32 vcc, s71, v4
	v_mov_b32_e32 v3, 0x7f800001
	s_and_saveexec_b64 s[62:63], vcc
	s_cbranch_execz .LBB6_4343
; %bb.4342:                             ;   in Loop: Header=BB6_4252 Depth=2
	v_and_b32_e32 v3, 7, v2
	v_ffbh_u32_e32 v6, v3
	v_min_u32_e32 v8, 32, v6
	v_subrev_u32_e32 v6, 28, v8
	v_lshlrev_b64 v[6:7], v6, v[2:3]
	v_lshrrev_b32_e32 v5, 3, v4
	v_sub_u32_e32 v7, 29, v8
	v_and_b32_e32 v6, 7, v6
	v_cmp_gt_u32_e32 vcc, 8, v4
	v_cndmask_b32_e32 v4, v5, v7, vcc
	v_cndmask_b32_e32 v3, v3, v6, vcc
	v_lshlrev_b32_e32 v5, 24, v2
	v_lshlrev_b32_e32 v3, 20, v3
	v_and_b32_e32 v5, 0x80000000, v5
	v_lshl_add_u32 v4, v4, 23, v61
	v_or3_b32 v3, v5, v4, v3
.LBB6_4343:                             ;   in Loop: Header=BB6_4252 Depth=2
	s_or_b64 exec, exec, s[62:63]
.LBB6_4344:                             ;   in Loop: Header=BB6_4252 Depth=2
	s_or_b64 exec, exec, s[60:61]
.LBB6_4345:                             ;   in Loop: Header=BB6_4252 Depth=2
	s_or_b64 exec, exec, s[58:59]
	v_max_f32_e32 v3, v3, v3
	v_max_f32_e32 v1, v1, v1
	v_max_f32_e32 v3, v1, v3
	s_branch .LBB6_4360
.LBB6_4346:                             ;   in Loop: Header=BB6_4252 Depth=2
                                        ; implicit-def: $vgpr3
	s_cbranch_execz .LBB6_4360
; %bb.4347:                             ;   in Loop: Header=BB6_4252 Depth=2
	v_mov_b32_e32 v3, 0
	v_mov_b32_e32 v1, 0
	s_and_saveexec_b64 s[58:59], s[20:21]
	s_cbranch_execz .LBB6_4353
; %bb.4348:                             ;   in Loop: Header=BB6_4252 Depth=2
	v_cmp_ne_u16_sdwa vcc, v24, s69 src0_sel:BYTE_0 src1_sel:DWORD
	v_bfrev_b32_e32 v1, 1
	s_and_saveexec_b64 s[20:21], vcc
	s_cbranch_execz .LBB6_4352
; %bb.4349:                             ;   in Loop: Header=BB6_4252 Depth=2
	v_bfe_u32 v4, v14, 16, 7
	v_cmp_ne_u32_e32 vcc, s71, v4
	v_mov_b32_e32 v1, 0x7f800001
	s_and_saveexec_b64 s[60:61], vcc
	s_cbranch_execz .LBB6_4351
; %bb.4350:                             ;   in Loop: Header=BB6_4252 Depth=2
	v_and_b32_e32 v1, 7, v24
	v_ffbh_u32_e32 v6, v1
	v_min_u32_e32 v8, 32, v6
	v_subrev_u32_e32 v6, 28, v8
	v_lshlrev_b64 v[6:7], v6, v[24:25]
	v_lshrrev_b32_e32 v5, 3, v4
	v_sub_u32_e32 v7, 29, v8
	v_and_b32_e32 v6, 7, v6
	v_cmp_gt_u32_e32 vcc, 8, v4
	v_cndmask_b32_e32 v4, v5, v7, vcc
	v_cndmask_b32_e32 v1, v1, v6, vcc
	v_lshlrev_b32_e32 v5, 24, v24
	v_lshlrev_b32_e32 v1, 20, v1
	v_and_b32_e32 v5, 0x80000000, v5
	v_lshl_add_u32 v4, v4, 23, v61
	v_or3_b32 v1, v5, v4, v1
.LBB6_4351:                             ;   in Loop: Header=BB6_4252 Depth=2
	s_or_b64 exec, exec, s[60:61]
.LBB6_4352:                             ;   in Loop: Header=BB6_4252 Depth=2
	s_or_b64 exec, exec, s[20:21]
.LBB6_4353:                             ;   in Loop: Header=BB6_4252 Depth=2
	s_or_b64 exec, exec, s[58:59]
	v_cmp_ne_u16_sdwa vcc, v2, v53 src0_sel:BYTE_0 src1_sel:DWORD
	s_and_saveexec_b64 s[20:21], vcc
	s_cbranch_execz .LBB6_4359
; %bb.4354:                             ;   in Loop: Header=BB6_4252 Depth=2
	v_cmp_ne_u16_sdwa vcc, v2, s69 src0_sel:BYTE_0 src1_sel:DWORD
	v_bfrev_b32_e32 v3, 1
	s_and_saveexec_b64 s[58:59], vcc
	s_cbranch_execz .LBB6_4358
; %bb.4355:                             ;   in Loop: Header=BB6_4252 Depth=2
	v_bfe_u32 v4, v10, 16, 7
	v_cmp_ne_u32_e32 vcc, s71, v4
	v_mov_b32_e32 v3, 0x7f800001
	s_and_saveexec_b64 s[60:61], vcc
	s_cbranch_execz .LBB6_4357
; %bb.4356:                             ;   in Loop: Header=BB6_4252 Depth=2
	v_and_b32_e32 v3, 7, v2
	v_ffbh_u32_e32 v6, v3
	v_min_u32_e32 v8, 32, v6
	v_subrev_u32_e32 v6, 28, v8
	v_lshlrev_b64 v[6:7], v6, v[2:3]
	v_lshrrev_b32_e32 v5, 3, v4
	v_sub_u32_e32 v7, 29, v8
	v_and_b32_e32 v6, 7, v6
	v_cmp_gt_u32_e32 vcc, 8, v4
	v_cndmask_b32_e32 v4, v5, v7, vcc
	v_cndmask_b32_e32 v3, v3, v6, vcc
	v_lshlrev_b32_e32 v2, 24, v2
	v_lshlrev_b32_e32 v3, 20, v3
	v_and_b32_e32 v2, 0x80000000, v2
	v_lshl_add_u32 v4, v4, 23, v61
	v_or3_b32 v3, v2, v4, v3
.LBB6_4357:                             ;   in Loop: Header=BB6_4252 Depth=2
	s_or_b64 exec, exec, s[60:61]
.LBB6_4358:                             ;   in Loop: Header=BB6_4252 Depth=2
	s_or_b64 exec, exec, s[58:59]
.LBB6_4359:                             ;   in Loop: Header=BB6_4252 Depth=2
	s_or_b64 exec, exec, s[20:21]
	v_max_f32_e32 v2, v3, v3
	v_max_f32_e32 v1, v1, v1
	v_min_f32_e32 v3, v1, v2
.LBB6_4360:                             ;   in Loop: Header=BB6_4252 Depth=2
	v_and_b32_sdwa v1, v3, s69 dst_sel:DWORD dst_unused:UNUSED_PAD src0_sel:BYTE_3 src1_sel:DWORD
	v_and_b32_e32 v4, 0x7f800000, v3
	v_mov_b32_e32 v5, v53
	v_and_b32_e32 v52, 0x7fffff, v3
	v_or_b32_e32 v27, 0x7e, v1
	v_cmp_ne_u64_e32 vcc, s[40:41], v[4:5]
	s_and_saveexec_b64 s[20:21], vcc
	s_xor_b64 s[58:59], exec, s[20:21]
	s_cbranch_execz .LBB6_4370
; %bb.4361:                             ;   in Loop: Header=BB6_4252 Depth=2
	v_and_b32_e32 v4, 0x7fffffff, v3
	v_mov_b32_e32 v5, v53
	v_cmp_gt_u64_e32 vcc, s[42:43], v[4:5]
	s_and_saveexec_b64 s[60:61], vcc
	s_cbranch_execz .LBB6_4369
; %bb.4362:                             ;   in Loop: Header=BB6_4252 Depth=2
	v_cmp_ne_u32_e32 vcc, 0, v3
	v_mov_b32_e32 v27, 0
	s_and_saveexec_b64 s[62:63], vcc
	s_cbranch_execz .LBB6_4368
; %bb.4363:                             ;   in Loop: Header=BB6_4252 Depth=2
	v_bfe_u32 v2, v3, 23, 8
	v_sub_u32_e32 v4, 0x79, v2
	v_cmp_gt_u32_e32 vcc, s73, v2
	v_cndmask_b32_e32 v4, 0, v4, vcc
	v_cmp_eq_u32_e32 vcc, 0, v2
	v_or_b32_e32 v5, 0x800000, v52
	v_cndmask_b32_e32 v4, v4, v32, vcc
	v_add_u32_e32 v3, 0xffffff81, v2
	v_cndmask_b32_e32 v52, v5, v52, vcc
	v_add_u32_e32 v2, 20, v4
	v_cndmask_b32_e32 v24, v3, v33, vcc
	v_lshlrev_b64 v[2:3], v2, -1
	v_add_u32_e32 v5, 19, v4
	v_lshrrev_b64 v[8:9], v4, v[52:53]
	v_not_b32_e32 v3, v3
	v_not_b32_e32 v2, v2
	v_lshlrev_b64 v[6:7], v5, 1
	v_lshrrev_b32_e32 v5, 23, v8
	v_and_b32_e32 v3, 0, v3
	v_and_b32_e32 v2, v52, v2
	v_add3_u32 v24, v4, v24, v5
	v_bfe_u32 v4, v8, 20, 1
	v_add_u32_e32 v4, -1, v4
	v_cmp_eq_u64_e32 vcc, v[2:3], v[6:7]
	v_cndmask_b32_e32 v2, 0, v4, vcc
	v_add_u32_e32 v2, v2, v8
	v_and_b32_e32 v2, 0xfffff, v2
	v_add_co_u32_e32 v2, vcc, v2, v8
	v_add_u32_e32 v5, 6, v24
	v_addc_co_u32_e32 v3, vcc, 0, v9, vcc
	v_cmp_ne_u32_e32 vcc, 0, v5
                                        ; implicit-def: $vgpr4
	s_and_saveexec_b64 s[20:21], vcc
	s_xor_b64 s[20:21], exec, s[20:21]
; %bb.4364:                             ;   in Loop: Header=BB6_4252 Depth=2
	v_add_u32_e32 v4, 7, v24
	v_cmp_lt_u64_e32 vcc, s[46:47], v[2:3]
	v_cndmask_b32_e32 v4, v5, v4, vcc
	v_cndmask_b32_e64 v5, 0, 1, vcc
	v_lshrrev_b64 v[2:3], v5, v[2:3]
; %bb.4365:                             ;   in Loop: Header=BB6_4252 Depth=2
	s_andn2_saveexec_b64 s[20:21], s[20:21]
; %bb.4366:                             ;   in Loop: Header=BB6_4252 Depth=2
	v_bfe_u32 v4, v2, 23, 1
; %bb.4367:                             ;   in Loop: Header=BB6_4252 Depth=2
	s_or_b64 exec, exec, s[20:21]
	v_lshrrev_b64 v[2:3], 20, v[2:3]
	v_cmp_gt_i32_e32 vcc, 16, v4
	v_cndmask_b32_e32 v3, 0, v3, vcc
	v_cndmask_b32_e32 v2, 7, v2, vcc
	v_cmp_eq_u64_e64 s[20:21], 0, v[2:3]
	v_min_i32_e32 v3, 15, v4
	v_cmp_eq_u32_e32 vcc, 0, v4
	v_lshlrev_b32_e32 v3, 3, v3
	v_and_or_b32 v2, v2, 7, v3
	s_and_b64 s[20:21], vcc, s[20:21]
	v_cndmask_b32_e64 v2, v2, 0, s[20:21]
	v_or_b32_e32 v27, v2, v1
.LBB6_4368:                             ;   in Loop: Header=BB6_4252 Depth=2
	s_or_b64 exec, exec, s[62:63]
.LBB6_4369:                             ;   in Loop: Header=BB6_4252 Depth=2
	s_or_b64 exec, exec, s[60:61]
                                        ; implicit-def: $vgpr3
.LBB6_4370:                             ;   in Loop: Header=BB6_4252 Depth=2
	s_andn2_saveexec_b64 s[20:21], s[58:59]
; %bb.4371:                             ;   in Loop: Header=BB6_4252 Depth=2
	v_or_b32_sdwa v1, v3, s71 dst_sel:DWORD dst_unused:UNUSED_PAD src0_sel:BYTE_3 src1_sel:DWORD
	v_cmp_eq_u64_e32 vcc, 0, v[52:53]
	v_cndmask_b32_e32 v27, v1, v27, vcc
; %bb.4372:                             ;   in Loop: Header=BB6_4252 Depth=2
	s_or_b64 exec, exec, s[20:21]
	v_lshrrev_b32_e32 v24, 24, v14
	v_lshrrev_b32_e32 v2, 24, v10
	v_cmp_lt_u32_e64 s[20:21], s45, v14
	s_and_b64 vcc, exec, s[56:57]
	s_cbranch_vccz .LBB6_4386
; %bb.4373:                             ;   in Loop: Header=BB6_4252 Depth=2
	v_mov_b32_e32 v3, 0
	v_mov_b32_e32 v1, 0
	s_and_saveexec_b64 s[58:59], s[20:21]
	s_cbranch_execz .LBB6_4379
; %bb.4374:                             ;   in Loop: Header=BB6_4252 Depth=2
	v_cmp_ne_u32_e32 vcc, s69, v24
	v_bfrev_b32_e32 v1, 1
	s_and_saveexec_b64 s[60:61], vcc
	s_cbranch_execz .LBB6_4378
; %bb.4375:                             ;   in Loop: Header=BB6_4252 Depth=2
	v_bfe_u32 v4, v14, 24, 7
	v_cmp_ne_u32_e32 vcc, s71, v4
	v_mov_b32_e32 v1, 0x7f800001
	s_and_saveexec_b64 s[62:63], vcc
	s_cbranch_execz .LBB6_4377
; %bb.4376:                             ;   in Loop: Header=BB6_4252 Depth=2
	v_and_b32_e32 v1, 7, v24
	v_ffbh_u32_e32 v6, v1
	v_min_u32_e32 v8, 32, v6
	v_subrev_u32_e32 v6, 28, v8
	v_lshlrev_b64 v[6:7], v6, v[24:25]
	v_lshrrev_b32_e32 v5, 3, v4
	v_sub_u32_e32 v7, 29, v8
	v_and_b32_e32 v6, 7, v6
	v_cmp_gt_u32_e32 vcc, 8, v4
	v_cndmask_b32_e32 v4, v5, v7, vcc
	v_cndmask_b32_e32 v1, v1, v6, vcc
	v_lshlrev_b32_e32 v5, 24, v24
	v_lshlrev_b32_e32 v1, 20, v1
	v_and_b32_e32 v5, 0x80000000, v5
	v_lshl_add_u32 v4, v4, 23, v61
	v_or3_b32 v1, v5, v4, v1
.LBB6_4377:                             ;   in Loop: Header=BB6_4252 Depth=2
	s_or_b64 exec, exec, s[62:63]
.LBB6_4378:                             ;   in Loop: Header=BB6_4252 Depth=2
	s_or_b64 exec, exec, s[60:61]
.LBB6_4379:                             ;   in Loop: Header=BB6_4252 Depth=2
	s_or_b64 exec, exec, s[58:59]
	v_cmp_lt_u32_e32 vcc, s45, v10
	s_and_saveexec_b64 s[58:59], vcc
	s_cbranch_execz .LBB6_4385
; %bb.4380:                             ;   in Loop: Header=BB6_4252 Depth=2
	v_cmp_ne_u32_e32 vcc, s69, v2
	v_bfrev_b32_e32 v3, 1
	s_and_saveexec_b64 s[60:61], vcc
	s_cbranch_execz .LBB6_4384
; %bb.4381:                             ;   in Loop: Header=BB6_4252 Depth=2
	v_bfe_u32 v4, v10, 24, 7
	v_cmp_ne_u32_e32 vcc, s71, v4
	v_mov_b32_e32 v3, 0x7f800001
	s_and_saveexec_b64 s[62:63], vcc
	s_cbranch_execz .LBB6_4383
; %bb.4382:                             ;   in Loop: Header=BB6_4252 Depth=2
	v_and_b32_e32 v3, 7, v2
	v_ffbh_u32_e32 v6, v3
	v_min_u32_e32 v8, 32, v6
	v_subrev_u32_e32 v6, 28, v8
	v_lshlrev_b64 v[6:7], v6, v[2:3]
	v_lshrrev_b32_e32 v5, 3, v4
	v_sub_u32_e32 v7, 29, v8
	v_and_b32_e32 v6, 7, v6
	v_cmp_gt_u32_e32 vcc, 8, v4
	v_cndmask_b32_e32 v4, v5, v7, vcc
	v_cndmask_b32_e32 v3, v3, v6, vcc
	v_lshlrev_b32_e32 v5, 24, v2
	v_lshlrev_b32_e32 v3, 20, v3
	v_and_b32_e32 v5, 0x80000000, v5
	v_lshl_add_u32 v4, v4, 23, v61
	v_or3_b32 v3, v5, v4, v3
.LBB6_4383:                             ;   in Loop: Header=BB6_4252 Depth=2
	s_or_b64 exec, exec, s[62:63]
.LBB6_4384:                             ;   in Loop: Header=BB6_4252 Depth=2
	s_or_b64 exec, exec, s[60:61]
.LBB6_4385:                             ;   in Loop: Header=BB6_4252 Depth=2
	s_or_b64 exec, exec, s[58:59]
	v_max_f32_e32 v3, v3, v3
	v_max_f32_e32 v1, v1, v1
	;; [unrolled: 1-line block ×3, first 2 shown]
	s_branch .LBB6_4400
.LBB6_4386:                             ;   in Loop: Header=BB6_4252 Depth=2
                                        ; implicit-def: $vgpr3
	s_cbranch_execz .LBB6_4400
; %bb.4387:                             ;   in Loop: Header=BB6_4252 Depth=2
	v_mov_b32_e32 v3, 0
	v_mov_b32_e32 v1, 0
	s_and_saveexec_b64 s[58:59], s[20:21]
	s_cbranch_execz .LBB6_4393
; %bb.4388:                             ;   in Loop: Header=BB6_4252 Depth=2
	v_cmp_ne_u32_e32 vcc, s69, v24
	v_bfrev_b32_e32 v1, 1
	s_and_saveexec_b64 s[20:21], vcc
	s_cbranch_execz .LBB6_4392
; %bb.4389:                             ;   in Loop: Header=BB6_4252 Depth=2
	v_bfe_u32 v4, v14, 24, 7
	v_cmp_ne_u32_e32 vcc, s71, v4
	v_mov_b32_e32 v1, 0x7f800001
	s_and_saveexec_b64 s[60:61], vcc
	s_cbranch_execz .LBB6_4391
; %bb.4390:                             ;   in Loop: Header=BB6_4252 Depth=2
	v_and_b32_e32 v1, 7, v24
	v_ffbh_u32_e32 v6, v1
	v_min_u32_e32 v8, 32, v6
	v_subrev_u32_e32 v6, 28, v8
	v_lshlrev_b64 v[6:7], v6, v[24:25]
	v_lshrrev_b32_e32 v5, 3, v4
	v_sub_u32_e32 v7, 29, v8
	v_and_b32_e32 v6, 7, v6
	v_cmp_gt_u32_e32 vcc, 8, v4
	v_cndmask_b32_e32 v4, v5, v7, vcc
	v_cndmask_b32_e32 v1, v1, v6, vcc
	v_lshlrev_b32_e32 v5, 24, v24
	v_lshlrev_b32_e32 v1, 20, v1
	v_and_b32_e32 v5, 0x80000000, v5
	v_lshl_add_u32 v4, v4, 23, v61
	v_or3_b32 v1, v5, v4, v1
.LBB6_4391:                             ;   in Loop: Header=BB6_4252 Depth=2
	s_or_b64 exec, exec, s[60:61]
.LBB6_4392:                             ;   in Loop: Header=BB6_4252 Depth=2
	s_or_b64 exec, exec, s[20:21]
.LBB6_4393:                             ;   in Loop: Header=BB6_4252 Depth=2
	s_or_b64 exec, exec, s[58:59]
	v_cmp_lt_u32_e32 vcc, s45, v10
	s_and_saveexec_b64 s[20:21], vcc
	s_cbranch_execz .LBB6_4399
; %bb.4394:                             ;   in Loop: Header=BB6_4252 Depth=2
	v_cmp_ne_u32_e32 vcc, s69, v2
	v_bfrev_b32_e32 v3, 1
	s_and_saveexec_b64 s[58:59], vcc
	s_cbranch_execz .LBB6_4398
; %bb.4395:                             ;   in Loop: Header=BB6_4252 Depth=2
	v_bfe_u32 v4, v10, 24, 7
	v_cmp_ne_u32_e32 vcc, s71, v4
	v_mov_b32_e32 v3, 0x7f800001
	s_and_saveexec_b64 s[60:61], vcc
	s_cbranch_execz .LBB6_4397
; %bb.4396:                             ;   in Loop: Header=BB6_4252 Depth=2
	v_and_b32_e32 v3, 7, v2
	v_ffbh_u32_e32 v6, v3
	v_min_u32_e32 v8, 32, v6
	v_subrev_u32_e32 v6, 28, v8
	v_lshlrev_b64 v[6:7], v6, v[2:3]
	v_lshrrev_b32_e32 v5, 3, v4
	v_sub_u32_e32 v7, 29, v8
	v_and_b32_e32 v6, 7, v6
	v_cmp_gt_u32_e32 vcc, 8, v4
	v_cndmask_b32_e32 v4, v5, v7, vcc
	v_cndmask_b32_e32 v3, v3, v6, vcc
	v_lshlrev_b32_e32 v2, 24, v2
	v_lshlrev_b32_e32 v3, 20, v3
	v_and_b32_e32 v2, 0x80000000, v2
	v_lshl_add_u32 v4, v4, 23, v61
	v_or3_b32 v3, v2, v4, v3
.LBB6_4397:                             ;   in Loop: Header=BB6_4252 Depth=2
	s_or_b64 exec, exec, s[60:61]
.LBB6_4398:                             ;   in Loop: Header=BB6_4252 Depth=2
	s_or_b64 exec, exec, s[58:59]
.LBB6_4399:                             ;   in Loop: Header=BB6_4252 Depth=2
	s_or_b64 exec, exec, s[20:21]
	v_max_f32_e32 v2, v3, v3
	v_max_f32_e32 v1, v1, v1
	v_min_f32_e32 v3, v1, v2
.LBB6_4400:                             ;   in Loop: Header=BB6_4252 Depth=2
	v_and_b32_sdwa v4, v3, s69 dst_sel:DWORD dst_unused:UNUSED_PAD src0_sel:BYTE_3 src1_sel:DWORD
	v_and_b32_e32 v6, 0x7f800000, v3
	v_mov_b32_e32 v7, v53
	v_and_b32_e32 v52, 0x7fffff, v3
	v_or_b32_e32 v1, 0x7e, v4
	v_cmp_ne_u64_e32 vcc, s[40:41], v[6:7]
	s_and_saveexec_b64 s[20:21], vcc
	s_xor_b64 s[58:59], exec, s[20:21]
	s_cbranch_execz .LBB6_4410
; %bb.4401:                             ;   in Loop: Header=BB6_4252 Depth=2
	v_and_b32_e32 v6, 0x7fffffff, v3
	v_mov_b32_e32 v7, v53
	v_cmp_gt_u64_e32 vcc, s[42:43], v[6:7]
	s_and_saveexec_b64 s[60:61], vcc
	s_cbranch_execz .LBB6_4409
; %bb.4402:                             ;   in Loop: Header=BB6_4252 Depth=2
	v_cmp_ne_u32_e32 vcc, 0, v3
	v_mov_b32_e32 v1, 0
	s_and_saveexec_b64 s[62:63], vcc
	s_cbranch_execz .LBB6_4408
; %bb.4403:                             ;   in Loop: Header=BB6_4252 Depth=2
	v_bfe_u32 v1, v3, 23, 8
	v_sub_u32_e32 v3, 0x79, v1
	v_cmp_gt_u32_e32 vcc, s73, v1
	v_cndmask_b32_e32 v3, 0, v3, vcc
	v_cmp_eq_u32_e32 vcc, 0, v1
	v_add_u32_e32 v2, 0xffffff81, v1
	v_or_b32_e32 v5, 0x800000, v52
	v_cndmask_b32_e32 v24, v3, v32, vcc
	v_cndmask_b32_e32 v1, v2, v33, vcc
	;; [unrolled: 1-line block ×3, first 2 shown]
	v_add_u32_e32 v2, 20, v24
	v_lshlrev_b64 v[2:3], v2, -1
	v_add_u32_e32 v5, 19, v24
	v_lshrrev_b64 v[8:9], v24, v[52:53]
	v_not_b32_e32 v3, v3
	v_not_b32_e32 v2, v2
	v_lshlrev_b64 v[6:7], v5, 1
	v_lshrrev_b32_e32 v5, 23, v8
	v_and_b32_e32 v3, 0, v3
	v_and_b32_e32 v2, v52, v2
	v_add3_u32 v24, v24, v1, v5
	v_bfe_u32 v1, v8, 20, 1
	v_add_u32_e32 v1, -1, v1
	v_cmp_eq_u64_e32 vcc, v[2:3], v[6:7]
	v_cndmask_b32_e32 v1, 0, v1, vcc
	v_add_u32_e32 v1, v1, v8
	v_and_b32_e32 v1, 0xfffff, v1
	v_add_co_u32_e32 v2, vcc, v1, v8
	v_add_u32_e32 v5, 6, v24
	v_addc_co_u32_e32 v3, vcc, 0, v9, vcc
	v_cmp_ne_u32_e32 vcc, 0, v5
                                        ; implicit-def: $vgpr1
	s_and_saveexec_b64 s[20:21], vcc
	s_xor_b64 s[20:21], exec, s[20:21]
; %bb.4404:                             ;   in Loop: Header=BB6_4252 Depth=2
	v_add_u32_e32 v1, 7, v24
	v_cmp_lt_u64_e32 vcc, s[46:47], v[2:3]
	v_cndmask_b32_e32 v1, v5, v1, vcc
	v_cndmask_b32_e64 v5, 0, 1, vcc
	v_lshrrev_b64 v[2:3], v5, v[2:3]
; %bb.4405:                             ;   in Loop: Header=BB6_4252 Depth=2
	s_andn2_saveexec_b64 s[20:21], s[20:21]
; %bb.4406:                             ;   in Loop: Header=BB6_4252 Depth=2
	v_bfe_u32 v1, v2, 23, 1
; %bb.4407:                             ;   in Loop: Header=BB6_4252 Depth=2
	s_or_b64 exec, exec, s[20:21]
	v_lshrrev_b64 v[2:3], 20, v[2:3]
	v_cmp_gt_i32_e32 vcc, 16, v1
	v_cndmask_b32_e32 v3, 0, v3, vcc
	v_cndmask_b32_e32 v2, 7, v2, vcc
	v_cmp_eq_u32_e32 vcc, 0, v1
	v_min_i32_e32 v1, 15, v1
	v_cmp_eq_u64_e64 s[20:21], 0, v[2:3]
	v_lshlrev_b32_e32 v1, 3, v1
	v_and_or_b32 v1, v2, 7, v1
	s_and_b64 s[20:21], vcc, s[20:21]
	v_cndmask_b32_e64 v1, v1, 0, s[20:21]
	v_or_b32_e32 v1, v1, v4
.LBB6_4408:                             ;   in Loop: Header=BB6_4252 Depth=2
	s_or_b64 exec, exec, s[62:63]
.LBB6_4409:                             ;   in Loop: Header=BB6_4252 Depth=2
	s_or_b64 exec, exec, s[60:61]
                                        ; implicit-def: $vgpr3
.LBB6_4410:                             ;   in Loop: Header=BB6_4252 Depth=2
	s_andn2_saveexec_b64 s[20:21], s[58:59]
; %bb.4411:                             ;   in Loop: Header=BB6_4252 Depth=2
	v_or_b32_sdwa v2, v3, s71 dst_sel:DWORD dst_unused:UNUSED_PAD src0_sel:BYTE_3 src1_sel:DWORD
	v_cmp_eq_u64_e32 vcc, 0, v[52:53]
	v_cndmask_b32_e32 v1, v2, v1, vcc
; %bb.4412:                             ;   in Loop: Header=BB6_4252 Depth=2
	s_or_b64 exec, exec, s[20:21]
	v_mov_b32_e32 v52, v15
	v_mov_b32_e32 v2, v11
	;; [unrolled: 1-line block ×3, first 2 shown]
	v_cmp_ne_u16_sdwa s[20:21], v15, v53 src0_sel:BYTE_0 src1_sel:DWORD
	s_and_b64 vcc, exec, s[56:57]
	s_cbranch_vccz .LBB6_4426
; %bb.4413:                             ;   in Loop: Header=BB6_4252 Depth=2
	v_mov_b32_e32 v5, 0
	v_mov_b32_e32 v4, 0
	s_and_saveexec_b64 s[58:59], s[20:21]
	s_cbranch_execz .LBB6_4419
; %bb.4414:                             ;   in Loop: Header=BB6_4252 Depth=2
	v_cmp_ne_u16_sdwa vcc, v15, s69 src0_sel:BYTE_0 src1_sel:DWORD
	v_bfrev_b32_e32 v4, 1
	s_and_saveexec_b64 s[60:61], vcc
	s_cbranch_execz .LBB6_4418
; %bb.4415:                             ;   in Loop: Header=BB6_4252 Depth=2
	v_and_b32_e32 v24, 0x7f, v15
	v_cmp_ne_u32_e32 vcc, s71, v24
	v_mov_b32_e32 v4, 0x7f800001
	s_and_saveexec_b64 s[62:63], vcc
	s_cbranch_execz .LBB6_4417
; %bb.4416:                             ;   in Loop: Header=BB6_4252 Depth=2
	v_and_b32_e32 v4, 7, v15
	v_ffbh_u32_e32 v4, v4
	v_min_u32_e32 v4, 32, v4
	v_lshrrev_b32_e32 v6, 3, v24
	v_subrev_u32_e32 v7, 28, v4
	v_sub_u32_e32 v4, 29, v4
	v_cmp_gt_u32_e32 vcc, 8, v24
	v_cndmask_b32_e32 v4, v6, v4, vcc
	v_cndmask_b32_e32 v6, 0, v7, vcc
	v_lshlrev_b64 v[6:7], v6, v[52:53]
	v_lshlrev_b32_e32 v6, 20, v6
	v_lshlrev_b32_e32 v7, 24, v52
	v_and_b32_e32 v6, 0x700000, v6
	v_and_b32_e32 v7, 0x80000000, v7
	v_lshl_add_u32 v4, v4, 23, v61
	v_or3_b32 v4, v7, v4, v6
.LBB6_4417:                             ;   in Loop: Header=BB6_4252 Depth=2
	s_or_b64 exec, exec, s[62:63]
.LBB6_4418:                             ;   in Loop: Header=BB6_4252 Depth=2
	s_or_b64 exec, exec, s[60:61]
.LBB6_4419:                             ;   in Loop: Header=BB6_4252 Depth=2
	s_or_b64 exec, exec, s[58:59]
	v_cmp_ne_u16_sdwa vcc, v11, v53 src0_sel:BYTE_0 src1_sel:DWORD
	s_and_saveexec_b64 s[58:59], vcc
	s_cbranch_execz .LBB6_4425
; %bb.4420:                             ;   in Loop: Header=BB6_4252 Depth=2
	v_cmp_ne_u16_sdwa vcc, v11, s69 src0_sel:BYTE_0 src1_sel:DWORD
	v_bfrev_b32_e32 v5, 1
	s_and_saveexec_b64 s[60:61], vcc
	s_cbranch_execz .LBB6_4424
; %bb.4421:                             ;   in Loop: Header=BB6_4252 Depth=2
	v_and_b32_e32 v24, 0x7f, v11
	v_cmp_ne_u32_e32 vcc, s71, v24
	v_mov_b32_e32 v5, 0x7f800001
	s_and_saveexec_b64 s[62:63], vcc
	s_cbranch_execz .LBB6_4423
; %bb.4422:                             ;   in Loop: Header=BB6_4252 Depth=2
	v_and_b32_e32 v5, 7, v11
	v_ffbh_u32_e32 v5, v5
	v_min_u32_e32 v5, 32, v5
	v_lshrrev_b32_e32 v6, 3, v24
	v_subrev_u32_e32 v7, 28, v5
	v_sub_u32_e32 v5, 29, v5
	v_cmp_gt_u32_e32 vcc, 8, v24
	v_cndmask_b32_e32 v5, v6, v5, vcc
	v_cndmask_b32_e32 v6, 0, v7, vcc
	v_lshlrev_b64 v[6:7], v6, v[2:3]
	v_lshlrev_b32_e32 v6, 20, v6
	v_lshlrev_b32_e32 v7, 24, v2
	v_and_b32_e32 v6, 0x700000, v6
	v_and_b32_e32 v7, 0x80000000, v7
	v_lshl_add_u32 v5, v5, 23, v61
	v_or3_b32 v5, v7, v5, v6
.LBB6_4423:                             ;   in Loop: Header=BB6_4252 Depth=2
	s_or_b64 exec, exec, s[62:63]
.LBB6_4424:                             ;   in Loop: Header=BB6_4252 Depth=2
	s_or_b64 exec, exec, s[60:61]
.LBB6_4425:                             ;   in Loop: Header=BB6_4252 Depth=2
	s_or_b64 exec, exec, s[58:59]
	v_max_f32_e32 v5, v5, v5
	v_max_f32_e32 v4, v4, v4
	v_max_f32_e32 v4, v4, v5
	s_branch .LBB6_4440
.LBB6_4426:                             ;   in Loop: Header=BB6_4252 Depth=2
                                        ; implicit-def: $vgpr4
	s_cbranch_execz .LBB6_4440
; %bb.4427:                             ;   in Loop: Header=BB6_4252 Depth=2
	v_mov_b32_e32 v5, 0
	v_mov_b32_e32 v4, 0
	s_and_saveexec_b64 s[58:59], s[20:21]
	s_cbranch_execz .LBB6_4433
; %bb.4428:                             ;   in Loop: Header=BB6_4252 Depth=2
	v_cmp_ne_u16_sdwa vcc, v15, s69 src0_sel:BYTE_0 src1_sel:DWORD
	v_bfrev_b32_e32 v4, 1
	s_and_saveexec_b64 s[20:21], vcc
	s_cbranch_execz .LBB6_4432
; %bb.4429:                             ;   in Loop: Header=BB6_4252 Depth=2
	v_and_b32_e32 v24, 0x7f, v15
	v_cmp_ne_u32_e32 vcc, s71, v24
	v_mov_b32_e32 v4, 0x7f800001
	s_and_saveexec_b64 s[60:61], vcc
	s_cbranch_execz .LBB6_4431
; %bb.4430:                             ;   in Loop: Header=BB6_4252 Depth=2
	v_and_b32_e32 v4, 7, v15
	v_ffbh_u32_e32 v4, v4
	v_min_u32_e32 v4, 32, v4
	v_lshrrev_b32_e32 v6, 3, v24
	v_subrev_u32_e32 v7, 28, v4
	v_sub_u32_e32 v4, 29, v4
	v_cmp_gt_u32_e32 vcc, 8, v24
	v_cndmask_b32_e32 v4, v6, v4, vcc
	v_cndmask_b32_e32 v6, 0, v7, vcc
	v_lshlrev_b64 v[6:7], v6, v[52:53]
	v_lshlrev_b32_e32 v6, 20, v6
	v_lshlrev_b32_e32 v7, 24, v52
	v_and_b32_e32 v6, 0x700000, v6
	v_and_b32_e32 v7, 0x80000000, v7
	v_lshl_add_u32 v4, v4, 23, v61
	v_or3_b32 v4, v7, v4, v6
.LBB6_4431:                             ;   in Loop: Header=BB6_4252 Depth=2
	s_or_b64 exec, exec, s[60:61]
.LBB6_4432:                             ;   in Loop: Header=BB6_4252 Depth=2
	s_or_b64 exec, exec, s[20:21]
.LBB6_4433:                             ;   in Loop: Header=BB6_4252 Depth=2
	s_or_b64 exec, exec, s[58:59]
	v_cmp_ne_u16_sdwa vcc, v11, v53 src0_sel:BYTE_0 src1_sel:DWORD
	s_and_saveexec_b64 s[20:21], vcc
	s_cbranch_execz .LBB6_4439
; %bb.4434:                             ;   in Loop: Header=BB6_4252 Depth=2
	v_cmp_ne_u16_sdwa vcc, v11, s69 src0_sel:BYTE_0 src1_sel:DWORD
	v_bfrev_b32_e32 v5, 1
	s_and_saveexec_b64 s[58:59], vcc
	s_cbranch_execz .LBB6_4438
; %bb.4435:                             ;   in Loop: Header=BB6_4252 Depth=2
	v_and_b32_e32 v24, 0x7f, v11
	v_cmp_ne_u32_e32 vcc, s71, v24
	v_mov_b32_e32 v5, 0x7f800001
	s_and_saveexec_b64 s[60:61], vcc
	s_cbranch_execz .LBB6_4437
; %bb.4436:                             ;   in Loop: Header=BB6_4252 Depth=2
	v_and_b32_e32 v5, 7, v11
	v_ffbh_u32_e32 v5, v5
	v_min_u32_e32 v5, 32, v5
	v_lshrrev_b32_e32 v6, 3, v24
	v_subrev_u32_e32 v7, 28, v5
	v_sub_u32_e32 v5, 29, v5
	v_cmp_gt_u32_e32 vcc, 8, v24
	v_cndmask_b32_e32 v5, v6, v5, vcc
	v_cndmask_b32_e32 v6, 0, v7, vcc
	v_lshlrev_b64 v[6:7], v6, v[2:3]
	v_lshlrev_b32_e32 v3, 20, v6
	v_lshlrev_b32_e32 v6, 24, v2
	v_and_b32_e32 v3, 0x700000, v3
	v_and_b32_e32 v6, 0x80000000, v6
	v_lshl_add_u32 v5, v5, 23, v61
	v_or3_b32 v5, v6, v5, v3
.LBB6_4437:                             ;   in Loop: Header=BB6_4252 Depth=2
	s_or_b64 exec, exec, s[60:61]
.LBB6_4438:                             ;   in Loop: Header=BB6_4252 Depth=2
	s_or_b64 exec, exec, s[58:59]
.LBB6_4439:                             ;   in Loop: Header=BB6_4252 Depth=2
	s_or_b64 exec, exec, s[20:21]
	v_max_f32_e32 v3, v5, v5
	v_max_f32_e32 v4, v4, v4
	v_min_f32_e32 v4, v4, v3
.LBB6_4440:                             ;   in Loop: Header=BB6_4252 Depth=2
	v_and_b32_sdwa v3, v4, s69 dst_sel:DWORD dst_unused:UNUSED_PAD src0_sel:BYTE_3 src1_sel:DWORD
	v_and_b32_e32 v6, 0x7f800000, v4
	v_mov_b32_e32 v7, v53
	v_and_b32_e32 v24, 0x7fffff, v4
	v_mov_b32_e32 v25, v53
	v_or_b32_e32 v35, 0x7e, v3
	v_cmp_ne_u64_e32 vcc, s[40:41], v[6:7]
	s_and_saveexec_b64 s[20:21], vcc
	s_xor_b64 s[58:59], exec, s[20:21]
	s_cbranch_execz .LBB6_4450
; %bb.4441:                             ;   in Loop: Header=BB6_4252 Depth=2
	v_and_b32_e32 v6, 0x7fffffff, v4
	v_mov_b32_e32 v7, v53
	v_cmp_gt_u64_e32 vcc, s[42:43], v[6:7]
	s_and_saveexec_b64 s[60:61], vcc
	s_cbranch_execz .LBB6_4449
; %bb.4442:                             ;   in Loop: Header=BB6_4252 Depth=2
	v_cmp_ne_u32_e32 vcc, 0, v4
	v_mov_b32_e32 v35, 0
	s_and_saveexec_b64 s[62:63], vcc
	s_cbranch_execz .LBB6_4448
; %bb.4443:                             ;   in Loop: Header=BB6_4252 Depth=2
	v_bfe_u32 v4, v4, 23, 8
	v_sub_u32_e32 v6, 0x79, v4
	v_cmp_gt_u32_e32 vcc, s73, v4
	v_add_u32_e32 v5, 0xffffff81, v4
	v_cndmask_b32_e32 v6, 0, v6, vcc
	v_cmp_eq_u32_e32 vcc, 0, v4
	v_mov_b32_e32 v4, 0x78
	v_cndmask_b32_e32 v32, v6, v4, vcc
	v_add_u32_e32 v4, 20, v32
	v_or_b32_e32 v7, 0x800000, v24
	v_cndmask_b32_e32 v28, v5, v33, vcc
	v_lshlrev_b64 v[4:5], v4, -1
	v_cndmask_b32_e32 v24, v7, v24, vcc
	v_not_b32_e32 v4, v4
	v_and_b32_e32 v6, v24, v4
	v_add_u32_e32 v4, 19, v32
	v_lshrrev_b64 v[24:25], v32, v[24:25]
	v_not_b32_e32 v5, v5
	v_lshlrev_b64 v[8:9], v4, 1
	v_lshrrev_b32_e32 v4, 23, v24
	v_and_b32_e32 v7, 0, v5
	v_add3_u32 v28, v32, v28, v4
	v_bfe_u32 v4, v24, 20, 1
	v_add_u32_e32 v4, -1, v4
	v_cmp_eq_u64_e32 vcc, v[6:7], v[8:9]
	v_cndmask_b32_e32 v4, 0, v4, vcc
	v_add_u32_e32 v4, v4, v24
	v_and_b32_e32 v4, 0xfffff, v4
	v_add_co_u32_e32 v24, vcc, v4, v24
	v_add_u32_e32 v5, 6, v28
	v_addc_co_u32_e32 v25, vcc, 0, v25, vcc
	v_cmp_ne_u32_e32 vcc, 0, v5
                                        ; implicit-def: $vgpr4
	s_and_saveexec_b64 s[20:21], vcc
	s_xor_b64 s[20:21], exec, s[20:21]
; %bb.4444:                             ;   in Loop: Header=BB6_4252 Depth=2
	v_add_u32_e32 v4, 7, v28
	v_cmp_lt_u64_e32 vcc, s[46:47], v[24:25]
	v_cndmask_b32_e32 v4, v5, v4, vcc
	v_cndmask_b32_e64 v5, 0, 1, vcc
	v_lshrrev_b64 v[24:25], v5, v[24:25]
; %bb.4445:                             ;   in Loop: Header=BB6_4252 Depth=2
	s_andn2_saveexec_b64 s[20:21], s[20:21]
; %bb.4446:                             ;   in Loop: Header=BB6_4252 Depth=2
	v_bfe_u32 v4, v24, 23, 1
; %bb.4447:                             ;   in Loop: Header=BB6_4252 Depth=2
	s_or_b64 exec, exec, s[20:21]
	v_lshrrev_b64 v[6:7], 20, v[24:25]
	v_cmp_gt_i32_e32 vcc, 16, v4
	v_cndmask_b32_e32 v7, 0, v7, vcc
	v_cndmask_b32_e32 v6, 7, v6, vcc
	v_cmp_eq_u32_e32 vcc, 0, v4
	v_min_i32_e32 v4, 15, v4
	v_cmp_eq_u64_e64 s[20:21], 0, v[6:7]
	v_lshlrev_b32_e32 v4, 3, v4
	v_and_or_b32 v4, v6, 7, v4
	s_and_b64 s[20:21], vcc, s[20:21]
	v_cndmask_b32_e64 v4, v4, 0, s[20:21]
	v_or_b32_e32 v35, v4, v3
	v_mov_b32_e32 v32, 0x78
.LBB6_4448:                             ;   in Loop: Header=BB6_4252 Depth=2
	s_or_b64 exec, exec, s[62:63]
.LBB6_4449:                             ;   in Loop: Header=BB6_4252 Depth=2
	s_or_b64 exec, exec, s[60:61]
                                        ; implicit-def: $vgpr4
                                        ; implicit-def: $vgpr24_vgpr25
.LBB6_4450:                             ;   in Loop: Header=BB6_4252 Depth=2
	s_andn2_saveexec_b64 s[20:21], s[58:59]
; %bb.4451:                             ;   in Loop: Header=BB6_4252 Depth=2
	v_or_b32_sdwa v3, v4, s71 dst_sel:DWORD dst_unused:UNUSED_PAD src0_sel:BYTE_3 src1_sel:DWORD
	v_cmp_eq_u64_e32 vcc, 0, v[24:25]
	v_cndmask_b32_e32 v35, v3, v35, vcc
; %bb.4452:                             ;   in Loop: Header=BB6_4252 Depth=2
	s_or_b64 exec, exec, s[20:21]
	v_lshrrev_b16_e32 v28, 8, v52
	v_lshrrev_b16_e32 v24, 8, v2
	v_cmp_ne_u16_e64 s[20:21], 0, v28
	s_and_b64 vcc, exec, s[56:57]
	s_cbranch_vccz .LBB6_4466
; %bb.4453:                             ;   in Loop: Header=BB6_4252 Depth=2
	v_mov_b32_e32 v4, 0
	v_mov_b32_e32 v3, 0
	s_and_saveexec_b64 s[58:59], s[20:21]
	s_cbranch_execz .LBB6_4459
; %bb.4454:                             ;   in Loop: Header=BB6_4252 Depth=2
	v_cmp_ne_u16_e32 vcc, s69, v28
	v_bfrev_b32_e32 v3, 1
	s_and_saveexec_b64 s[60:61], vcc
	s_cbranch_execz .LBB6_4458
; %bb.4455:                             ;   in Loop: Header=BB6_4252 Depth=2
	v_and_b32_e32 v5, 0x7f, v28
	v_cmp_ne_u32_e32 vcc, s71, v5
	v_mov_b32_e32 v3, 0x7f800001
	s_and_saveexec_b64 s[62:63], vcc
	s_cbranch_execz .LBB6_4457
; %bb.4456:                             ;   in Loop: Header=BB6_4252 Depth=2
	v_and_b32_e32 v3, 7, v28
	v_ffbh_u32_e32 v6, v3
	v_min_u32_e32 v9, 32, v6
	v_subrev_u32_e32 v6, 28, v9
	v_lshlrev_b64 v[6:7], v6, v[28:29]
	v_lshrrev_b32_e32 v8, 3, v5
	v_sub_u32_e32 v7, 29, v9
	v_and_b32_e32 v6, 7, v6
	v_cmp_gt_u32_e32 vcc, 8, v5
	v_cndmask_b32_e32 v5, v8, v7, vcc
	v_cndmask_b32_e32 v3, v3, v6, vcc
	v_lshlrev_b32_e32 v6, 16, v52
	v_lshlrev_b32_e32 v3, 20, v3
	v_and_b32_e32 v6, 0x80000000, v6
	v_lshl_add_u32 v5, v5, 23, v61
	v_or3_b32 v3, v6, v5, v3
.LBB6_4457:                             ;   in Loop: Header=BB6_4252 Depth=2
	s_or_b64 exec, exec, s[62:63]
.LBB6_4458:                             ;   in Loop: Header=BB6_4252 Depth=2
	s_or_b64 exec, exec, s[60:61]
.LBB6_4459:                             ;   in Loop: Header=BB6_4252 Depth=2
	s_or_b64 exec, exec, s[58:59]
	v_cmp_ne_u16_e32 vcc, 0, v24
	s_and_saveexec_b64 s[58:59], vcc
	s_cbranch_execz .LBB6_4465
; %bb.4460:                             ;   in Loop: Header=BB6_4252 Depth=2
	v_cmp_ne_u16_e32 vcc, s69, v24
	v_bfrev_b32_e32 v4, 1
	s_and_saveexec_b64 s[60:61], vcc
	s_cbranch_execz .LBB6_4464
; %bb.4461:                             ;   in Loop: Header=BB6_4252 Depth=2
	v_and_b32_e32 v5, 0x7f, v24
	v_cmp_ne_u32_e32 vcc, s71, v5
	v_mov_b32_e32 v4, 0x7f800001
	s_and_saveexec_b64 s[62:63], vcc
	s_cbranch_execz .LBB6_4463
; %bb.4462:                             ;   in Loop: Header=BB6_4252 Depth=2
	v_and_b32_e32 v4, 7, v24
	v_ffbh_u32_e32 v6, v4
	v_min_u32_e32 v9, 32, v6
	v_subrev_u32_e32 v6, 28, v9
	v_lshlrev_b64 v[6:7], v6, v[24:25]
	v_lshrrev_b32_e32 v8, 3, v5
	v_sub_u32_e32 v7, 29, v9
	v_and_b32_e32 v6, 7, v6
	v_cmp_gt_u32_e32 vcc, 8, v5
	v_cndmask_b32_e32 v5, v8, v7, vcc
	v_cndmask_b32_e32 v4, v4, v6, vcc
	v_lshlrev_b32_e32 v6, 16, v2
	v_lshlrev_b32_e32 v4, 20, v4
	v_and_b32_e32 v6, 0x80000000, v6
	v_lshl_add_u32 v5, v5, 23, v61
	v_or3_b32 v4, v6, v5, v4
.LBB6_4463:                             ;   in Loop: Header=BB6_4252 Depth=2
	s_or_b64 exec, exec, s[62:63]
.LBB6_4464:                             ;   in Loop: Header=BB6_4252 Depth=2
	s_or_b64 exec, exec, s[60:61]
.LBB6_4465:                             ;   in Loop: Header=BB6_4252 Depth=2
	s_or_b64 exec, exec, s[58:59]
	v_max_f32_e32 v4, v4, v4
	v_max_f32_e32 v3, v3, v3
	v_max_f32_e32 v3, v3, v4
	s_branch .LBB6_4480
.LBB6_4466:                             ;   in Loop: Header=BB6_4252 Depth=2
                                        ; implicit-def: $vgpr3
	s_cbranch_execz .LBB6_4480
; %bb.4467:                             ;   in Loop: Header=BB6_4252 Depth=2
	v_mov_b32_e32 v4, 0
	v_mov_b32_e32 v3, 0
	s_and_saveexec_b64 s[58:59], s[20:21]
	s_cbranch_execz .LBB6_4473
; %bb.4468:                             ;   in Loop: Header=BB6_4252 Depth=2
	v_cmp_ne_u16_e32 vcc, s69, v28
	v_bfrev_b32_e32 v3, 1
	s_and_saveexec_b64 s[20:21], vcc
	s_cbranch_execz .LBB6_4472
; %bb.4469:                             ;   in Loop: Header=BB6_4252 Depth=2
	v_and_b32_e32 v5, 0x7f, v28
	v_cmp_ne_u32_e32 vcc, s71, v5
	v_mov_b32_e32 v3, 0x7f800001
	s_and_saveexec_b64 s[60:61], vcc
	s_cbranch_execz .LBB6_4471
; %bb.4470:                             ;   in Loop: Header=BB6_4252 Depth=2
	v_and_b32_e32 v3, 7, v28
	v_ffbh_u32_e32 v6, v3
	v_min_u32_e32 v9, 32, v6
	v_subrev_u32_e32 v6, 28, v9
	v_lshlrev_b64 v[6:7], v6, v[28:29]
	v_lshrrev_b32_e32 v8, 3, v5
	v_sub_u32_e32 v7, 29, v9
	v_and_b32_e32 v6, 7, v6
	v_cmp_gt_u32_e32 vcc, 8, v5
	v_cndmask_b32_e32 v5, v8, v7, vcc
	v_cndmask_b32_e32 v3, v3, v6, vcc
	v_lshlrev_b32_e32 v6, 16, v52
	v_lshlrev_b32_e32 v3, 20, v3
	v_and_b32_e32 v6, 0x80000000, v6
	v_lshl_add_u32 v5, v5, 23, v61
	v_or3_b32 v3, v6, v5, v3
.LBB6_4471:                             ;   in Loop: Header=BB6_4252 Depth=2
	s_or_b64 exec, exec, s[60:61]
.LBB6_4472:                             ;   in Loop: Header=BB6_4252 Depth=2
	s_or_b64 exec, exec, s[20:21]
.LBB6_4473:                             ;   in Loop: Header=BB6_4252 Depth=2
	s_or_b64 exec, exec, s[58:59]
	v_cmp_ne_u16_e32 vcc, 0, v24
	s_and_saveexec_b64 s[20:21], vcc
	s_cbranch_execz .LBB6_4479
; %bb.4474:                             ;   in Loop: Header=BB6_4252 Depth=2
	v_cmp_ne_u16_e32 vcc, s69, v24
	v_bfrev_b32_e32 v4, 1
	s_and_saveexec_b64 s[58:59], vcc
	s_cbranch_execz .LBB6_4478
; %bb.4475:                             ;   in Loop: Header=BB6_4252 Depth=2
	v_and_b32_e32 v5, 0x7f, v24
	v_cmp_ne_u32_e32 vcc, s71, v5
	v_mov_b32_e32 v4, 0x7f800001
	s_and_saveexec_b64 s[60:61], vcc
	s_cbranch_execz .LBB6_4477
; %bb.4476:                             ;   in Loop: Header=BB6_4252 Depth=2
	v_and_b32_e32 v4, 7, v24
	v_ffbh_u32_e32 v6, v4
	v_min_u32_e32 v9, 32, v6
	v_subrev_u32_e32 v6, 28, v9
	v_lshlrev_b64 v[6:7], v6, v[24:25]
	v_lshrrev_b32_e32 v8, 3, v5
	v_sub_u32_e32 v7, 29, v9
	v_and_b32_e32 v6, 7, v6
	v_cmp_gt_u32_e32 vcc, 8, v5
	v_cndmask_b32_e32 v5, v8, v7, vcc
	v_cndmask_b32_e32 v4, v4, v6, vcc
	v_lshlrev_b32_e32 v2, 16, v2
	v_lshlrev_b32_e32 v4, 20, v4
	v_and_b32_e32 v2, 0x80000000, v2
	v_lshl_add_u32 v5, v5, 23, v61
	v_or3_b32 v4, v2, v5, v4
.LBB6_4477:                             ;   in Loop: Header=BB6_4252 Depth=2
	s_or_b64 exec, exec, s[60:61]
.LBB6_4478:                             ;   in Loop: Header=BB6_4252 Depth=2
	s_or_b64 exec, exec, s[58:59]
.LBB6_4479:                             ;   in Loop: Header=BB6_4252 Depth=2
	s_or_b64 exec, exec, s[20:21]
	v_max_f32_e32 v2, v4, v4
	v_max_f32_e32 v3, v3, v3
	v_min_f32_e32 v3, v3, v2
.LBB6_4480:                             ;   in Loop: Header=BB6_4252 Depth=2
	v_and_b32_sdwa v4, v3, s69 dst_sel:DWORD dst_unused:UNUSED_PAD src0_sel:BYTE_3 src1_sel:DWORD
	v_and_b32_e32 v6, 0x7f800000, v3
	v_mov_b32_e32 v7, v53
	v_and_b32_e32 v52, 0x7fffff, v3
	v_or_b32_e32 v25, 0x7e, v4
	v_cmp_ne_u64_e32 vcc, s[40:41], v[6:7]
	s_and_saveexec_b64 s[20:21], vcc
	s_xor_b64 s[58:59], exec, s[20:21]
	s_cbranch_execz .LBB6_4490
; %bb.4481:                             ;   in Loop: Header=BB6_4252 Depth=2
	v_and_b32_e32 v6, 0x7fffffff, v3
	v_mov_b32_e32 v7, v53
	v_cmp_gt_u64_e32 vcc, s[42:43], v[6:7]
	s_and_saveexec_b64 s[60:61], vcc
	s_cbranch_execz .LBB6_4489
; %bb.4482:                             ;   in Loop: Header=BB6_4252 Depth=2
	v_cmp_ne_u32_e32 vcc, 0, v3
	v_mov_b32_e32 v25, 0
	s_and_saveexec_b64 s[62:63], vcc
	s_cbranch_execz .LBB6_4488
; %bb.4483:                             ;   in Loop: Header=BB6_4252 Depth=2
	v_bfe_u32 v2, v3, 23, 8
	v_sub_u32_e32 v5, 0x79, v2
	v_cmp_gt_u32_e32 vcc, s73, v2
	v_cndmask_b32_e32 v5, 0, v5, vcc
	v_cmp_eq_u32_e32 vcc, 0, v2
	v_or_b32_e32 v6, 0x800000, v52
	v_cndmask_b32_e32 v5, v5, v32, vcc
	v_add_u32_e32 v3, 0xffffff81, v2
	v_cndmask_b32_e32 v52, v6, v52, vcc
	v_add_u32_e32 v2, 20, v5
	v_cndmask_b32_e32 v24, v3, v33, vcc
	v_lshlrev_b64 v[2:3], v2, -1
	v_lshrrev_b64 v[8:9], v5, v[52:53]
	v_not_b32_e32 v3, v3
	v_not_b32_e32 v2, v2
	v_add_u32_e32 v6, 19, v5
	v_lshrrev_b32_e32 v25, 23, v8
	v_and_b32_e32 v3, 0, v3
	v_and_b32_e32 v2, v52, v2
	v_lshlrev_b64 v[6:7], v6, 1
	v_add3_u32 v25, v5, v24, v25
	v_bfe_u32 v5, v8, 20, 1
	v_add_u32_e32 v5, -1, v5
	v_cmp_eq_u64_e32 vcc, v[2:3], v[6:7]
	v_cndmask_b32_e32 v2, 0, v5, vcc
	v_add_u32_e32 v2, v2, v8
	v_and_b32_e32 v2, 0xfffff, v2
	v_add_co_u32_e32 v2, vcc, v2, v8
	v_add_u32_e32 v24, 6, v25
	v_addc_co_u32_e32 v3, vcc, 0, v9, vcc
	v_cmp_ne_u32_e32 vcc, 0, v24
                                        ; implicit-def: $vgpr5
	s_and_saveexec_b64 s[20:21], vcc
	s_xor_b64 s[20:21], exec, s[20:21]
; %bb.4484:                             ;   in Loop: Header=BB6_4252 Depth=2
	v_cmp_lt_u64_e32 vcc, s[46:47], v[2:3]
	v_add_u32_e32 v5, 7, v25
	v_cndmask_b32_e64 v6, 0, 1, vcc
	v_cndmask_b32_e32 v5, v24, v5, vcc
	v_lshrrev_b64 v[2:3], v6, v[2:3]
; %bb.4485:                             ;   in Loop: Header=BB6_4252 Depth=2
	s_andn2_saveexec_b64 s[20:21], s[20:21]
; %bb.4486:                             ;   in Loop: Header=BB6_4252 Depth=2
	v_bfe_u32 v5, v2, 23, 1
; %bb.4487:                             ;   in Loop: Header=BB6_4252 Depth=2
	s_or_b64 exec, exec, s[20:21]
	v_lshrrev_b64 v[2:3], 20, v[2:3]
	v_cmp_gt_i32_e32 vcc, 16, v5
	v_cndmask_b32_e32 v3, 0, v3, vcc
	v_cndmask_b32_e32 v2, 7, v2, vcc
	v_cmp_eq_u64_e64 s[20:21], 0, v[2:3]
	v_min_i32_e32 v3, 15, v5
	v_cmp_eq_u32_e32 vcc, 0, v5
	v_lshlrev_b32_e32 v3, 3, v3
	v_and_or_b32 v2, v2, 7, v3
	s_and_b64 s[20:21], vcc, s[20:21]
	v_cndmask_b32_e64 v2, v2, 0, s[20:21]
	v_or_b32_e32 v25, v2, v4
.LBB6_4488:                             ;   in Loop: Header=BB6_4252 Depth=2
	s_or_b64 exec, exec, s[62:63]
.LBB6_4489:                             ;   in Loop: Header=BB6_4252 Depth=2
	s_or_b64 exec, exec, s[60:61]
                                        ; implicit-def: $vgpr3
.LBB6_4490:                             ;   in Loop: Header=BB6_4252 Depth=2
	s_andn2_saveexec_b64 s[20:21], s[58:59]
; %bb.4491:                             ;   in Loop: Header=BB6_4252 Depth=2
	v_or_b32_sdwa v2, v3, s71 dst_sel:DWORD dst_unused:UNUSED_PAD src0_sel:BYTE_3 src1_sel:DWORD
	v_cmp_eq_u64_e32 vcc, 0, v[52:53]
	v_cndmask_b32_e32 v25, v2, v25, vcc
; %bb.4492:                             ;   in Loop: Header=BB6_4252 Depth=2
	s_or_b64 exec, exec, s[20:21]
	v_lshrrev_b32_e32 v24, 16, v15
	v_lshrrev_b32_e32 v2, 16, v11
	v_cmp_ne_u16_sdwa s[20:21], v24, v53 src0_sel:BYTE_0 src1_sel:DWORD
	s_and_b64 vcc, exec, s[56:57]
	s_cbranch_vccz .LBB6_4506
; %bb.4493:                             ;   in Loop: Header=BB6_4252 Depth=2
	v_mov_b32_e32 v4, 0
	v_mov_b32_e32 v3, 0
	s_and_saveexec_b64 s[58:59], s[20:21]
	s_cbranch_execz .LBB6_4499
; %bb.4494:                             ;   in Loop: Header=BB6_4252 Depth=2
	v_cmp_ne_u16_sdwa vcc, v24, s69 src0_sel:BYTE_0 src1_sel:DWORD
	v_bfrev_b32_e32 v3, 1
	s_and_saveexec_b64 s[60:61], vcc
	s_cbranch_execz .LBB6_4498
; %bb.4495:                             ;   in Loop: Header=BB6_4252 Depth=2
	v_bfe_u32 v5, v15, 16, 7
	v_cmp_ne_u32_e32 vcc, s71, v5
	v_mov_b32_e32 v3, 0x7f800001
	s_and_saveexec_b64 s[62:63], vcc
	s_cbranch_execz .LBB6_4497
; %bb.4496:                             ;   in Loop: Header=BB6_4252 Depth=2
	v_and_b32_e32 v3, 7, v24
	v_ffbh_u32_e32 v6, v3
	v_min_u32_e32 v9, 32, v6
	v_subrev_u32_e32 v6, 28, v9
	v_lshlrev_b64 v[6:7], v6, v[24:25]
	v_lshrrev_b32_e32 v8, 3, v5
	v_sub_u32_e32 v7, 29, v9
	v_and_b32_e32 v6, 7, v6
	v_cmp_gt_u32_e32 vcc, 8, v5
	v_cndmask_b32_e32 v5, v8, v7, vcc
	v_cndmask_b32_e32 v3, v3, v6, vcc
	v_lshlrev_b32_e32 v6, 24, v24
	v_lshlrev_b32_e32 v3, 20, v3
	v_and_b32_e32 v6, 0x80000000, v6
	v_lshl_add_u32 v5, v5, 23, v61
	v_or3_b32 v3, v6, v5, v3
.LBB6_4497:                             ;   in Loop: Header=BB6_4252 Depth=2
	s_or_b64 exec, exec, s[62:63]
.LBB6_4498:                             ;   in Loop: Header=BB6_4252 Depth=2
	s_or_b64 exec, exec, s[60:61]
.LBB6_4499:                             ;   in Loop: Header=BB6_4252 Depth=2
	s_or_b64 exec, exec, s[58:59]
	v_cmp_ne_u16_sdwa vcc, v2, v53 src0_sel:BYTE_0 src1_sel:DWORD
	s_and_saveexec_b64 s[58:59], vcc
	s_cbranch_execz .LBB6_4505
; %bb.4500:                             ;   in Loop: Header=BB6_4252 Depth=2
	v_cmp_ne_u16_sdwa vcc, v2, s69 src0_sel:BYTE_0 src1_sel:DWORD
	v_bfrev_b32_e32 v4, 1
	s_and_saveexec_b64 s[60:61], vcc
	s_cbranch_execz .LBB6_4504
; %bb.4501:                             ;   in Loop: Header=BB6_4252 Depth=2
	v_bfe_u32 v5, v11, 16, 7
	v_cmp_ne_u32_e32 vcc, s71, v5
	v_mov_b32_e32 v4, 0x7f800001
	s_and_saveexec_b64 s[62:63], vcc
	s_cbranch_execz .LBB6_4503
; %bb.4502:                             ;   in Loop: Header=BB6_4252 Depth=2
	v_and_b32_e32 v4, 7, v2
	v_ffbh_u32_e32 v6, v4
	v_min_u32_e32 v9, 32, v6
	v_subrev_u32_e32 v6, 28, v9
	v_lshlrev_b64 v[6:7], v6, v[2:3]
	v_lshrrev_b32_e32 v8, 3, v5
	v_sub_u32_e32 v7, 29, v9
	v_and_b32_e32 v6, 7, v6
	v_cmp_gt_u32_e32 vcc, 8, v5
	v_cndmask_b32_e32 v5, v8, v7, vcc
	v_cndmask_b32_e32 v4, v4, v6, vcc
	v_lshlrev_b32_e32 v6, 24, v2
	v_lshlrev_b32_e32 v4, 20, v4
	v_and_b32_e32 v6, 0x80000000, v6
	v_lshl_add_u32 v5, v5, 23, v61
	v_or3_b32 v4, v6, v5, v4
.LBB6_4503:                             ;   in Loop: Header=BB6_4252 Depth=2
	s_or_b64 exec, exec, s[62:63]
.LBB6_4504:                             ;   in Loop: Header=BB6_4252 Depth=2
	s_or_b64 exec, exec, s[60:61]
.LBB6_4505:                             ;   in Loop: Header=BB6_4252 Depth=2
	s_or_b64 exec, exec, s[58:59]
	v_max_f32_e32 v4, v4, v4
	v_max_f32_e32 v3, v3, v3
	;; [unrolled: 1-line block ×3, first 2 shown]
	s_branch .LBB6_4520
.LBB6_4506:                             ;   in Loop: Header=BB6_4252 Depth=2
                                        ; implicit-def: $vgpr3
	s_cbranch_execz .LBB6_4520
; %bb.4507:                             ;   in Loop: Header=BB6_4252 Depth=2
	v_mov_b32_e32 v4, 0
	v_mov_b32_e32 v3, 0
	s_and_saveexec_b64 s[58:59], s[20:21]
	s_cbranch_execz .LBB6_4513
; %bb.4508:                             ;   in Loop: Header=BB6_4252 Depth=2
	v_cmp_ne_u16_sdwa vcc, v24, s69 src0_sel:BYTE_0 src1_sel:DWORD
	v_bfrev_b32_e32 v3, 1
	s_and_saveexec_b64 s[20:21], vcc
	s_cbranch_execz .LBB6_4512
; %bb.4509:                             ;   in Loop: Header=BB6_4252 Depth=2
	v_bfe_u32 v5, v15, 16, 7
	v_cmp_ne_u32_e32 vcc, s71, v5
	v_mov_b32_e32 v3, 0x7f800001
	s_and_saveexec_b64 s[60:61], vcc
	s_cbranch_execz .LBB6_4511
; %bb.4510:                             ;   in Loop: Header=BB6_4252 Depth=2
	v_and_b32_e32 v3, 7, v24
	v_ffbh_u32_e32 v6, v3
	v_min_u32_e32 v9, 32, v6
	v_subrev_u32_e32 v6, 28, v9
	v_lshlrev_b64 v[6:7], v6, v[24:25]
	v_lshrrev_b32_e32 v8, 3, v5
	v_sub_u32_e32 v7, 29, v9
	v_and_b32_e32 v6, 7, v6
	v_cmp_gt_u32_e32 vcc, 8, v5
	v_cndmask_b32_e32 v5, v8, v7, vcc
	v_cndmask_b32_e32 v3, v3, v6, vcc
	v_lshlrev_b32_e32 v6, 24, v24
	v_lshlrev_b32_e32 v3, 20, v3
	v_and_b32_e32 v6, 0x80000000, v6
	v_lshl_add_u32 v5, v5, 23, v61
	v_or3_b32 v3, v6, v5, v3
.LBB6_4511:                             ;   in Loop: Header=BB6_4252 Depth=2
	s_or_b64 exec, exec, s[60:61]
.LBB6_4512:                             ;   in Loop: Header=BB6_4252 Depth=2
	s_or_b64 exec, exec, s[20:21]
.LBB6_4513:                             ;   in Loop: Header=BB6_4252 Depth=2
	s_or_b64 exec, exec, s[58:59]
	v_cmp_ne_u16_sdwa vcc, v2, v53 src0_sel:BYTE_0 src1_sel:DWORD
	s_and_saveexec_b64 s[20:21], vcc
	s_cbranch_execz .LBB6_4519
; %bb.4514:                             ;   in Loop: Header=BB6_4252 Depth=2
	v_cmp_ne_u16_sdwa vcc, v2, s69 src0_sel:BYTE_0 src1_sel:DWORD
	v_bfrev_b32_e32 v4, 1
	s_and_saveexec_b64 s[58:59], vcc
	s_cbranch_execz .LBB6_4518
; %bb.4515:                             ;   in Loop: Header=BB6_4252 Depth=2
	v_bfe_u32 v5, v11, 16, 7
	v_cmp_ne_u32_e32 vcc, s71, v5
	v_mov_b32_e32 v4, 0x7f800001
	s_and_saveexec_b64 s[60:61], vcc
	s_cbranch_execz .LBB6_4517
; %bb.4516:                             ;   in Loop: Header=BB6_4252 Depth=2
	v_and_b32_e32 v4, 7, v2
	v_ffbh_u32_e32 v6, v4
	v_min_u32_e32 v9, 32, v6
	v_subrev_u32_e32 v6, 28, v9
	v_lshlrev_b64 v[6:7], v6, v[2:3]
	v_lshrrev_b32_e32 v8, 3, v5
	v_sub_u32_e32 v7, 29, v9
	v_and_b32_e32 v6, 7, v6
	v_cmp_gt_u32_e32 vcc, 8, v5
	v_cndmask_b32_e32 v5, v8, v7, vcc
	v_cndmask_b32_e32 v4, v4, v6, vcc
	v_lshlrev_b32_e32 v2, 24, v2
	v_lshlrev_b32_e32 v4, 20, v4
	v_and_b32_e32 v2, 0x80000000, v2
	v_lshl_add_u32 v5, v5, 23, v61
	v_or3_b32 v4, v2, v5, v4
.LBB6_4517:                             ;   in Loop: Header=BB6_4252 Depth=2
	s_or_b64 exec, exec, s[60:61]
.LBB6_4518:                             ;   in Loop: Header=BB6_4252 Depth=2
	s_or_b64 exec, exec, s[58:59]
.LBB6_4519:                             ;   in Loop: Header=BB6_4252 Depth=2
	s_or_b64 exec, exec, s[20:21]
	v_max_f32_e32 v2, v4, v4
	v_max_f32_e32 v3, v3, v3
	v_min_f32_e32 v3, v3, v2
.LBB6_4520:                             ;   in Loop: Header=BB6_4252 Depth=2
	v_and_b32_sdwa v4, v3, s69 dst_sel:DWORD dst_unused:UNUSED_PAD src0_sel:BYTE_3 src1_sel:DWORD
	v_and_b32_e32 v6, 0x7f800000, v3
	v_mov_b32_e32 v7, v53
	v_and_b32_e32 v52, 0x7fffff, v3
	v_or_b32_e32 v28, 0x7e, v4
	v_cmp_ne_u64_e32 vcc, s[40:41], v[6:7]
	s_and_saveexec_b64 s[20:21], vcc
	s_xor_b64 s[58:59], exec, s[20:21]
	s_cbranch_execz .LBB6_4530
; %bb.4521:                             ;   in Loop: Header=BB6_4252 Depth=2
	v_and_b32_e32 v6, 0x7fffffff, v3
	v_mov_b32_e32 v7, v53
	v_cmp_gt_u64_e32 vcc, s[42:43], v[6:7]
	s_and_saveexec_b64 s[60:61], vcc
	s_cbranch_execz .LBB6_4529
; %bb.4522:                             ;   in Loop: Header=BB6_4252 Depth=2
	v_cmp_ne_u32_e32 vcc, 0, v3
	v_mov_b32_e32 v28, 0
	s_and_saveexec_b64 s[62:63], vcc
	s_cbranch_execz .LBB6_4528
; %bb.4523:                             ;   in Loop: Header=BB6_4252 Depth=2
	v_bfe_u32 v2, v3, 23, 8
	v_sub_u32_e32 v5, 0x79, v2
	v_cmp_gt_u32_e32 vcc, s73, v2
	v_cndmask_b32_e32 v5, 0, v5, vcc
	v_cmp_eq_u32_e32 vcc, 0, v2
	v_or_b32_e32 v6, 0x800000, v52
	v_cndmask_b32_e32 v5, v5, v32, vcc
	v_add_u32_e32 v3, 0xffffff81, v2
	v_cndmask_b32_e32 v52, v6, v52, vcc
	v_add_u32_e32 v2, 20, v5
	v_cndmask_b32_e32 v24, v3, v33, vcc
	v_lshlrev_b64 v[2:3], v2, -1
	v_lshrrev_b64 v[8:9], v5, v[52:53]
	v_not_b32_e32 v3, v3
	v_not_b32_e32 v2, v2
	v_add_u32_e32 v6, 19, v5
	v_lshrrev_b32_e32 v28, 23, v8
	v_and_b32_e32 v3, 0, v3
	v_and_b32_e32 v2, v52, v2
	v_lshlrev_b64 v[6:7], v6, 1
	v_add3_u32 v28, v5, v24, v28
	v_bfe_u32 v5, v8, 20, 1
	v_add_u32_e32 v5, -1, v5
	v_cmp_eq_u64_e32 vcc, v[2:3], v[6:7]
	v_cndmask_b32_e32 v2, 0, v5, vcc
	v_add_u32_e32 v2, v2, v8
	v_and_b32_e32 v2, 0xfffff, v2
	v_add_co_u32_e32 v2, vcc, v2, v8
	v_add_u32_e32 v24, 6, v28
	v_addc_co_u32_e32 v3, vcc, 0, v9, vcc
	v_cmp_ne_u32_e32 vcc, 0, v24
                                        ; implicit-def: $vgpr5
	s_and_saveexec_b64 s[20:21], vcc
	s_xor_b64 s[20:21], exec, s[20:21]
; %bb.4524:                             ;   in Loop: Header=BB6_4252 Depth=2
	v_cmp_lt_u64_e32 vcc, s[46:47], v[2:3]
	v_add_u32_e32 v5, 7, v28
	v_cndmask_b32_e64 v6, 0, 1, vcc
	v_cndmask_b32_e32 v5, v24, v5, vcc
	v_lshrrev_b64 v[2:3], v6, v[2:3]
; %bb.4525:                             ;   in Loop: Header=BB6_4252 Depth=2
	s_andn2_saveexec_b64 s[20:21], s[20:21]
; %bb.4526:                             ;   in Loop: Header=BB6_4252 Depth=2
	v_bfe_u32 v5, v2, 23, 1
; %bb.4527:                             ;   in Loop: Header=BB6_4252 Depth=2
	s_or_b64 exec, exec, s[20:21]
	v_lshrrev_b64 v[2:3], 20, v[2:3]
	v_cmp_gt_i32_e32 vcc, 16, v5
	v_cndmask_b32_e32 v3, 0, v3, vcc
	v_cndmask_b32_e32 v2, 7, v2, vcc
	v_cmp_eq_u64_e64 s[20:21], 0, v[2:3]
	v_min_i32_e32 v3, 15, v5
	v_lshlrev_b32_e32 v3, 3, v3
	v_cmp_eq_u32_e32 vcc, 0, v5
	v_and_b32_e32 v3, 0xf8, v3
	v_and_or_b32 v2, v2, 7, v3
	s_and_b64 s[20:21], vcc, s[20:21]
	v_cndmask_b32_e64 v2, v2, 0, s[20:21]
	v_or_b32_e32 v28, v2, v4
.LBB6_4528:                             ;   in Loop: Header=BB6_4252 Depth=2
	s_or_b64 exec, exec, s[62:63]
.LBB6_4529:                             ;   in Loop: Header=BB6_4252 Depth=2
	s_or_b64 exec, exec, s[60:61]
                                        ; implicit-def: $vgpr3
.LBB6_4530:                             ;   in Loop: Header=BB6_4252 Depth=2
	s_andn2_saveexec_b64 s[20:21], s[58:59]
; %bb.4531:                             ;   in Loop: Header=BB6_4252 Depth=2
	v_or_b32_sdwa v2, v3, s71 dst_sel:DWORD dst_unused:UNUSED_PAD src0_sel:BYTE_3 src1_sel:DWORD
	v_cmp_eq_u64_e32 vcc, 0, v[52:53]
	v_cndmask_b32_e32 v28, v2, v28, vcc
; %bb.4532:                             ;   in Loop: Header=BB6_4252 Depth=2
	s_or_b64 exec, exec, s[20:21]
	v_lshrrev_b32_e32 v24, 24, v15
	v_lshrrev_b32_e32 v2, 24, v11
	v_cmp_lt_u64_e64 s[20:21], s[44:45], v[14:15]
	s_and_b64 vcc, exec, s[56:57]
	s_cbranch_vccz .LBB6_4546
; %bb.4533:                             ;   in Loop: Header=BB6_4252 Depth=2
	v_mov_b32_e32 v4, 0
	v_mov_b32_e32 v3, 0
	s_and_saveexec_b64 s[58:59], s[20:21]
	s_cbranch_execz .LBB6_4539
; %bb.4534:                             ;   in Loop: Header=BB6_4252 Depth=2
	v_cmp_ne_u32_e32 vcc, s69, v24
	v_bfrev_b32_e32 v3, 1
	s_and_saveexec_b64 s[60:61], vcc
	s_cbranch_execz .LBB6_4538
; %bb.4535:                             ;   in Loop: Header=BB6_4252 Depth=2
	v_bfe_u32 v5, v15, 24, 7
	v_cmp_ne_u32_e32 vcc, s71, v5
	v_mov_b32_e32 v3, 0x7f800001
	s_and_saveexec_b64 s[62:63], vcc
	s_cbranch_execz .LBB6_4537
; %bb.4536:                             ;   in Loop: Header=BB6_4252 Depth=2
	v_and_b32_e32 v3, 7, v24
	v_ffbh_u32_e32 v6, v3
	v_min_u32_e32 v9, 32, v6
	v_subrev_u32_e32 v6, 28, v9
	v_lshlrev_b64 v[6:7], v6, v[24:25]
	v_lshrrev_b32_e32 v8, 3, v5
	v_sub_u32_e32 v7, 29, v9
	v_and_b32_e32 v6, 7, v6
	v_cmp_gt_u32_e32 vcc, 8, v5
	v_cndmask_b32_e32 v5, v8, v7, vcc
	v_cndmask_b32_e32 v3, v3, v6, vcc
	v_lshlrev_b32_e32 v6, 24, v24
	v_lshlrev_b32_e32 v3, 20, v3
	v_and_b32_e32 v6, 0x80000000, v6
	v_lshl_add_u32 v5, v5, 23, v61
	v_or3_b32 v3, v6, v5, v3
.LBB6_4537:                             ;   in Loop: Header=BB6_4252 Depth=2
	s_or_b64 exec, exec, s[62:63]
.LBB6_4538:                             ;   in Loop: Header=BB6_4252 Depth=2
	s_or_b64 exec, exec, s[60:61]
.LBB6_4539:                             ;   in Loop: Header=BB6_4252 Depth=2
	s_or_b64 exec, exec, s[58:59]
	v_cmp_lt_u64_e32 vcc, s[44:45], v[10:11]
	s_and_saveexec_b64 s[58:59], vcc
	s_cbranch_execz .LBB6_4545
; %bb.4540:                             ;   in Loop: Header=BB6_4252 Depth=2
	v_cmp_ne_u32_e32 vcc, s69, v2
	v_bfrev_b32_e32 v4, 1
	s_and_saveexec_b64 s[60:61], vcc
	s_cbranch_execz .LBB6_4544
; %bb.4541:                             ;   in Loop: Header=BB6_4252 Depth=2
	v_bfe_u32 v5, v11, 24, 7
	v_cmp_ne_u32_e32 vcc, s71, v5
	v_mov_b32_e32 v4, 0x7f800001
	s_and_saveexec_b64 s[62:63], vcc
	s_cbranch_execz .LBB6_4543
; %bb.4542:                             ;   in Loop: Header=BB6_4252 Depth=2
	v_and_b32_e32 v4, 7, v2
	v_ffbh_u32_e32 v6, v4
	v_min_u32_e32 v9, 32, v6
	v_subrev_u32_e32 v6, 28, v9
	v_lshlrev_b64 v[6:7], v6, v[2:3]
	v_lshrrev_b32_e32 v8, 3, v5
	v_sub_u32_e32 v7, 29, v9
	v_and_b32_e32 v6, 7, v6
	v_cmp_gt_u32_e32 vcc, 8, v5
	v_cndmask_b32_e32 v5, v8, v7, vcc
	v_cndmask_b32_e32 v4, v4, v6, vcc
	v_lshlrev_b32_e32 v6, 24, v2
	v_lshlrev_b32_e32 v4, 20, v4
	v_and_b32_e32 v6, 0x80000000, v6
	v_lshl_add_u32 v5, v5, 23, v61
	v_or3_b32 v4, v6, v5, v4
.LBB6_4543:                             ;   in Loop: Header=BB6_4252 Depth=2
	s_or_b64 exec, exec, s[62:63]
.LBB6_4544:                             ;   in Loop: Header=BB6_4252 Depth=2
	s_or_b64 exec, exec, s[60:61]
.LBB6_4545:                             ;   in Loop: Header=BB6_4252 Depth=2
	s_or_b64 exec, exec, s[58:59]
	v_max_f32_e32 v4, v4, v4
	v_max_f32_e32 v3, v3, v3
	;; [unrolled: 1-line block ×3, first 2 shown]
	s_branch .LBB6_4560
.LBB6_4546:                             ;   in Loop: Header=BB6_4252 Depth=2
                                        ; implicit-def: $vgpr3
	s_cbranch_execz .LBB6_4560
; %bb.4547:                             ;   in Loop: Header=BB6_4252 Depth=2
	v_mov_b32_e32 v4, 0
	v_mov_b32_e32 v3, 0
	s_and_saveexec_b64 s[58:59], s[20:21]
	s_cbranch_execz .LBB6_4553
; %bb.4548:                             ;   in Loop: Header=BB6_4252 Depth=2
	v_cmp_ne_u32_e32 vcc, s69, v24
	v_bfrev_b32_e32 v3, 1
	s_and_saveexec_b64 s[20:21], vcc
	s_cbranch_execz .LBB6_4552
; %bb.4549:                             ;   in Loop: Header=BB6_4252 Depth=2
	v_bfe_u32 v5, v15, 24, 7
	v_cmp_ne_u32_e32 vcc, s71, v5
	v_mov_b32_e32 v3, 0x7f800001
	s_and_saveexec_b64 s[60:61], vcc
	s_cbranch_execz .LBB6_4551
; %bb.4550:                             ;   in Loop: Header=BB6_4252 Depth=2
	v_and_b32_e32 v3, 7, v24
	v_ffbh_u32_e32 v6, v3
	v_min_u32_e32 v9, 32, v6
	v_subrev_u32_e32 v6, 28, v9
	v_lshlrev_b64 v[6:7], v6, v[24:25]
	v_lshrrev_b32_e32 v8, 3, v5
	v_sub_u32_e32 v7, 29, v9
	v_and_b32_e32 v6, 7, v6
	v_cmp_gt_u32_e32 vcc, 8, v5
	v_cndmask_b32_e32 v5, v8, v7, vcc
	v_cndmask_b32_e32 v3, v3, v6, vcc
	v_lshlrev_b32_e32 v6, 24, v24
	v_lshlrev_b32_e32 v3, 20, v3
	v_and_b32_e32 v6, 0x80000000, v6
	v_lshl_add_u32 v5, v5, 23, v61
	v_or3_b32 v3, v6, v5, v3
.LBB6_4551:                             ;   in Loop: Header=BB6_4252 Depth=2
	s_or_b64 exec, exec, s[60:61]
.LBB6_4552:                             ;   in Loop: Header=BB6_4252 Depth=2
	s_or_b64 exec, exec, s[20:21]
.LBB6_4553:                             ;   in Loop: Header=BB6_4252 Depth=2
	s_or_b64 exec, exec, s[58:59]
	v_cmp_lt_u64_e32 vcc, s[44:45], v[10:11]
	s_and_saveexec_b64 s[20:21], vcc
	s_cbranch_execz .LBB6_4559
; %bb.4554:                             ;   in Loop: Header=BB6_4252 Depth=2
	v_cmp_ne_u32_e32 vcc, s69, v2
	v_bfrev_b32_e32 v4, 1
	s_and_saveexec_b64 s[58:59], vcc
	s_cbranch_execz .LBB6_4558
; %bb.4555:                             ;   in Loop: Header=BB6_4252 Depth=2
	v_bfe_u32 v5, v11, 24, 7
	v_cmp_ne_u32_e32 vcc, s71, v5
	v_mov_b32_e32 v4, 0x7f800001
	s_and_saveexec_b64 s[60:61], vcc
	s_cbranch_execz .LBB6_4557
; %bb.4556:                             ;   in Loop: Header=BB6_4252 Depth=2
	v_and_b32_e32 v4, 7, v2
	v_ffbh_u32_e32 v6, v4
	v_min_u32_e32 v9, 32, v6
	v_subrev_u32_e32 v6, 28, v9
	v_lshlrev_b64 v[6:7], v6, v[2:3]
	v_lshrrev_b32_e32 v8, 3, v5
	v_sub_u32_e32 v7, 29, v9
	v_and_b32_e32 v6, 7, v6
	v_cmp_gt_u32_e32 vcc, 8, v5
	v_cndmask_b32_e32 v5, v8, v7, vcc
	v_cndmask_b32_e32 v4, v4, v6, vcc
	v_lshlrev_b32_e32 v2, 24, v2
	v_lshlrev_b32_e32 v4, 20, v4
	v_and_b32_e32 v2, 0x80000000, v2
	v_lshl_add_u32 v5, v5, 23, v61
	v_or3_b32 v4, v2, v5, v4
.LBB6_4557:                             ;   in Loop: Header=BB6_4252 Depth=2
	s_or_b64 exec, exec, s[60:61]
.LBB6_4558:                             ;   in Loop: Header=BB6_4252 Depth=2
	s_or_b64 exec, exec, s[58:59]
.LBB6_4559:                             ;   in Loop: Header=BB6_4252 Depth=2
	s_or_b64 exec, exec, s[20:21]
	v_max_f32_e32 v2, v4, v4
	v_max_f32_e32 v3, v3, v3
	v_min_f32_e32 v3, v3, v2
.LBB6_4560:                             ;   in Loop: Header=BB6_4252 Depth=2
	v_and_b32_sdwa v4, v3, s69 dst_sel:DWORD dst_unused:UNUSED_PAD src0_sel:BYTE_3 src1_sel:DWORD
	v_and_b32_e32 v6, 0x7f800000, v3
	v_mov_b32_e32 v7, v53
	v_and_b32_e32 v52, 0x7fffff, v3
	v_or_b32_e32 v15, 0x7e, v4
	v_cmp_ne_u64_e32 vcc, s[40:41], v[6:7]
	s_and_saveexec_b64 s[20:21], vcc
	s_xor_b64 s[58:59], exec, s[20:21]
	s_cbranch_execnz .LBB6_4576
; %bb.4561:                             ;   in Loop: Header=BB6_4252 Depth=2
	s_andn2_saveexec_b64 s[20:21], s[58:59]
	s_cbranch_execnz .LBB6_4585
.LBB6_4562:                             ;   in Loop: Header=BB6_4252 Depth=2
	s_or_b64 exec, exec, s[20:21]
	v_cmp_ne_u16_sdwa s[20:21], v16, v53 src0_sel:BYTE_0 src1_sel:DWORD
	s_and_b64 vcc, exec, s[56:57]
	s_cbranch_vccz .LBB6_4586
.LBB6_4563:                             ;   in Loop: Header=BB6_4252 Depth=2
	v_mov_b32_e32 v3, 0
	v_mov_b32_e32 v2, 0
	s_and_saveexec_b64 s[58:59], s[20:21]
	s_cbranch_execz .LBB6_4569
; %bb.4564:                             ;   in Loop: Header=BB6_4252 Depth=2
	v_cmp_ne_u16_sdwa vcc, v16, s69 src0_sel:BYTE_0 src1_sel:DWORD
	v_bfrev_b32_e32 v2, 1
	s_and_saveexec_b64 s[60:61], vcc
	s_cbranch_execz .LBB6_4568
; %bb.4565:                             ;   in Loop: Header=BB6_4252 Depth=2
	v_and_b32_e32 v4, 0x7f, v16
	v_cmp_ne_u32_e32 vcc, s71, v4
	v_mov_b32_e32 v2, 0x7f800001
	s_and_saveexec_b64 s[62:63], vcc
	s_cbranch_execz .LBB6_4567
; %bb.4566:                             ;   in Loop: Header=BB6_4252 Depth=2
	v_and_b32_e32 v2, 7, v16
	v_ffbh_u32_e32 v2, v2
	v_min_u32_e32 v2, 32, v2
	v_subrev_u32_e32 v6, 28, v2
	v_cmp_gt_u32_e32 vcc, 8, v4
	v_lshrrev_b32_e32 v5, 3, v4
	v_sub_u32_e32 v2, 29, v2
	v_cndmask_b32_e32 v4, 0, v6, vcc
	v_cndmask_b32_e32 v2, v5, v2, vcc
	v_lshlrev_b64 v[4:5], v4, v[16:17]
	v_lshlrev_b32_e32 v4, 20, v4
	v_lshlrev_b32_e32 v5, 24, v16
	v_and_b32_e32 v4, 0x700000, v4
	v_and_b32_e32 v5, 0x80000000, v5
	v_lshl_add_u32 v2, v2, 23, v61
	v_or3_b32 v2, v5, v2, v4
.LBB6_4567:                             ;   in Loop: Header=BB6_4252 Depth=2
	s_or_b64 exec, exec, s[62:63]
.LBB6_4568:                             ;   in Loop: Header=BB6_4252 Depth=2
	s_or_b64 exec, exec, s[60:61]
.LBB6_4569:                             ;   in Loop: Header=BB6_4252 Depth=2
	s_or_b64 exec, exec, s[58:59]
	v_cmp_ne_u16_sdwa vcc, v12, v53 src0_sel:BYTE_0 src1_sel:DWORD
	s_and_saveexec_b64 s[58:59], vcc
	s_cbranch_execz .LBB6_4575
; %bb.4570:                             ;   in Loop: Header=BB6_4252 Depth=2
	v_cmp_ne_u16_sdwa vcc, v12, s69 src0_sel:BYTE_0 src1_sel:DWORD
	v_bfrev_b32_e32 v3, 1
	s_and_saveexec_b64 s[60:61], vcc
	s_cbranch_execz .LBB6_4574
; %bb.4571:                             ;   in Loop: Header=BB6_4252 Depth=2
	v_and_b32_e32 v4, 0x7f, v12
	v_cmp_ne_u32_e32 vcc, s71, v4
	v_mov_b32_e32 v3, 0x7f800001
	s_and_saveexec_b64 s[62:63], vcc
	s_cbranch_execz .LBB6_4573
; %bb.4572:                             ;   in Loop: Header=BB6_4252 Depth=2
	v_and_b32_e32 v3, 7, v12
	v_ffbh_u32_e32 v3, v3
	v_min_u32_e32 v3, 32, v3
	v_subrev_u32_e32 v6, 28, v3
	v_cmp_gt_u32_e32 vcc, 8, v4
	v_lshrrev_b32_e32 v5, 3, v4
	v_sub_u32_e32 v3, 29, v3
	v_cndmask_b32_e32 v4, 0, v6, vcc
	v_cndmask_b32_e32 v3, v5, v3, vcc
	v_lshlrev_b64 v[4:5], v4, v[12:13]
	v_lshlrev_b32_e32 v4, 20, v4
	v_lshlrev_b32_e32 v5, 24, v12
	v_and_b32_e32 v4, 0x700000, v4
	v_and_b32_e32 v5, 0x80000000, v5
	v_lshl_add_u32 v3, v3, 23, v61
	v_or3_b32 v3, v5, v3, v4
.LBB6_4573:                             ;   in Loop: Header=BB6_4252 Depth=2
	s_or_b64 exec, exec, s[62:63]
.LBB6_4574:                             ;   in Loop: Header=BB6_4252 Depth=2
	s_or_b64 exec, exec, s[60:61]
.LBB6_4575:                             ;   in Loop: Header=BB6_4252 Depth=2
	s_or_b64 exec, exec, s[58:59]
	v_max_f32_e32 v3, v3, v3
	v_max_f32_e32 v2, v2, v2
	;; [unrolled: 1-line block ×3, first 2 shown]
	s_branch .LBB6_4600
.LBB6_4576:                             ;   in Loop: Header=BB6_4252 Depth=2
	v_and_b32_e32 v6, 0x7fffffff, v3
	v_mov_b32_e32 v7, v53
	v_cmp_gt_u64_e32 vcc, s[42:43], v[6:7]
	s_and_saveexec_b64 s[60:61], vcc
	s_cbranch_execz .LBB6_4584
; %bb.4577:                             ;   in Loop: Header=BB6_4252 Depth=2
	v_cmp_ne_u32_e32 vcc, 0, v3
	v_mov_b32_e32 v15, 0
	s_and_saveexec_b64 s[62:63], vcc
	s_cbranch_execz .LBB6_4583
; %bb.4578:                             ;   in Loop: Header=BB6_4252 Depth=2
	v_bfe_u32 v2, v3, 23, 8
	v_sub_u32_e32 v5, 0x79, v2
	v_cmp_gt_u32_e32 vcc, s73, v2
	v_cndmask_b32_e32 v5, 0, v5, vcc
	v_cmp_eq_u32_e32 vcc, 0, v2
	v_or_b32_e32 v6, 0x800000, v52
	v_cndmask_b32_e32 v5, v5, v32, vcc
	v_add_u32_e32 v3, 0xffffff81, v2
	v_cndmask_b32_e32 v52, v6, v52, vcc
	v_add_u32_e32 v2, 20, v5
	v_cndmask_b32_e32 v10, v3, v33, vcc
	v_lshlrev_b64 v[2:3], v2, -1
	v_lshrrev_b64 v[8:9], v5, v[52:53]
	v_not_b32_e32 v3, v3
	v_not_b32_e32 v2, v2
	v_add_u32_e32 v6, 19, v5
	v_lshrrev_b32_e32 v11, 23, v8
	v_and_b32_e32 v3, 0, v3
	v_and_b32_e32 v2, v52, v2
	v_lshlrev_b64 v[6:7], v6, 1
	v_add3_u32 v11, v5, v10, v11
	v_bfe_u32 v5, v8, 20, 1
	v_add_u32_e32 v5, -1, v5
	v_cmp_eq_u64_e32 vcc, v[2:3], v[6:7]
	v_cndmask_b32_e32 v2, 0, v5, vcc
	v_add_u32_e32 v2, v2, v8
	v_and_b32_e32 v2, 0xfffff, v2
	v_add_co_u32_e32 v2, vcc, v2, v8
	v_add_u32_e32 v10, 6, v11
	v_addc_co_u32_e32 v3, vcc, 0, v9, vcc
	v_cmp_ne_u32_e32 vcc, 0, v10
                                        ; implicit-def: $vgpr5
	s_and_saveexec_b64 s[20:21], vcc
	s_xor_b64 s[20:21], exec, s[20:21]
; %bb.4579:                             ;   in Loop: Header=BB6_4252 Depth=2
	v_cmp_lt_u64_e32 vcc, s[46:47], v[2:3]
	v_add_u32_e32 v5, 7, v11
	v_cndmask_b32_e64 v6, 0, 1, vcc
	v_cndmask_b32_e32 v5, v10, v5, vcc
	v_lshrrev_b64 v[2:3], v6, v[2:3]
; %bb.4580:                             ;   in Loop: Header=BB6_4252 Depth=2
	s_andn2_saveexec_b64 s[20:21], s[20:21]
; %bb.4581:                             ;   in Loop: Header=BB6_4252 Depth=2
	v_bfe_u32 v5, v2, 23, 1
; %bb.4582:                             ;   in Loop: Header=BB6_4252 Depth=2
	s_or_b64 exec, exec, s[20:21]
	v_lshrrev_b64 v[2:3], 20, v[2:3]
	v_cmp_gt_i32_e32 vcc, 16, v5
	v_cndmask_b32_e32 v3, 0, v3, vcc
	v_cndmask_b32_e32 v2, 7, v2, vcc
	v_cmp_eq_u64_e64 s[20:21], 0, v[2:3]
	v_min_i32_e32 v3, 15, v5
	v_lshlrev_b32_e32 v3, 3, v3
	v_cmp_eq_u32_e32 vcc, 0, v5
	v_and_b32_e32 v3, 0xf8, v3
	v_and_or_b32 v2, v2, 7, v3
	s_and_b64 s[20:21], vcc, s[20:21]
	v_cndmask_b32_e64 v2, v2, 0, s[20:21]
	v_or_b32_e32 v15, v2, v4
.LBB6_4583:                             ;   in Loop: Header=BB6_4252 Depth=2
	s_or_b64 exec, exec, s[62:63]
.LBB6_4584:                             ;   in Loop: Header=BB6_4252 Depth=2
	s_or_b64 exec, exec, s[60:61]
                                        ; implicit-def: $vgpr3
	s_andn2_saveexec_b64 s[20:21], s[58:59]
	s_cbranch_execz .LBB6_4562
.LBB6_4585:                             ;   in Loop: Header=BB6_4252 Depth=2
	v_or_b32_sdwa v2, v3, s71 dst_sel:DWORD dst_unused:UNUSED_PAD src0_sel:BYTE_3 src1_sel:DWORD
	v_cmp_eq_u64_e32 vcc, 0, v[52:53]
	v_cndmask_b32_e32 v15, v2, v15, vcc
	s_or_b64 exec, exec, s[20:21]
	v_cmp_ne_u16_sdwa s[20:21], v16, v53 src0_sel:BYTE_0 src1_sel:DWORD
	s_and_b64 vcc, exec, s[56:57]
	s_cbranch_vccnz .LBB6_4563
.LBB6_4586:                             ;   in Loop: Header=BB6_4252 Depth=2
                                        ; implicit-def: $vgpr2
	s_cbranch_execz .LBB6_4600
; %bb.4587:                             ;   in Loop: Header=BB6_4252 Depth=2
	v_mov_b32_e32 v3, 0
	v_mov_b32_e32 v2, 0
	s_and_saveexec_b64 s[58:59], s[20:21]
	s_cbranch_execz .LBB6_4593
; %bb.4588:                             ;   in Loop: Header=BB6_4252 Depth=2
	v_cmp_ne_u16_sdwa vcc, v16, s69 src0_sel:BYTE_0 src1_sel:DWORD
	v_bfrev_b32_e32 v2, 1
	s_and_saveexec_b64 s[20:21], vcc
	s_cbranch_execz .LBB6_4592
; %bb.4589:                             ;   in Loop: Header=BB6_4252 Depth=2
	v_and_b32_e32 v4, 0x7f, v16
	v_cmp_ne_u32_e32 vcc, s71, v4
	v_mov_b32_e32 v2, 0x7f800001
	s_and_saveexec_b64 s[60:61], vcc
	s_cbranch_execz .LBB6_4591
; %bb.4590:                             ;   in Loop: Header=BB6_4252 Depth=2
	v_and_b32_e32 v2, 7, v16
	v_ffbh_u32_e32 v2, v2
	v_min_u32_e32 v2, 32, v2
	v_subrev_u32_e32 v6, 28, v2
	v_cmp_gt_u32_e32 vcc, 8, v4
	v_lshrrev_b32_e32 v5, 3, v4
	v_sub_u32_e32 v2, 29, v2
	v_cndmask_b32_e32 v4, 0, v6, vcc
	v_cndmask_b32_e32 v2, v5, v2, vcc
	v_lshlrev_b64 v[4:5], v4, v[16:17]
	v_lshlrev_b32_e32 v4, 20, v4
	v_lshlrev_b32_e32 v5, 24, v16
	v_and_b32_e32 v4, 0x700000, v4
	v_and_b32_e32 v5, 0x80000000, v5
	v_lshl_add_u32 v2, v2, 23, v61
	v_or3_b32 v2, v5, v2, v4
.LBB6_4591:                             ;   in Loop: Header=BB6_4252 Depth=2
	s_or_b64 exec, exec, s[60:61]
.LBB6_4592:                             ;   in Loop: Header=BB6_4252 Depth=2
	s_or_b64 exec, exec, s[20:21]
.LBB6_4593:                             ;   in Loop: Header=BB6_4252 Depth=2
	s_or_b64 exec, exec, s[58:59]
	v_cmp_ne_u16_sdwa vcc, v12, v53 src0_sel:BYTE_0 src1_sel:DWORD
	s_and_saveexec_b64 s[20:21], vcc
	s_cbranch_execz .LBB6_4599
; %bb.4594:                             ;   in Loop: Header=BB6_4252 Depth=2
	v_cmp_ne_u16_sdwa vcc, v12, s69 src0_sel:BYTE_0 src1_sel:DWORD
	v_bfrev_b32_e32 v3, 1
	s_and_saveexec_b64 s[58:59], vcc
	s_cbranch_execz .LBB6_4598
; %bb.4595:                             ;   in Loop: Header=BB6_4252 Depth=2
	v_and_b32_e32 v4, 0x7f, v12
	v_cmp_ne_u32_e32 vcc, s71, v4
	v_mov_b32_e32 v3, 0x7f800001
	s_and_saveexec_b64 s[60:61], vcc
	s_cbranch_execz .LBB6_4597
; %bb.4596:                             ;   in Loop: Header=BB6_4252 Depth=2
	v_and_b32_e32 v3, 7, v12
	v_ffbh_u32_e32 v3, v3
	v_min_u32_e32 v3, 32, v3
	v_subrev_u32_e32 v6, 28, v3
	v_cmp_gt_u32_e32 vcc, 8, v4
	v_lshrrev_b32_e32 v5, 3, v4
	v_sub_u32_e32 v3, 29, v3
	v_cndmask_b32_e32 v4, 0, v6, vcc
	v_cndmask_b32_e32 v3, v5, v3, vcc
	v_lshlrev_b64 v[4:5], v4, v[12:13]
	v_lshlrev_b32_e32 v4, 20, v4
	v_lshlrev_b32_e32 v5, 24, v12
	v_and_b32_e32 v4, 0x700000, v4
	v_and_b32_e32 v5, 0x80000000, v5
	v_lshl_add_u32 v3, v3, 23, v61
	v_or3_b32 v3, v5, v3, v4
.LBB6_4597:                             ;   in Loop: Header=BB6_4252 Depth=2
	s_or_b64 exec, exec, s[60:61]
.LBB6_4598:                             ;   in Loop: Header=BB6_4252 Depth=2
	s_or_b64 exec, exec, s[58:59]
.LBB6_4599:                             ;   in Loop: Header=BB6_4252 Depth=2
	s_or_b64 exec, exec, s[20:21]
	v_max_f32_e32 v3, v3, v3
	v_max_f32_e32 v2, v2, v2
	v_min_f32_e32 v2, v2, v3
.LBB6_4600:                             ;   in Loop: Header=BB6_4252 Depth=2
	v_and_b32_sdwa v4, v2, s69 dst_sel:DWORD dst_unused:UNUSED_PAD src0_sel:BYTE_3 src1_sel:DWORD
	v_and_b32_e32 v6, 0x7f800000, v2
	v_mov_b32_e32 v7, v53
	v_and_b32_e32 v52, 0x7fffff, v2
	v_or_b32_e32 v24, 0x7e, v4
	v_cmp_ne_u64_e32 vcc, s[40:41], v[6:7]
	s_and_saveexec_b64 s[20:21], vcc
	s_xor_b64 s[58:59], exec, s[20:21]
	s_cbranch_execz .LBB6_4610
; %bb.4601:                             ;   in Loop: Header=BB6_4252 Depth=2
	v_and_b32_e32 v6, 0x7fffffff, v2
	v_mov_b32_e32 v7, v53
	v_cmp_gt_u64_e32 vcc, s[42:43], v[6:7]
	s_and_saveexec_b64 s[60:61], vcc
	s_cbranch_execz .LBB6_4609
; %bb.4602:                             ;   in Loop: Header=BB6_4252 Depth=2
	v_cmp_ne_u32_e32 vcc, 0, v2
	v_mov_b32_e32 v24, 0
	s_and_saveexec_b64 s[62:63], vcc
	s_cbranch_execz .LBB6_4608
; %bb.4603:                             ;   in Loop: Header=BB6_4252 Depth=2
	v_bfe_u32 v2, v2, 23, 8
	v_sub_u32_e32 v5, 0x79, v2
	v_cmp_gt_u32_e32 vcc, s73, v2
	v_cndmask_b32_e32 v5, 0, v5, vcc
	v_cmp_eq_u32_e32 vcc, 0, v2
	v_or_b32_e32 v6, 0x800000, v52
	v_cndmask_b32_e32 v5, v5, v32, vcc
	v_add_u32_e32 v3, 0xffffff81, v2
	v_cndmask_b32_e32 v52, v6, v52, vcc
	v_add_u32_e32 v2, 20, v5
	v_cndmask_b32_e32 v10, v3, v33, vcc
	v_lshlrev_b64 v[2:3], v2, -1
	v_lshrrev_b64 v[8:9], v5, v[52:53]
	v_not_b32_e32 v3, v3
	v_not_b32_e32 v2, v2
	v_add_u32_e32 v6, 19, v5
	v_lshrrev_b32_e32 v11, 23, v8
	v_and_b32_e32 v3, 0, v3
	v_and_b32_e32 v2, v52, v2
	v_lshlrev_b64 v[6:7], v6, 1
	v_add3_u32 v11, v5, v10, v11
	v_bfe_u32 v5, v8, 20, 1
	v_add_u32_e32 v5, -1, v5
	v_cmp_eq_u64_e32 vcc, v[2:3], v[6:7]
	v_cndmask_b32_e32 v2, 0, v5, vcc
	v_add_u32_e32 v2, v2, v8
	v_and_b32_e32 v2, 0xfffff, v2
	v_add_co_u32_e32 v2, vcc, v2, v8
	v_add_u32_e32 v10, 6, v11
	v_addc_co_u32_e32 v3, vcc, 0, v9, vcc
	v_cmp_ne_u32_e32 vcc, 0, v10
                                        ; implicit-def: $vgpr5
	s_and_saveexec_b64 s[20:21], vcc
	s_xor_b64 s[20:21], exec, s[20:21]
; %bb.4604:                             ;   in Loop: Header=BB6_4252 Depth=2
	v_cmp_lt_u64_e32 vcc, s[46:47], v[2:3]
	v_add_u32_e32 v5, 7, v11
	v_cndmask_b32_e64 v6, 0, 1, vcc
	v_cndmask_b32_e32 v5, v10, v5, vcc
	v_lshrrev_b64 v[2:3], v6, v[2:3]
; %bb.4605:                             ;   in Loop: Header=BB6_4252 Depth=2
	s_andn2_saveexec_b64 s[20:21], s[20:21]
; %bb.4606:                             ;   in Loop: Header=BB6_4252 Depth=2
	v_bfe_u32 v5, v2, 23, 1
; %bb.4607:                             ;   in Loop: Header=BB6_4252 Depth=2
	s_or_b64 exec, exec, s[20:21]
	v_lshrrev_b64 v[2:3], 20, v[2:3]
	v_cmp_gt_i32_e32 vcc, 16, v5
	v_cndmask_b32_e32 v3, 0, v3, vcc
	v_cndmask_b32_e32 v2, 7, v2, vcc
	v_cmp_eq_u64_e64 s[20:21], 0, v[2:3]
	v_min_i32_e32 v3, 15, v5
	v_cmp_eq_u32_e32 vcc, 0, v5
	v_lshlrev_b32_e32 v3, 3, v3
	v_and_or_b32 v2, v2, 7, v3
	s_and_b64 s[20:21], vcc, s[20:21]
	v_cndmask_b32_e64 v2, v2, 0, s[20:21]
	v_or_b32_e32 v24, v2, v4
.LBB6_4608:                             ;   in Loop: Header=BB6_4252 Depth=2
	s_or_b64 exec, exec, s[62:63]
.LBB6_4609:                             ;   in Loop: Header=BB6_4252 Depth=2
	s_or_b64 exec, exec, s[60:61]
                                        ; implicit-def: $vgpr2
.LBB6_4610:                             ;   in Loop: Header=BB6_4252 Depth=2
	s_andn2_saveexec_b64 s[20:21], s[58:59]
; %bb.4611:                             ;   in Loop: Header=BB6_4252 Depth=2
	v_or_b32_sdwa v2, v2, s71 dst_sel:DWORD dst_unused:UNUSED_PAD src0_sel:BYTE_3 src1_sel:DWORD
	v_cmp_eq_u64_e32 vcc, 0, v[52:53]
	v_cndmask_b32_e32 v24, v2, v24, vcc
; %bb.4612:                             ;   in Loop: Header=BB6_4252 Depth=2
	s_or_b64 exec, exec, s[20:21]
	v_lshrrev_b16_e32 v10, 8, v16
	v_lshrrev_b16_e32 v2, 8, v12
	v_cmp_ne_u16_e64 s[20:21], 0, v10
	s_and_b64 vcc, exec, s[56:57]
	s_cbranch_vccz .LBB6_4626
; %bb.4613:                             ;   in Loop: Header=BB6_4252 Depth=2
	v_mov_b32_e32 v4, 0
	v_mov_b32_e32 v3, 0
	s_and_saveexec_b64 s[58:59], s[20:21]
	s_cbranch_execz .LBB6_4619
; %bb.4614:                             ;   in Loop: Header=BB6_4252 Depth=2
	v_cmp_ne_u16_e32 vcc, s69, v10
	v_bfrev_b32_e32 v3, 1
	s_and_saveexec_b64 s[60:61], vcc
	s_cbranch_execz .LBB6_4618
; %bb.4615:                             ;   in Loop: Header=BB6_4252 Depth=2
	v_and_b32_e32 v5, 0x7f, v10
	v_cmp_ne_u32_e32 vcc, s71, v5
	v_mov_b32_e32 v3, 0x7f800001
	s_and_saveexec_b64 s[62:63], vcc
	s_cbranch_execz .LBB6_4617
; %bb.4616:                             ;   in Loop: Header=BB6_4252 Depth=2
	v_and_b32_e32 v3, 7, v10
	v_ffbh_u32_e32 v6, v3
	v_min_u32_e32 v9, 32, v6
	v_subrev_u32_e32 v6, 28, v9
	v_lshlrev_b64 v[6:7], v6, v[10:11]
	v_lshrrev_b32_e32 v8, 3, v5
	v_sub_u32_e32 v7, 29, v9
	v_and_b32_e32 v6, 7, v6
	v_cmp_gt_u32_e32 vcc, 8, v5
	v_cndmask_b32_e32 v5, v8, v7, vcc
	v_cndmask_b32_e32 v3, v3, v6, vcc
	v_lshlrev_b32_e32 v6, 16, v16
	v_lshlrev_b32_e32 v3, 20, v3
	v_and_b32_e32 v6, 0x80000000, v6
	v_lshl_add_u32 v5, v5, 23, v61
	v_or3_b32 v3, v6, v5, v3
.LBB6_4617:                             ;   in Loop: Header=BB6_4252 Depth=2
	s_or_b64 exec, exec, s[62:63]
.LBB6_4618:                             ;   in Loop: Header=BB6_4252 Depth=2
	s_or_b64 exec, exec, s[60:61]
.LBB6_4619:                             ;   in Loop: Header=BB6_4252 Depth=2
	s_or_b64 exec, exec, s[58:59]
	v_cmp_ne_u16_e32 vcc, 0, v2
	s_and_saveexec_b64 s[58:59], vcc
	s_cbranch_execz .LBB6_4625
; %bb.4620:                             ;   in Loop: Header=BB6_4252 Depth=2
	v_cmp_ne_u16_e32 vcc, s69, v2
	v_bfrev_b32_e32 v4, 1
	s_and_saveexec_b64 s[60:61], vcc
	s_cbranch_execz .LBB6_4624
; %bb.4621:                             ;   in Loop: Header=BB6_4252 Depth=2
	v_and_b32_e32 v5, 0x7f, v2
	v_cmp_ne_u32_e32 vcc, s71, v5
	v_mov_b32_e32 v4, 0x7f800001
	s_and_saveexec_b64 s[62:63], vcc
	s_cbranch_execz .LBB6_4623
; %bb.4622:                             ;   in Loop: Header=BB6_4252 Depth=2
	v_and_b32_e32 v4, 7, v2
	v_ffbh_u32_e32 v6, v4
	v_min_u32_e32 v9, 32, v6
	v_subrev_u32_e32 v6, 28, v9
	v_lshlrev_b64 v[6:7], v6, v[2:3]
	v_lshrrev_b32_e32 v8, 3, v5
	v_sub_u32_e32 v7, 29, v9
	v_and_b32_e32 v6, 7, v6
	v_cmp_gt_u32_e32 vcc, 8, v5
	v_cndmask_b32_e32 v5, v8, v7, vcc
	v_cndmask_b32_e32 v4, v4, v6, vcc
	v_lshlrev_b32_e32 v6, 16, v12
	v_lshlrev_b32_e32 v4, 20, v4
	v_and_b32_e32 v6, 0x80000000, v6
	v_lshl_add_u32 v5, v5, 23, v61
	v_or3_b32 v4, v6, v5, v4
.LBB6_4623:                             ;   in Loop: Header=BB6_4252 Depth=2
	s_or_b64 exec, exec, s[62:63]
.LBB6_4624:                             ;   in Loop: Header=BB6_4252 Depth=2
	s_or_b64 exec, exec, s[60:61]
.LBB6_4625:                             ;   in Loop: Header=BB6_4252 Depth=2
	s_or_b64 exec, exec, s[58:59]
	v_max_f32_e32 v4, v4, v4
	v_max_f32_e32 v3, v3, v3
	;; [unrolled: 1-line block ×3, first 2 shown]
	s_branch .LBB6_4640
.LBB6_4626:                             ;   in Loop: Header=BB6_4252 Depth=2
                                        ; implicit-def: $vgpr3
	s_cbranch_execz .LBB6_4640
; %bb.4627:                             ;   in Loop: Header=BB6_4252 Depth=2
	v_mov_b32_e32 v4, 0
	v_mov_b32_e32 v3, 0
	s_and_saveexec_b64 s[58:59], s[20:21]
	s_cbranch_execz .LBB6_4633
; %bb.4628:                             ;   in Loop: Header=BB6_4252 Depth=2
	v_cmp_ne_u16_e32 vcc, s69, v10
	v_bfrev_b32_e32 v3, 1
	s_and_saveexec_b64 s[20:21], vcc
	s_cbranch_execz .LBB6_4632
; %bb.4629:                             ;   in Loop: Header=BB6_4252 Depth=2
	v_and_b32_e32 v5, 0x7f, v10
	v_cmp_ne_u32_e32 vcc, s71, v5
	v_mov_b32_e32 v3, 0x7f800001
	s_and_saveexec_b64 s[60:61], vcc
	s_cbranch_execz .LBB6_4631
; %bb.4630:                             ;   in Loop: Header=BB6_4252 Depth=2
	v_and_b32_e32 v3, 7, v10
	v_ffbh_u32_e32 v6, v3
	v_min_u32_e32 v9, 32, v6
	v_subrev_u32_e32 v6, 28, v9
	v_lshlrev_b64 v[6:7], v6, v[10:11]
	v_lshrrev_b32_e32 v8, 3, v5
	v_sub_u32_e32 v7, 29, v9
	v_and_b32_e32 v6, 7, v6
	v_cmp_gt_u32_e32 vcc, 8, v5
	v_cndmask_b32_e32 v5, v8, v7, vcc
	v_cndmask_b32_e32 v3, v3, v6, vcc
	v_lshlrev_b32_e32 v6, 16, v16
	v_lshlrev_b32_e32 v3, 20, v3
	v_and_b32_e32 v6, 0x80000000, v6
	v_lshl_add_u32 v5, v5, 23, v61
	v_or3_b32 v3, v6, v5, v3
.LBB6_4631:                             ;   in Loop: Header=BB6_4252 Depth=2
	s_or_b64 exec, exec, s[60:61]
.LBB6_4632:                             ;   in Loop: Header=BB6_4252 Depth=2
	s_or_b64 exec, exec, s[20:21]
.LBB6_4633:                             ;   in Loop: Header=BB6_4252 Depth=2
	s_or_b64 exec, exec, s[58:59]
	v_cmp_ne_u16_e32 vcc, 0, v2
	s_and_saveexec_b64 s[20:21], vcc
	s_cbranch_execz .LBB6_4639
; %bb.4634:                             ;   in Loop: Header=BB6_4252 Depth=2
	v_cmp_ne_u16_e32 vcc, s69, v2
	v_bfrev_b32_e32 v4, 1
	s_and_saveexec_b64 s[58:59], vcc
	s_cbranch_execz .LBB6_4638
; %bb.4635:                             ;   in Loop: Header=BB6_4252 Depth=2
	v_and_b32_e32 v5, 0x7f, v2
	v_cmp_ne_u32_e32 vcc, s71, v5
	v_mov_b32_e32 v4, 0x7f800001
	s_and_saveexec_b64 s[60:61], vcc
	s_cbranch_execz .LBB6_4637
; %bb.4636:                             ;   in Loop: Header=BB6_4252 Depth=2
	v_and_b32_e32 v4, 7, v2
	v_ffbh_u32_e32 v6, v4
	v_min_u32_e32 v9, 32, v6
	v_subrev_u32_e32 v6, 28, v9
	v_lshlrev_b64 v[6:7], v6, v[2:3]
	v_lshrrev_b32_e32 v8, 3, v5
	v_sub_u32_e32 v2, 29, v9
	v_and_b32_e32 v6, 7, v6
	v_cmp_gt_u32_e32 vcc, 8, v5
	v_cndmask_b32_e32 v2, v8, v2, vcc
	v_cndmask_b32_e32 v4, v4, v6, vcc
	v_lshlrev_b32_e32 v5, 16, v12
	v_lshlrev_b32_e32 v4, 20, v4
	v_and_b32_e32 v5, 0x80000000, v5
	v_lshl_add_u32 v2, v2, 23, v61
	v_or3_b32 v4, v5, v2, v4
.LBB6_4637:                             ;   in Loop: Header=BB6_4252 Depth=2
	s_or_b64 exec, exec, s[60:61]
.LBB6_4638:                             ;   in Loop: Header=BB6_4252 Depth=2
	s_or_b64 exec, exec, s[58:59]
.LBB6_4639:                             ;   in Loop: Header=BB6_4252 Depth=2
	s_or_b64 exec, exec, s[20:21]
	v_max_f32_e32 v2, v4, v4
	v_max_f32_e32 v3, v3, v3
	v_min_f32_e32 v3, v3, v2
.LBB6_4640:                             ;   in Loop: Header=BB6_4252 Depth=2
	v_and_b32_sdwa v4, v3, s69 dst_sel:DWORD dst_unused:UNUSED_PAD src0_sel:BYTE_3 src1_sel:DWORD
	v_and_b32_e32 v6, 0x7f800000, v3
	v_mov_b32_e32 v7, v53
	v_and_b32_e32 v52, 0x7fffff, v3
	v_or_b32_e32 v48, 0x7e, v4
	v_cmp_ne_u64_e32 vcc, s[40:41], v[6:7]
	s_and_saveexec_b64 s[20:21], vcc
	s_xor_b64 s[58:59], exec, s[20:21]
	s_cbranch_execz .LBB6_4650
; %bb.4641:                             ;   in Loop: Header=BB6_4252 Depth=2
	v_and_b32_e32 v6, 0x7fffffff, v3
	v_mov_b32_e32 v7, v53
	v_cmp_gt_u64_e32 vcc, s[42:43], v[6:7]
	s_and_saveexec_b64 s[60:61], vcc
	s_cbranch_execz .LBB6_4649
; %bb.4642:                             ;   in Loop: Header=BB6_4252 Depth=2
	v_cmp_ne_u32_e32 vcc, 0, v3
	v_mov_b32_e32 v48, 0
	s_and_saveexec_b64 s[62:63], vcc
	s_cbranch_execz .LBB6_4648
; %bb.4643:                             ;   in Loop: Header=BB6_4252 Depth=2
	v_bfe_u32 v2, v3, 23, 8
	v_sub_u32_e32 v5, 0x79, v2
	v_cmp_gt_u32_e32 vcc, s73, v2
	v_cndmask_b32_e32 v5, 0, v5, vcc
	v_cmp_eq_u32_e32 vcc, 0, v2
	v_or_b32_e32 v6, 0x800000, v52
	v_cndmask_b32_e32 v5, v5, v32, vcc
	v_add_u32_e32 v3, 0xffffff81, v2
	v_cndmask_b32_e32 v52, v6, v52, vcc
	v_add_u32_e32 v2, 20, v5
	v_cndmask_b32_e32 v10, v3, v33, vcc
	v_lshlrev_b64 v[2:3], v2, -1
	v_lshrrev_b64 v[8:9], v5, v[52:53]
	v_not_b32_e32 v3, v3
	v_not_b32_e32 v2, v2
	v_add_u32_e32 v6, 19, v5
	v_lshrrev_b32_e32 v11, 23, v8
	v_and_b32_e32 v3, 0, v3
	v_and_b32_e32 v2, v52, v2
	v_lshlrev_b64 v[6:7], v6, 1
	v_add3_u32 v11, v5, v10, v11
	v_bfe_u32 v5, v8, 20, 1
	v_add_u32_e32 v5, -1, v5
	v_cmp_eq_u64_e32 vcc, v[2:3], v[6:7]
	v_cndmask_b32_e32 v2, 0, v5, vcc
	v_add_u32_e32 v2, v2, v8
	v_and_b32_e32 v2, 0xfffff, v2
	v_add_co_u32_e32 v2, vcc, v2, v8
	v_add_u32_e32 v10, 6, v11
	v_addc_co_u32_e32 v3, vcc, 0, v9, vcc
	v_cmp_ne_u32_e32 vcc, 0, v10
                                        ; implicit-def: $vgpr5
	s_and_saveexec_b64 s[20:21], vcc
	s_xor_b64 s[20:21], exec, s[20:21]
; %bb.4644:                             ;   in Loop: Header=BB6_4252 Depth=2
	v_cmp_lt_u64_e32 vcc, s[46:47], v[2:3]
	v_add_u32_e32 v5, 7, v11
	v_cndmask_b32_e64 v6, 0, 1, vcc
	v_cndmask_b32_e32 v5, v10, v5, vcc
	v_lshrrev_b64 v[2:3], v6, v[2:3]
; %bb.4645:                             ;   in Loop: Header=BB6_4252 Depth=2
	s_andn2_saveexec_b64 s[20:21], s[20:21]
; %bb.4646:                             ;   in Loop: Header=BB6_4252 Depth=2
	v_bfe_u32 v5, v2, 23, 1
; %bb.4647:                             ;   in Loop: Header=BB6_4252 Depth=2
	s_or_b64 exec, exec, s[20:21]
	v_lshrrev_b64 v[2:3], 20, v[2:3]
	v_cmp_gt_i32_e32 vcc, 16, v5
	v_cndmask_b32_e32 v3, 0, v3, vcc
	v_cndmask_b32_e32 v2, 7, v2, vcc
	v_cmp_eq_u64_e64 s[20:21], 0, v[2:3]
	v_min_i32_e32 v3, 15, v5
	v_cmp_eq_u32_e32 vcc, 0, v5
	v_lshlrev_b32_e32 v3, 3, v3
	v_and_or_b32 v2, v2, 7, v3
	s_and_b64 s[20:21], vcc, s[20:21]
	v_cndmask_b32_e64 v2, v2, 0, s[20:21]
	v_or_b32_e32 v48, v2, v4
.LBB6_4648:                             ;   in Loop: Header=BB6_4252 Depth=2
	s_or_b64 exec, exec, s[62:63]
.LBB6_4649:                             ;   in Loop: Header=BB6_4252 Depth=2
	s_or_b64 exec, exec, s[60:61]
                                        ; implicit-def: $vgpr3
.LBB6_4650:                             ;   in Loop: Header=BB6_4252 Depth=2
	s_andn2_saveexec_b64 s[20:21], s[58:59]
; %bb.4651:                             ;   in Loop: Header=BB6_4252 Depth=2
	v_or_b32_sdwa v2, v3, s71 dst_sel:DWORD dst_unused:UNUSED_PAD src0_sel:BYTE_3 src1_sel:DWORD
	v_cmp_eq_u64_e32 vcc, 0, v[52:53]
	v_cndmask_b32_e32 v48, v2, v48, vcc
; %bb.4652:                             ;   in Loop: Header=BB6_4252 Depth=2
	s_or_b64 exec, exec, s[20:21]
	v_lshrrev_b32_e32 v10, 16, v16
	v_lshrrev_b32_e32 v2, 16, v12
	v_cmp_ne_u16_sdwa s[20:21], v10, v53 src0_sel:BYTE_0 src1_sel:DWORD
	s_and_b64 vcc, exec, s[56:57]
	s_cbranch_vccz .LBB6_4666
; %bb.4653:                             ;   in Loop: Header=BB6_4252 Depth=2
	v_mov_b32_e32 v4, 0
	v_mov_b32_e32 v3, 0
	s_and_saveexec_b64 s[58:59], s[20:21]
	s_cbranch_execz .LBB6_4659
; %bb.4654:                             ;   in Loop: Header=BB6_4252 Depth=2
	v_cmp_ne_u16_sdwa vcc, v10, s69 src0_sel:BYTE_0 src1_sel:DWORD
	v_bfrev_b32_e32 v3, 1
	s_and_saveexec_b64 s[60:61], vcc
	s_cbranch_execz .LBB6_4658
; %bb.4655:                             ;   in Loop: Header=BB6_4252 Depth=2
	v_bfe_u32 v5, v16, 16, 7
	v_cmp_ne_u32_e32 vcc, s71, v5
	v_mov_b32_e32 v3, 0x7f800001
	s_and_saveexec_b64 s[62:63], vcc
	s_cbranch_execz .LBB6_4657
; %bb.4656:                             ;   in Loop: Header=BB6_4252 Depth=2
	v_and_b32_e32 v3, 7, v10
	v_ffbh_u32_e32 v6, v3
	v_min_u32_e32 v9, 32, v6
	v_subrev_u32_e32 v6, 28, v9
	v_lshlrev_b64 v[6:7], v6, v[10:11]
	v_lshrrev_b32_e32 v8, 3, v5
	v_sub_u32_e32 v7, 29, v9
	v_and_b32_e32 v6, 7, v6
	v_cmp_gt_u32_e32 vcc, 8, v5
	v_cndmask_b32_e32 v5, v8, v7, vcc
	v_cndmask_b32_e32 v3, v3, v6, vcc
	v_lshlrev_b32_e32 v6, 24, v10
	v_lshlrev_b32_e32 v3, 20, v3
	v_and_b32_e32 v6, 0x80000000, v6
	v_lshl_add_u32 v5, v5, 23, v61
	v_or3_b32 v3, v6, v5, v3
.LBB6_4657:                             ;   in Loop: Header=BB6_4252 Depth=2
	s_or_b64 exec, exec, s[62:63]
.LBB6_4658:                             ;   in Loop: Header=BB6_4252 Depth=2
	s_or_b64 exec, exec, s[60:61]
.LBB6_4659:                             ;   in Loop: Header=BB6_4252 Depth=2
	s_or_b64 exec, exec, s[58:59]
	v_cmp_ne_u16_sdwa vcc, v2, v53 src0_sel:BYTE_0 src1_sel:DWORD
	s_and_saveexec_b64 s[58:59], vcc
	s_cbranch_execz .LBB6_4665
; %bb.4660:                             ;   in Loop: Header=BB6_4252 Depth=2
	v_cmp_ne_u16_sdwa vcc, v2, s69 src0_sel:BYTE_0 src1_sel:DWORD
	v_bfrev_b32_e32 v4, 1
	s_and_saveexec_b64 s[60:61], vcc
	s_cbranch_execz .LBB6_4664
; %bb.4661:                             ;   in Loop: Header=BB6_4252 Depth=2
	v_bfe_u32 v5, v12, 16, 7
	v_cmp_ne_u32_e32 vcc, s71, v5
	v_mov_b32_e32 v4, 0x7f800001
	s_and_saveexec_b64 s[62:63], vcc
	s_cbranch_execz .LBB6_4663
; %bb.4662:                             ;   in Loop: Header=BB6_4252 Depth=2
	v_and_b32_e32 v4, 7, v2
	v_ffbh_u32_e32 v6, v4
	v_min_u32_e32 v9, 32, v6
	v_subrev_u32_e32 v6, 28, v9
	v_lshlrev_b64 v[6:7], v6, v[2:3]
	v_lshrrev_b32_e32 v8, 3, v5
	v_sub_u32_e32 v7, 29, v9
	v_and_b32_e32 v6, 7, v6
	v_cmp_gt_u32_e32 vcc, 8, v5
	v_cndmask_b32_e32 v5, v8, v7, vcc
	v_cndmask_b32_e32 v4, v4, v6, vcc
	v_lshlrev_b32_e32 v6, 24, v2
	v_lshlrev_b32_e32 v4, 20, v4
	v_and_b32_e32 v6, 0x80000000, v6
	v_lshl_add_u32 v5, v5, 23, v61
	v_or3_b32 v4, v6, v5, v4
.LBB6_4663:                             ;   in Loop: Header=BB6_4252 Depth=2
	s_or_b64 exec, exec, s[62:63]
.LBB6_4664:                             ;   in Loop: Header=BB6_4252 Depth=2
	s_or_b64 exec, exec, s[60:61]
.LBB6_4665:                             ;   in Loop: Header=BB6_4252 Depth=2
	s_or_b64 exec, exec, s[58:59]
	v_max_f32_e32 v4, v4, v4
	v_max_f32_e32 v3, v3, v3
	;; [unrolled: 1-line block ×3, first 2 shown]
	s_branch .LBB6_4680
.LBB6_4666:                             ;   in Loop: Header=BB6_4252 Depth=2
                                        ; implicit-def: $vgpr3
	s_cbranch_execz .LBB6_4680
; %bb.4667:                             ;   in Loop: Header=BB6_4252 Depth=2
	v_mov_b32_e32 v4, 0
	v_mov_b32_e32 v3, 0
	s_and_saveexec_b64 s[58:59], s[20:21]
	s_cbranch_execz .LBB6_4673
; %bb.4668:                             ;   in Loop: Header=BB6_4252 Depth=2
	v_cmp_ne_u16_sdwa vcc, v10, s69 src0_sel:BYTE_0 src1_sel:DWORD
	v_bfrev_b32_e32 v3, 1
	s_and_saveexec_b64 s[20:21], vcc
	s_cbranch_execz .LBB6_4672
; %bb.4669:                             ;   in Loop: Header=BB6_4252 Depth=2
	v_bfe_u32 v5, v16, 16, 7
	v_cmp_ne_u32_e32 vcc, s71, v5
	v_mov_b32_e32 v3, 0x7f800001
	s_and_saveexec_b64 s[60:61], vcc
	s_cbranch_execz .LBB6_4671
; %bb.4670:                             ;   in Loop: Header=BB6_4252 Depth=2
	v_and_b32_e32 v3, 7, v10
	v_ffbh_u32_e32 v6, v3
	v_min_u32_e32 v9, 32, v6
	v_subrev_u32_e32 v6, 28, v9
	v_lshlrev_b64 v[6:7], v6, v[10:11]
	v_lshrrev_b32_e32 v8, 3, v5
	v_sub_u32_e32 v7, 29, v9
	v_and_b32_e32 v6, 7, v6
	v_cmp_gt_u32_e32 vcc, 8, v5
	v_cndmask_b32_e32 v5, v8, v7, vcc
	v_cndmask_b32_e32 v3, v3, v6, vcc
	v_lshlrev_b32_e32 v6, 24, v10
	v_lshlrev_b32_e32 v3, 20, v3
	v_and_b32_e32 v6, 0x80000000, v6
	v_lshl_add_u32 v5, v5, 23, v61
	v_or3_b32 v3, v6, v5, v3
.LBB6_4671:                             ;   in Loop: Header=BB6_4252 Depth=2
	s_or_b64 exec, exec, s[60:61]
.LBB6_4672:                             ;   in Loop: Header=BB6_4252 Depth=2
	s_or_b64 exec, exec, s[20:21]
.LBB6_4673:                             ;   in Loop: Header=BB6_4252 Depth=2
	s_or_b64 exec, exec, s[58:59]
	v_cmp_ne_u16_sdwa vcc, v2, v53 src0_sel:BYTE_0 src1_sel:DWORD
	s_and_saveexec_b64 s[20:21], vcc
	s_cbranch_execz .LBB6_4679
; %bb.4674:                             ;   in Loop: Header=BB6_4252 Depth=2
	v_cmp_ne_u16_sdwa vcc, v2, s69 src0_sel:BYTE_0 src1_sel:DWORD
	v_bfrev_b32_e32 v4, 1
	s_and_saveexec_b64 s[58:59], vcc
	s_cbranch_execz .LBB6_4678
; %bb.4675:                             ;   in Loop: Header=BB6_4252 Depth=2
	v_bfe_u32 v5, v12, 16, 7
	v_cmp_ne_u32_e32 vcc, s71, v5
	v_mov_b32_e32 v4, 0x7f800001
	s_and_saveexec_b64 s[60:61], vcc
	s_cbranch_execz .LBB6_4677
; %bb.4676:                             ;   in Loop: Header=BB6_4252 Depth=2
	v_and_b32_e32 v4, 7, v2
	v_ffbh_u32_e32 v6, v4
	v_min_u32_e32 v9, 32, v6
	v_subrev_u32_e32 v6, 28, v9
	v_lshlrev_b64 v[6:7], v6, v[2:3]
	v_lshrrev_b32_e32 v8, 3, v5
	v_sub_u32_e32 v7, 29, v9
	v_and_b32_e32 v6, 7, v6
	v_cmp_gt_u32_e32 vcc, 8, v5
	v_cndmask_b32_e32 v5, v8, v7, vcc
	v_cndmask_b32_e32 v4, v4, v6, vcc
	v_lshlrev_b32_e32 v2, 24, v2
	v_lshlrev_b32_e32 v4, 20, v4
	v_and_b32_e32 v2, 0x80000000, v2
	v_lshl_add_u32 v5, v5, 23, v61
	v_or3_b32 v4, v2, v5, v4
.LBB6_4677:                             ;   in Loop: Header=BB6_4252 Depth=2
	s_or_b64 exec, exec, s[60:61]
.LBB6_4678:                             ;   in Loop: Header=BB6_4252 Depth=2
	s_or_b64 exec, exec, s[58:59]
.LBB6_4679:                             ;   in Loop: Header=BB6_4252 Depth=2
	s_or_b64 exec, exec, s[20:21]
	v_max_f32_e32 v2, v4, v4
	v_max_f32_e32 v3, v3, v3
	v_min_f32_e32 v3, v3, v2
.LBB6_4680:                             ;   in Loop: Header=BB6_4252 Depth=2
	v_and_b32_sdwa v4, v3, s69 dst_sel:DWORD dst_unused:UNUSED_PAD src0_sel:BYTE_3 src1_sel:DWORD
	v_and_b32_e32 v6, 0x7f800000, v3
	v_mov_b32_e32 v7, v53
	v_and_b32_e32 v52, 0x7fffff, v3
	v_or_b32_e32 v49, 0x7e, v4
	v_cmp_ne_u64_e32 vcc, s[40:41], v[6:7]
	s_and_saveexec_b64 s[20:21], vcc
	s_xor_b64 s[58:59], exec, s[20:21]
	s_cbranch_execz .LBB6_4690
; %bb.4681:                             ;   in Loop: Header=BB6_4252 Depth=2
	v_and_b32_e32 v6, 0x7fffffff, v3
	v_mov_b32_e32 v7, v53
	v_cmp_gt_u64_e32 vcc, s[42:43], v[6:7]
	s_and_saveexec_b64 s[60:61], vcc
	s_cbranch_execz .LBB6_4689
; %bb.4682:                             ;   in Loop: Header=BB6_4252 Depth=2
	v_cmp_ne_u32_e32 vcc, 0, v3
	v_mov_b32_e32 v49, 0
	s_and_saveexec_b64 s[62:63], vcc
	s_cbranch_execz .LBB6_4688
; %bb.4683:                             ;   in Loop: Header=BB6_4252 Depth=2
	v_bfe_u32 v2, v3, 23, 8
	v_sub_u32_e32 v5, 0x79, v2
	v_cmp_gt_u32_e32 vcc, s73, v2
	v_cndmask_b32_e32 v5, 0, v5, vcc
	v_cmp_eq_u32_e32 vcc, 0, v2
	v_or_b32_e32 v6, 0x800000, v52
	v_cndmask_b32_e32 v5, v5, v32, vcc
	v_add_u32_e32 v3, 0xffffff81, v2
	v_cndmask_b32_e32 v52, v6, v52, vcc
	v_add_u32_e32 v2, 20, v5
	v_cndmask_b32_e32 v10, v3, v33, vcc
	v_lshlrev_b64 v[2:3], v2, -1
	v_lshrrev_b64 v[8:9], v5, v[52:53]
	v_not_b32_e32 v3, v3
	v_not_b32_e32 v2, v2
	v_add_u32_e32 v6, 19, v5
	v_lshrrev_b32_e32 v11, 23, v8
	v_and_b32_e32 v3, 0, v3
	v_and_b32_e32 v2, v52, v2
	v_lshlrev_b64 v[6:7], v6, 1
	v_add3_u32 v11, v5, v10, v11
	v_bfe_u32 v5, v8, 20, 1
	v_add_u32_e32 v5, -1, v5
	v_cmp_eq_u64_e32 vcc, v[2:3], v[6:7]
	v_cndmask_b32_e32 v2, 0, v5, vcc
	v_add_u32_e32 v2, v2, v8
	v_and_b32_e32 v2, 0xfffff, v2
	v_add_co_u32_e32 v2, vcc, v2, v8
	v_add_u32_e32 v10, 6, v11
	v_addc_co_u32_e32 v3, vcc, 0, v9, vcc
	v_cmp_ne_u32_e32 vcc, 0, v10
                                        ; implicit-def: $vgpr5
	s_and_saveexec_b64 s[20:21], vcc
	s_xor_b64 s[20:21], exec, s[20:21]
; %bb.4684:                             ;   in Loop: Header=BB6_4252 Depth=2
	v_cmp_lt_u64_e32 vcc, s[46:47], v[2:3]
	v_add_u32_e32 v5, 7, v11
	v_cndmask_b32_e64 v6, 0, 1, vcc
	v_cndmask_b32_e32 v5, v10, v5, vcc
	v_lshrrev_b64 v[2:3], v6, v[2:3]
; %bb.4685:                             ;   in Loop: Header=BB6_4252 Depth=2
	s_andn2_saveexec_b64 s[20:21], s[20:21]
; %bb.4686:                             ;   in Loop: Header=BB6_4252 Depth=2
	v_bfe_u32 v5, v2, 23, 1
; %bb.4687:                             ;   in Loop: Header=BB6_4252 Depth=2
	s_or_b64 exec, exec, s[20:21]
	v_lshrrev_b64 v[2:3], 20, v[2:3]
	v_cmp_gt_i32_e32 vcc, 16, v5
	v_cndmask_b32_e32 v3, 0, v3, vcc
	v_cndmask_b32_e32 v2, 7, v2, vcc
	v_cmp_eq_u64_e64 s[20:21], 0, v[2:3]
	v_min_i32_e32 v3, 15, v5
	v_cmp_eq_u32_e32 vcc, 0, v5
	v_lshlrev_b32_e32 v3, 3, v3
	v_and_or_b32 v2, v2, 7, v3
	s_and_b64 s[20:21], vcc, s[20:21]
	v_cndmask_b32_e64 v2, v2, 0, s[20:21]
	v_or_b32_e32 v49, v2, v4
.LBB6_4688:                             ;   in Loop: Header=BB6_4252 Depth=2
	s_or_b64 exec, exec, s[62:63]
.LBB6_4689:                             ;   in Loop: Header=BB6_4252 Depth=2
	s_or_b64 exec, exec, s[60:61]
                                        ; implicit-def: $vgpr3
.LBB6_4690:                             ;   in Loop: Header=BB6_4252 Depth=2
	s_andn2_saveexec_b64 s[20:21], s[58:59]
; %bb.4691:                             ;   in Loop: Header=BB6_4252 Depth=2
	v_or_b32_sdwa v2, v3, s71 dst_sel:DWORD dst_unused:UNUSED_PAD src0_sel:BYTE_3 src1_sel:DWORD
	v_cmp_eq_u64_e32 vcc, 0, v[52:53]
	v_cndmask_b32_e32 v49, v2, v49, vcc
; %bb.4692:                             ;   in Loop: Header=BB6_4252 Depth=2
	s_or_b64 exec, exec, s[20:21]
	v_lshrrev_b32_e32 v10, 24, v16
	v_lshrrev_b32_e32 v2, 24, v12
	v_cmp_lt_u32_e64 s[20:21], s45, v16
	s_and_b64 vcc, exec, s[56:57]
	s_cbranch_vccz .LBB6_4706
; %bb.4693:                             ;   in Loop: Header=BB6_4252 Depth=2
	v_mov_b32_e32 v4, 0
	v_mov_b32_e32 v3, 0
	s_and_saveexec_b64 s[58:59], s[20:21]
	s_cbranch_execz .LBB6_4699
; %bb.4694:                             ;   in Loop: Header=BB6_4252 Depth=2
	v_cmp_ne_u32_e32 vcc, s69, v10
	v_bfrev_b32_e32 v3, 1
	s_and_saveexec_b64 s[60:61], vcc
	s_cbranch_execz .LBB6_4698
; %bb.4695:                             ;   in Loop: Header=BB6_4252 Depth=2
	v_bfe_u32 v5, v16, 24, 7
	v_cmp_ne_u32_e32 vcc, s71, v5
	v_mov_b32_e32 v3, 0x7f800001
	s_and_saveexec_b64 s[62:63], vcc
	s_cbranch_execz .LBB6_4697
; %bb.4696:                             ;   in Loop: Header=BB6_4252 Depth=2
	v_and_b32_e32 v3, 7, v10
	v_ffbh_u32_e32 v6, v3
	v_min_u32_e32 v9, 32, v6
	v_subrev_u32_e32 v6, 28, v9
	v_lshlrev_b64 v[6:7], v6, v[10:11]
	v_lshrrev_b32_e32 v8, 3, v5
	v_sub_u32_e32 v7, 29, v9
	v_and_b32_e32 v6, 7, v6
	v_cmp_gt_u32_e32 vcc, 8, v5
	v_cndmask_b32_e32 v5, v8, v7, vcc
	v_cndmask_b32_e32 v3, v3, v6, vcc
	v_lshlrev_b32_e32 v6, 24, v10
	v_lshlrev_b32_e32 v3, 20, v3
	v_and_b32_e32 v6, 0x80000000, v6
	v_lshl_add_u32 v5, v5, 23, v61
	v_or3_b32 v3, v6, v5, v3
.LBB6_4697:                             ;   in Loop: Header=BB6_4252 Depth=2
	s_or_b64 exec, exec, s[62:63]
.LBB6_4698:                             ;   in Loop: Header=BB6_4252 Depth=2
	s_or_b64 exec, exec, s[60:61]
.LBB6_4699:                             ;   in Loop: Header=BB6_4252 Depth=2
	s_or_b64 exec, exec, s[58:59]
	v_cmp_lt_u32_e32 vcc, s45, v12
	s_and_saveexec_b64 s[58:59], vcc
	s_cbranch_execz .LBB6_4705
; %bb.4700:                             ;   in Loop: Header=BB6_4252 Depth=2
	v_cmp_ne_u32_e32 vcc, s69, v2
	v_bfrev_b32_e32 v4, 1
	s_and_saveexec_b64 s[60:61], vcc
	s_cbranch_execz .LBB6_4704
; %bb.4701:                             ;   in Loop: Header=BB6_4252 Depth=2
	v_bfe_u32 v5, v12, 24, 7
	v_cmp_ne_u32_e32 vcc, s71, v5
	v_mov_b32_e32 v4, 0x7f800001
	s_and_saveexec_b64 s[62:63], vcc
	s_cbranch_execz .LBB6_4703
; %bb.4702:                             ;   in Loop: Header=BB6_4252 Depth=2
	v_and_b32_e32 v4, 7, v2
	v_ffbh_u32_e32 v6, v4
	v_min_u32_e32 v9, 32, v6
	v_subrev_u32_e32 v6, 28, v9
	v_lshlrev_b64 v[6:7], v6, v[2:3]
	v_lshrrev_b32_e32 v8, 3, v5
	v_sub_u32_e32 v7, 29, v9
	v_and_b32_e32 v6, 7, v6
	v_cmp_gt_u32_e32 vcc, 8, v5
	v_cndmask_b32_e32 v5, v8, v7, vcc
	v_cndmask_b32_e32 v4, v4, v6, vcc
	v_lshlrev_b32_e32 v6, 24, v2
	v_lshlrev_b32_e32 v4, 20, v4
	v_and_b32_e32 v6, 0x80000000, v6
	v_lshl_add_u32 v5, v5, 23, v61
	v_or3_b32 v4, v6, v5, v4
.LBB6_4703:                             ;   in Loop: Header=BB6_4252 Depth=2
	s_or_b64 exec, exec, s[62:63]
.LBB6_4704:                             ;   in Loop: Header=BB6_4252 Depth=2
	s_or_b64 exec, exec, s[60:61]
.LBB6_4705:                             ;   in Loop: Header=BB6_4252 Depth=2
	s_or_b64 exec, exec, s[58:59]
	v_max_f32_e32 v4, v4, v4
	v_max_f32_e32 v3, v3, v3
	;; [unrolled: 1-line block ×3, first 2 shown]
	s_branch .LBB6_4720
.LBB6_4706:                             ;   in Loop: Header=BB6_4252 Depth=2
                                        ; implicit-def: $vgpr3
	s_cbranch_execz .LBB6_4720
; %bb.4707:                             ;   in Loop: Header=BB6_4252 Depth=2
	v_mov_b32_e32 v4, 0
	v_mov_b32_e32 v3, 0
	s_and_saveexec_b64 s[58:59], s[20:21]
	s_cbranch_execz .LBB6_4713
; %bb.4708:                             ;   in Loop: Header=BB6_4252 Depth=2
	v_cmp_ne_u32_e32 vcc, s69, v10
	v_bfrev_b32_e32 v3, 1
	s_and_saveexec_b64 s[20:21], vcc
	s_cbranch_execz .LBB6_4712
; %bb.4709:                             ;   in Loop: Header=BB6_4252 Depth=2
	v_bfe_u32 v5, v16, 24, 7
	v_cmp_ne_u32_e32 vcc, s71, v5
	v_mov_b32_e32 v3, 0x7f800001
	s_and_saveexec_b64 s[60:61], vcc
	s_cbranch_execz .LBB6_4711
; %bb.4710:                             ;   in Loop: Header=BB6_4252 Depth=2
	v_and_b32_e32 v3, 7, v10
	v_ffbh_u32_e32 v6, v3
	v_min_u32_e32 v9, 32, v6
	v_subrev_u32_e32 v6, 28, v9
	v_lshlrev_b64 v[6:7], v6, v[10:11]
	v_lshrrev_b32_e32 v8, 3, v5
	v_sub_u32_e32 v7, 29, v9
	v_and_b32_e32 v6, 7, v6
	v_cmp_gt_u32_e32 vcc, 8, v5
	v_cndmask_b32_e32 v5, v8, v7, vcc
	v_cndmask_b32_e32 v3, v3, v6, vcc
	v_lshlrev_b32_e32 v6, 24, v10
	v_lshlrev_b32_e32 v3, 20, v3
	v_and_b32_e32 v6, 0x80000000, v6
	v_lshl_add_u32 v5, v5, 23, v61
	v_or3_b32 v3, v6, v5, v3
.LBB6_4711:                             ;   in Loop: Header=BB6_4252 Depth=2
	s_or_b64 exec, exec, s[60:61]
.LBB6_4712:                             ;   in Loop: Header=BB6_4252 Depth=2
	s_or_b64 exec, exec, s[20:21]
.LBB6_4713:                             ;   in Loop: Header=BB6_4252 Depth=2
	s_or_b64 exec, exec, s[58:59]
	v_cmp_lt_u32_e32 vcc, s45, v12
	s_and_saveexec_b64 s[20:21], vcc
	s_cbranch_execz .LBB6_4719
; %bb.4714:                             ;   in Loop: Header=BB6_4252 Depth=2
	v_cmp_ne_u32_e32 vcc, s69, v2
	v_bfrev_b32_e32 v4, 1
	s_and_saveexec_b64 s[58:59], vcc
	s_cbranch_execz .LBB6_4718
; %bb.4715:                             ;   in Loop: Header=BB6_4252 Depth=2
	v_bfe_u32 v5, v12, 24, 7
	v_cmp_ne_u32_e32 vcc, s71, v5
	v_mov_b32_e32 v4, 0x7f800001
	s_and_saveexec_b64 s[60:61], vcc
	s_cbranch_execz .LBB6_4717
; %bb.4716:                             ;   in Loop: Header=BB6_4252 Depth=2
	v_and_b32_e32 v4, 7, v2
	v_ffbh_u32_e32 v6, v4
	v_min_u32_e32 v9, 32, v6
	v_subrev_u32_e32 v6, 28, v9
	v_lshlrev_b64 v[6:7], v6, v[2:3]
	v_lshrrev_b32_e32 v8, 3, v5
	v_sub_u32_e32 v7, 29, v9
	v_and_b32_e32 v6, 7, v6
	v_cmp_gt_u32_e32 vcc, 8, v5
	v_cndmask_b32_e32 v5, v8, v7, vcc
	v_cndmask_b32_e32 v4, v4, v6, vcc
	v_lshlrev_b32_e32 v2, 24, v2
	v_lshlrev_b32_e32 v4, 20, v4
	v_and_b32_e32 v2, 0x80000000, v2
	v_lshl_add_u32 v5, v5, 23, v61
	v_or3_b32 v4, v2, v5, v4
.LBB6_4717:                             ;   in Loop: Header=BB6_4252 Depth=2
	s_or_b64 exec, exec, s[60:61]
.LBB6_4718:                             ;   in Loop: Header=BB6_4252 Depth=2
	s_or_b64 exec, exec, s[58:59]
.LBB6_4719:                             ;   in Loop: Header=BB6_4252 Depth=2
	s_or_b64 exec, exec, s[20:21]
	v_max_f32_e32 v2, v4, v4
	v_max_f32_e32 v3, v3, v3
	v_min_f32_e32 v3, v3, v2
.LBB6_4720:                             ;   in Loop: Header=BB6_4252 Depth=2
	v_and_b32_sdwa v5, v3, s69 dst_sel:DWORD dst_unused:UNUSED_PAD src0_sel:BYTE_3 src1_sel:DWORD
	v_and_b32_e32 v6, 0x7f800000, v3
	v_mov_b32_e32 v7, v53
	v_and_b32_e32 v52, 0x7fffff, v3
	v_or_b32_e32 v4, 0x7e, v5
	v_cmp_ne_u64_e32 vcc, s[40:41], v[6:7]
	s_and_saveexec_b64 s[20:21], vcc
	s_xor_b64 s[58:59], exec, s[20:21]
	s_cbranch_execz .LBB6_4730
; %bb.4721:                             ;   in Loop: Header=BB6_4252 Depth=2
	v_and_b32_e32 v6, 0x7fffffff, v3
	v_mov_b32_e32 v7, v53
	v_cmp_gt_u64_e32 vcc, s[42:43], v[6:7]
	s_and_saveexec_b64 s[60:61], vcc
	s_cbranch_execz .LBB6_4729
; %bb.4722:                             ;   in Loop: Header=BB6_4252 Depth=2
	v_cmp_ne_u32_e32 vcc, 0, v3
	v_mov_b32_e32 v4, 0
	s_and_saveexec_b64 s[62:63], vcc
	s_cbranch_execz .LBB6_4728
; %bb.4723:                             ;   in Loop: Header=BB6_4252 Depth=2
	v_bfe_u32 v2, v3, 23, 8
	v_sub_u32_e32 v4, 0x79, v2
	v_cmp_gt_u32_e32 vcc, s73, v2
	v_cndmask_b32_e32 v4, 0, v4, vcc
	v_cmp_eq_u32_e32 vcc, 0, v2
	v_or_b32_e32 v6, 0x800000, v52
	v_cndmask_b32_e32 v4, v4, v32, vcc
	v_add_u32_e32 v3, 0xffffff81, v2
	v_cndmask_b32_e32 v52, v6, v52, vcc
	v_add_u32_e32 v2, 20, v4
	v_cndmask_b32_e32 v10, v3, v33, vcc
	v_lshlrev_b64 v[2:3], v2, -1
	v_lshrrev_b64 v[8:9], v4, v[52:53]
	v_not_b32_e32 v3, v3
	v_not_b32_e32 v2, v2
	v_add_u32_e32 v6, 19, v4
	v_lshrrev_b32_e32 v11, 23, v8
	v_and_b32_e32 v3, 0, v3
	v_and_b32_e32 v2, v52, v2
	v_lshlrev_b64 v[6:7], v6, 1
	v_add3_u32 v11, v4, v10, v11
	v_bfe_u32 v4, v8, 20, 1
	v_add_u32_e32 v4, -1, v4
	v_cmp_eq_u64_e32 vcc, v[2:3], v[6:7]
	v_cndmask_b32_e32 v2, 0, v4, vcc
	v_add_u32_e32 v2, v2, v8
	v_and_b32_e32 v2, 0xfffff, v2
	v_add_co_u32_e32 v2, vcc, v2, v8
	v_add_u32_e32 v10, 6, v11
	v_addc_co_u32_e32 v3, vcc, 0, v9, vcc
	v_cmp_ne_u32_e32 vcc, 0, v10
                                        ; implicit-def: $vgpr4
	s_and_saveexec_b64 s[20:21], vcc
	s_xor_b64 s[20:21], exec, s[20:21]
; %bb.4724:                             ;   in Loop: Header=BB6_4252 Depth=2
	v_cmp_lt_u64_e32 vcc, s[46:47], v[2:3]
	v_add_u32_e32 v4, 7, v11
	v_cndmask_b32_e64 v6, 0, 1, vcc
	v_cndmask_b32_e32 v4, v10, v4, vcc
	v_lshrrev_b64 v[2:3], v6, v[2:3]
; %bb.4725:                             ;   in Loop: Header=BB6_4252 Depth=2
	s_andn2_saveexec_b64 s[20:21], s[20:21]
; %bb.4726:                             ;   in Loop: Header=BB6_4252 Depth=2
	v_bfe_u32 v4, v2, 23, 1
; %bb.4727:                             ;   in Loop: Header=BB6_4252 Depth=2
	s_or_b64 exec, exec, s[20:21]
	v_lshrrev_b64 v[2:3], 20, v[2:3]
	v_cmp_gt_i32_e32 vcc, 16, v4
	v_cndmask_b32_e32 v3, 0, v3, vcc
	v_cndmask_b32_e32 v2, 7, v2, vcc
	v_cmp_eq_u64_e64 s[20:21], 0, v[2:3]
	v_min_i32_e32 v3, 15, v4
	v_cmp_eq_u32_e32 vcc, 0, v4
	v_lshlrev_b32_e32 v3, 3, v3
	v_and_or_b32 v2, v2, 7, v3
	s_and_b64 s[20:21], vcc, s[20:21]
	v_cndmask_b32_e64 v2, v2, 0, s[20:21]
	v_or_b32_e32 v4, v2, v5
.LBB6_4728:                             ;   in Loop: Header=BB6_4252 Depth=2
	s_or_b64 exec, exec, s[62:63]
.LBB6_4729:                             ;   in Loop: Header=BB6_4252 Depth=2
	s_or_b64 exec, exec, s[60:61]
                                        ; implicit-def: $vgpr3
.LBB6_4730:                             ;   in Loop: Header=BB6_4252 Depth=2
	s_andn2_saveexec_b64 s[20:21], s[58:59]
; %bb.4731:                             ;   in Loop: Header=BB6_4252 Depth=2
	v_or_b32_sdwa v2, v3, s71 dst_sel:DWORD dst_unused:UNUSED_PAD src0_sel:BYTE_3 src1_sel:DWORD
	v_cmp_eq_u64_e32 vcc, 0, v[52:53]
	v_cndmask_b32_e32 v4, v2, v4, vcc
; %bb.4732:                             ;   in Loop: Header=BB6_4252 Depth=2
	s_or_b64 exec, exec, s[20:21]
	v_mov_b32_e32 v52, v17
	v_mov_b32_e32 v2, v13
	;; [unrolled: 1-line block ×3, first 2 shown]
	v_cmp_ne_u16_sdwa s[20:21], v17, v53 src0_sel:BYTE_0 src1_sel:DWORD
	s_and_b64 vcc, exec, s[56:57]
	s_cbranch_vccz .LBB6_4746
; %bb.4733:                             ;   in Loop: Header=BB6_4252 Depth=2
	v_mov_b32_e32 v10, 0
	v_mov_b32_e32 v5, 0
	s_and_saveexec_b64 s[58:59], s[20:21]
	s_cbranch_execz .LBB6_4739
; %bb.4734:                             ;   in Loop: Header=BB6_4252 Depth=2
	v_cmp_ne_u16_sdwa vcc, v17, s69 src0_sel:BYTE_0 src1_sel:DWORD
	v_bfrev_b32_e32 v5, 1
	s_and_saveexec_b64 s[60:61], vcc
	s_cbranch_execz .LBB6_4738
; %bb.4735:                             ;   in Loop: Header=BB6_4252 Depth=2
	v_and_b32_e32 v11, 0x7f, v17
	v_cmp_ne_u32_e32 vcc, s71, v11
	v_mov_b32_e32 v5, 0x7f800001
	s_and_saveexec_b64 s[62:63], vcc
	s_cbranch_execz .LBB6_4737
; %bb.4736:                             ;   in Loop: Header=BB6_4252 Depth=2
	v_and_b32_e32 v5, 7, v17
	v_ffbh_u32_e32 v5, v5
	v_min_u32_e32 v5, 32, v5
	v_lshrrev_b32_e32 v6, 3, v11
	v_subrev_u32_e32 v7, 28, v5
	v_sub_u32_e32 v5, 29, v5
	v_cmp_gt_u32_e32 vcc, 8, v11
	v_cndmask_b32_e32 v5, v6, v5, vcc
	v_cndmask_b32_e32 v6, 0, v7, vcc
	v_lshlrev_b64 v[6:7], v6, v[52:53]
	v_lshlrev_b32_e32 v6, 20, v6
	v_lshlrev_b32_e32 v7, 24, v52
	v_and_b32_e32 v6, 0x700000, v6
	v_and_b32_e32 v7, 0x80000000, v7
	v_lshl_add_u32 v5, v5, 23, v61
	v_or3_b32 v5, v7, v5, v6
.LBB6_4737:                             ;   in Loop: Header=BB6_4252 Depth=2
	s_or_b64 exec, exec, s[62:63]
.LBB6_4738:                             ;   in Loop: Header=BB6_4252 Depth=2
	s_or_b64 exec, exec, s[60:61]
.LBB6_4739:                             ;   in Loop: Header=BB6_4252 Depth=2
	s_or_b64 exec, exec, s[58:59]
	v_cmp_ne_u16_sdwa vcc, v13, v53 src0_sel:BYTE_0 src1_sel:DWORD
	s_and_saveexec_b64 s[58:59], vcc
	s_cbranch_execz .LBB6_4745
; %bb.4740:                             ;   in Loop: Header=BB6_4252 Depth=2
	v_cmp_ne_u16_sdwa vcc, v13, s69 src0_sel:BYTE_0 src1_sel:DWORD
	v_bfrev_b32_e32 v10, 1
	s_and_saveexec_b64 s[60:61], vcc
	s_cbranch_execz .LBB6_4744
; %bb.4741:                             ;   in Loop: Header=BB6_4252 Depth=2
	v_and_b32_e32 v11, 0x7f, v13
	v_cmp_ne_u32_e32 vcc, s71, v11
	v_mov_b32_e32 v10, 0x7f800001
	s_and_saveexec_b64 s[62:63], vcc
	s_cbranch_execz .LBB6_4743
; %bb.4742:                             ;   in Loop: Header=BB6_4252 Depth=2
	v_and_b32_e32 v6, 7, v13
	v_ffbh_u32_e32 v6, v6
	v_min_u32_e32 v6, 32, v6
	v_lshrrev_b32_e32 v7, 3, v11
	v_subrev_u32_e32 v8, 28, v6
	v_sub_u32_e32 v6, 29, v6
	v_cmp_gt_u32_e32 vcc, 8, v11
	v_cndmask_b32_e32 v9, v7, v6, vcc
	v_cndmask_b32_e32 v6, 0, v8, vcc
	v_lshlrev_b64 v[6:7], v6, v[2:3]
	v_lshlrev_b32_e32 v6, 20, v6
	v_lshlrev_b32_e32 v7, 24, v2
	v_and_b32_e32 v6, 0x700000, v6
	v_and_b32_e32 v7, 0x80000000, v7
	v_lshl_add_u32 v8, v9, 23, v61
	v_or3_b32 v10, v7, v8, v6
.LBB6_4743:                             ;   in Loop: Header=BB6_4252 Depth=2
	s_or_b64 exec, exec, s[62:63]
.LBB6_4744:                             ;   in Loop: Header=BB6_4252 Depth=2
	s_or_b64 exec, exec, s[60:61]
.LBB6_4745:                             ;   in Loop: Header=BB6_4252 Depth=2
	s_or_b64 exec, exec, s[58:59]
	v_max_f32_e32 v6, v10, v10
	v_max_f32_e32 v5, v5, v5
	;; [unrolled: 1-line block ×3, first 2 shown]
	s_branch .LBB6_4760
.LBB6_4746:                             ;   in Loop: Header=BB6_4252 Depth=2
                                        ; implicit-def: $vgpr14
	s_cbranch_execz .LBB6_4760
; %bb.4747:                             ;   in Loop: Header=BB6_4252 Depth=2
	v_mov_b32_e32 v10, 0
	v_mov_b32_e32 v5, 0
	s_and_saveexec_b64 s[58:59], s[20:21]
	s_cbranch_execz .LBB6_4753
; %bb.4748:                             ;   in Loop: Header=BB6_4252 Depth=2
	v_cmp_ne_u16_sdwa vcc, v17, s69 src0_sel:BYTE_0 src1_sel:DWORD
	v_bfrev_b32_e32 v5, 1
	s_and_saveexec_b64 s[20:21], vcc
	s_cbranch_execz .LBB6_4752
; %bb.4749:                             ;   in Loop: Header=BB6_4252 Depth=2
	v_and_b32_e32 v11, 0x7f, v17
	v_cmp_ne_u32_e32 vcc, s71, v11
	v_mov_b32_e32 v5, 0x7f800001
	s_and_saveexec_b64 s[60:61], vcc
	s_cbranch_execz .LBB6_4751
; %bb.4750:                             ;   in Loop: Header=BB6_4252 Depth=2
	v_and_b32_e32 v5, 7, v17
	v_ffbh_u32_e32 v5, v5
	v_min_u32_e32 v5, 32, v5
	v_lshrrev_b32_e32 v6, 3, v11
	v_subrev_u32_e32 v7, 28, v5
	v_sub_u32_e32 v5, 29, v5
	v_cmp_gt_u32_e32 vcc, 8, v11
	v_cndmask_b32_e32 v5, v6, v5, vcc
	v_cndmask_b32_e32 v6, 0, v7, vcc
	v_lshlrev_b64 v[6:7], v6, v[52:53]
	v_lshlrev_b32_e32 v6, 20, v6
	v_lshlrev_b32_e32 v7, 24, v52
	v_and_b32_e32 v6, 0x700000, v6
	v_and_b32_e32 v7, 0x80000000, v7
	v_lshl_add_u32 v5, v5, 23, v61
	v_or3_b32 v5, v7, v5, v6
.LBB6_4751:                             ;   in Loop: Header=BB6_4252 Depth=2
	s_or_b64 exec, exec, s[60:61]
.LBB6_4752:                             ;   in Loop: Header=BB6_4252 Depth=2
	s_or_b64 exec, exec, s[20:21]
.LBB6_4753:                             ;   in Loop: Header=BB6_4252 Depth=2
	s_or_b64 exec, exec, s[58:59]
	v_cmp_ne_u16_sdwa vcc, v13, v53 src0_sel:BYTE_0 src1_sel:DWORD
	s_and_saveexec_b64 s[20:21], vcc
	s_cbranch_execz .LBB6_4759
; %bb.4754:                             ;   in Loop: Header=BB6_4252 Depth=2
	v_cmp_ne_u16_sdwa vcc, v13, s69 src0_sel:BYTE_0 src1_sel:DWORD
	v_bfrev_b32_e32 v10, 1
	s_and_saveexec_b64 s[58:59], vcc
	s_cbranch_execz .LBB6_4758
; %bb.4755:                             ;   in Loop: Header=BB6_4252 Depth=2
	v_and_b32_e32 v11, 0x7f, v13
	v_cmp_ne_u32_e32 vcc, s71, v11
	v_mov_b32_e32 v10, 0x7f800001
	s_and_saveexec_b64 s[60:61], vcc
	s_cbranch_execz .LBB6_4757
; %bb.4756:                             ;   in Loop: Header=BB6_4252 Depth=2
	v_and_b32_e32 v6, 7, v13
	v_ffbh_u32_e32 v6, v6
	v_min_u32_e32 v6, 32, v6
	v_lshrrev_b32_e32 v7, 3, v11
	v_subrev_u32_e32 v8, 28, v6
	v_sub_u32_e32 v6, 29, v6
	v_cmp_gt_u32_e32 vcc, 8, v11
	v_cndmask_b32_e32 v9, v7, v6, vcc
	v_cndmask_b32_e32 v6, 0, v8, vcc
	v_lshlrev_b64 v[6:7], v6, v[2:3]
	v_lshlrev_b32_e32 v3, 20, v6
	v_lshlrev_b32_e32 v6, 24, v2
	v_and_b32_e32 v3, 0x700000, v3
	v_and_b32_e32 v6, 0x80000000, v6
	v_lshl_add_u32 v7, v9, 23, v61
	v_or3_b32 v10, v6, v7, v3
.LBB6_4757:                             ;   in Loop: Header=BB6_4252 Depth=2
	s_or_b64 exec, exec, s[60:61]
.LBB6_4758:                             ;   in Loop: Header=BB6_4252 Depth=2
	s_or_b64 exec, exec, s[58:59]
.LBB6_4759:                             ;   in Loop: Header=BB6_4252 Depth=2
	s_or_b64 exec, exec, s[20:21]
	v_max_f32_e32 v3, v10, v10
	v_max_f32_e32 v5, v5, v5
	v_min_f32_e32 v14, v5, v3
.LBB6_4760:                             ;   in Loop: Header=BB6_4252 Depth=2
	v_and_b32_sdwa v3, v14, s69 dst_sel:DWORD dst_unused:UNUSED_PAD src0_sel:BYTE_3 src1_sel:DWORD
	v_and_b32_e32 v6, 0x7f800000, v14
	v_mov_b32_e32 v7, v53
	v_and_b32_e32 v10, 0x7fffff, v14
	v_mov_b32_e32 v11, v53
	v_or_b32_e32 v5, 0x7e, v3
	v_cmp_ne_u64_e32 vcc, s[40:41], v[6:7]
	s_and_saveexec_b64 s[20:21], vcc
	s_xor_b64 s[58:59], exec, s[20:21]
	s_cbranch_execz .LBB6_4770
; %bb.4761:                             ;   in Loop: Header=BB6_4252 Depth=2
	v_and_b32_e32 v6, 0x7fffffff, v14
	v_mov_b32_e32 v7, v53
	v_cmp_gt_u64_e32 vcc, s[42:43], v[6:7]
	s_and_saveexec_b64 s[60:61], vcc
	s_cbranch_execz .LBB6_4769
; %bb.4762:                             ;   in Loop: Header=BB6_4252 Depth=2
	v_cmp_ne_u32_e32 vcc, 0, v14
	v_mov_b32_e32 v5, 0
	s_and_saveexec_b64 s[62:63], vcc
	s_cbranch_execz .LBB6_4768
; %bb.4763:                             ;   in Loop: Header=BB6_4252 Depth=2
	v_bfe_u32 v5, v14, 23, 8
	v_sub_u32_e32 v7, 0x79, v5
	v_cmp_gt_u32_e32 vcc, s73, v5
	v_cndmask_b32_e32 v7, 0, v7, vcc
	v_cmp_eq_u32_e32 vcc, 0, v5
	v_add_u32_e32 v6, 0xffffff81, v5
	v_cndmask_b32_e32 v14, v7, v32, vcc
	v_cndmask_b32_e32 v5, v6, v33, vcc
	v_add_u32_e32 v6, 20, v14
	v_or_b32_e32 v8, 0x800000, v10
	v_lshlrev_b64 v[6:7], v6, -1
	v_cndmask_b32_e32 v10, v8, v10, vcc
	v_not_b32_e32 v6, v6
	v_and_b32_e32 v6, v10, v6
	v_lshrrev_b64 v[10:11], v14, v[10:11]
	v_not_b32_e32 v7, v7
	v_add_u32_e32 v8, 19, v14
	v_lshrrev_b32_e32 v32, 23, v10
	v_and_b32_e32 v7, 0, v7
	v_lshlrev_b64 v[8:9], v8, 1
	v_add3_u32 v38, v14, v5, v32
	v_bfe_u32 v5, v10, 20, 1
	v_add_u32_e32 v5, -1, v5
	v_cmp_eq_u64_e32 vcc, v[6:7], v[8:9]
	v_cndmask_b32_e32 v5, 0, v5, vcc
	v_add_u32_e32 v5, v5, v10
	v_and_b32_e32 v5, 0xfffff, v5
	v_add_co_u32_e32 v10, vcc, v5, v10
	v_add_u32_e32 v14, 6, v38
	v_addc_co_u32_e32 v11, vcc, 0, v11, vcc
	v_cmp_ne_u32_e32 vcc, 0, v14
                                        ; implicit-def: $vgpr5
	s_and_saveexec_b64 s[20:21], vcc
	s_xor_b64 s[20:21], exec, s[20:21]
; %bb.4764:                             ;   in Loop: Header=BB6_4252 Depth=2
	v_cmp_lt_u64_e32 vcc, s[46:47], v[10:11]
	v_add_u32_e32 v5, 7, v38
	v_cndmask_b32_e64 v6, 0, 1, vcc
	v_cndmask_b32_e32 v5, v14, v5, vcc
	v_lshrrev_b64 v[10:11], v6, v[10:11]
; %bb.4765:                             ;   in Loop: Header=BB6_4252 Depth=2
	s_andn2_saveexec_b64 s[20:21], s[20:21]
; %bb.4766:                             ;   in Loop: Header=BB6_4252 Depth=2
	v_bfe_u32 v5, v10, 23, 1
; %bb.4767:                             ;   in Loop: Header=BB6_4252 Depth=2
	s_or_b64 exec, exec, s[20:21]
	v_lshrrev_b64 v[6:7], 20, v[10:11]
	v_cmp_gt_i32_e32 vcc, 16, v5
	v_cndmask_b32_e32 v7, 0, v7, vcc
	v_cndmask_b32_e32 v6, 7, v6, vcc
	v_cmp_eq_u32_e32 vcc, 0, v5
	v_min_i32_e32 v5, 15, v5
	v_cmp_eq_u64_e64 s[20:21], 0, v[6:7]
	v_lshlrev_b32_e32 v5, 3, v5
	v_and_or_b32 v5, v6, 7, v5
	s_and_b64 s[20:21], vcc, s[20:21]
	v_cndmask_b32_e64 v5, v5, 0, s[20:21]
	v_or_b32_e32 v5, v5, v3
	v_mov_b32_e32 v32, 0x78
.LBB6_4768:                             ;   in Loop: Header=BB6_4252 Depth=2
	s_or_b64 exec, exec, s[62:63]
.LBB6_4769:                             ;   in Loop: Header=BB6_4252 Depth=2
	s_or_b64 exec, exec, s[60:61]
                                        ; implicit-def: $vgpr14
                                        ; implicit-def: $vgpr10_vgpr11
.LBB6_4770:                             ;   in Loop: Header=BB6_4252 Depth=2
	s_andn2_saveexec_b64 s[20:21], s[58:59]
; %bb.4771:                             ;   in Loop: Header=BB6_4252 Depth=2
	v_or_b32_sdwa v3, v14, s71 dst_sel:DWORD dst_unused:UNUSED_PAD src0_sel:BYTE_3 src1_sel:DWORD
	v_cmp_eq_u64_e32 vcc, 0, v[10:11]
	v_cndmask_b32_e32 v5, v3, v5, vcc
; %bb.4772:                             ;   in Loop: Header=BB6_4252 Depth=2
	s_or_b64 exec, exec, s[20:21]
	v_lshrrev_b16_e32 v14, 8, v52
	v_lshrrev_b16_e32 v10, 8, v2
	v_cmp_ne_u16_e64 s[20:21], 0, v14
	s_and_b64 vcc, exec, s[56:57]
	s_cbranch_vccz .LBB6_4786
; %bb.4773:                             ;   in Loop: Header=BB6_4252 Depth=2
	v_mov_b32_e32 v11, 0
	v_mov_b32_e32 v3, 0
	s_and_saveexec_b64 s[58:59], s[20:21]
	s_cbranch_execz .LBB6_4779
; %bb.4774:                             ;   in Loop: Header=BB6_4252 Depth=2
	v_cmp_ne_u16_e32 vcc, s69, v14
	v_bfrev_b32_e32 v3, 1
	s_and_saveexec_b64 s[60:61], vcc
	s_cbranch_execz .LBB6_4778
; %bb.4775:                             ;   in Loop: Header=BB6_4252 Depth=2
	v_and_b32_e32 v38, 0x7f, v14
	v_cmp_ne_u32_e32 vcc, s71, v38
	v_mov_b32_e32 v3, 0x7f800001
	s_and_saveexec_b64 s[62:63], vcc
	s_cbranch_execz .LBB6_4777
; %bb.4776:                             ;   in Loop: Header=BB6_4252 Depth=2
	v_and_b32_e32 v3, 7, v14
	v_ffbh_u32_e32 v6, v3
	v_min_u32_e32 v9, 32, v6
	v_subrev_u32_e32 v6, 28, v9
	v_lshlrev_b64 v[6:7], v6, v[14:15]
	v_lshrrev_b32_e32 v8, 3, v38
	v_sub_u32_e32 v7, 29, v9
	v_and_b32_e32 v6, 7, v6
	v_cmp_gt_u32_e32 vcc, 8, v38
	v_cndmask_b32_e32 v7, v8, v7, vcc
	v_cndmask_b32_e32 v3, v3, v6, vcc
	v_lshlrev_b32_e32 v6, 16, v52
	v_lshlrev_b32_e32 v3, 20, v3
	v_and_b32_e32 v6, 0x80000000, v6
	v_lshl_add_u32 v7, v7, 23, v61
	v_or3_b32 v3, v6, v7, v3
.LBB6_4777:                             ;   in Loop: Header=BB6_4252 Depth=2
	s_or_b64 exec, exec, s[62:63]
.LBB6_4778:                             ;   in Loop: Header=BB6_4252 Depth=2
	s_or_b64 exec, exec, s[60:61]
.LBB6_4779:                             ;   in Loop: Header=BB6_4252 Depth=2
	s_or_b64 exec, exec, s[58:59]
	v_cmp_ne_u16_e32 vcc, 0, v10
	s_and_saveexec_b64 s[58:59], vcc
	s_cbranch_execz .LBB6_4785
; %bb.4780:                             ;   in Loop: Header=BB6_4252 Depth=2
	v_cmp_ne_u16_e32 vcc, s69, v10
	v_bfrev_b32_e32 v11, 1
	s_and_saveexec_b64 s[60:61], vcc
	s_cbranch_execz .LBB6_4784
; %bb.4781:                             ;   in Loop: Header=BB6_4252 Depth=2
	v_and_b32_e32 v38, 0x7f, v10
	v_cmp_ne_u32_e32 vcc, s71, v38
	v_mov_b32_e32 v11, 0x7f800001
	s_and_saveexec_b64 s[62:63], vcc
	s_cbranch_execz .LBB6_4783
; %bb.4782:                             ;   in Loop: Header=BB6_4252 Depth=2
	v_and_b32_e32 v8, 7, v10
	v_ffbh_u32_e32 v6, v8
	v_min_u32_e32 v11, 32, v6
	v_subrev_u32_e32 v6, 28, v11
	v_lshlrev_b64 v[6:7], v6, v[10:11]
	v_lshrrev_b32_e32 v9, 3, v38
	v_sub_u32_e32 v7, 29, v11
	v_and_b32_e32 v6, 7, v6
	v_cmp_gt_u32_e32 vcc, 8, v38
	v_cndmask_b32_e32 v7, v9, v7, vcc
	v_cndmask_b32_e32 v6, v8, v6, vcc
	v_lshlrev_b32_e32 v8, 16, v2
	v_lshlrev_b32_e32 v6, 20, v6
	v_and_b32_e32 v8, 0x80000000, v8
	v_lshl_add_u32 v7, v7, 23, v61
	v_or3_b32 v11, v8, v7, v6
.LBB6_4783:                             ;   in Loop: Header=BB6_4252 Depth=2
	s_or_b64 exec, exec, s[62:63]
.LBB6_4784:                             ;   in Loop: Header=BB6_4252 Depth=2
	s_or_b64 exec, exec, s[60:61]
.LBB6_4785:                             ;   in Loop: Header=BB6_4252 Depth=2
	s_or_b64 exec, exec, s[58:59]
	v_max_f32_e32 v6, v11, v11
	v_max_f32_e32 v3, v3, v3
	;; [unrolled: 1-line block ×3, first 2 shown]
	s_branch .LBB6_4800
.LBB6_4786:                             ;   in Loop: Header=BB6_4252 Depth=2
                                        ; implicit-def: $vgpr3
	s_cbranch_execz .LBB6_4800
; %bb.4787:                             ;   in Loop: Header=BB6_4252 Depth=2
	v_mov_b32_e32 v11, 0
	v_mov_b32_e32 v3, 0
	s_and_saveexec_b64 s[58:59], s[20:21]
	s_cbranch_execz .LBB6_4793
; %bb.4788:                             ;   in Loop: Header=BB6_4252 Depth=2
	v_cmp_ne_u16_e32 vcc, s69, v14
	v_bfrev_b32_e32 v3, 1
	s_and_saveexec_b64 s[20:21], vcc
	s_cbranch_execz .LBB6_4792
; %bb.4789:                             ;   in Loop: Header=BB6_4252 Depth=2
	v_and_b32_e32 v38, 0x7f, v14
	v_cmp_ne_u32_e32 vcc, s71, v38
	v_mov_b32_e32 v3, 0x7f800001
	s_and_saveexec_b64 s[60:61], vcc
	s_cbranch_execz .LBB6_4791
; %bb.4790:                             ;   in Loop: Header=BB6_4252 Depth=2
	v_and_b32_e32 v3, 7, v14
	v_ffbh_u32_e32 v6, v3
	v_min_u32_e32 v9, 32, v6
	v_subrev_u32_e32 v6, 28, v9
	v_lshlrev_b64 v[6:7], v6, v[14:15]
	v_lshrrev_b32_e32 v8, 3, v38
	v_sub_u32_e32 v7, 29, v9
	v_and_b32_e32 v6, 7, v6
	v_cmp_gt_u32_e32 vcc, 8, v38
	v_cndmask_b32_e32 v7, v8, v7, vcc
	v_cndmask_b32_e32 v3, v3, v6, vcc
	v_lshlrev_b32_e32 v6, 16, v52
	v_lshlrev_b32_e32 v3, 20, v3
	v_and_b32_e32 v6, 0x80000000, v6
	v_lshl_add_u32 v7, v7, 23, v61
	v_or3_b32 v3, v6, v7, v3
.LBB6_4791:                             ;   in Loop: Header=BB6_4252 Depth=2
	s_or_b64 exec, exec, s[60:61]
.LBB6_4792:                             ;   in Loop: Header=BB6_4252 Depth=2
	s_or_b64 exec, exec, s[20:21]
.LBB6_4793:                             ;   in Loop: Header=BB6_4252 Depth=2
	s_or_b64 exec, exec, s[58:59]
	v_cmp_ne_u16_e32 vcc, 0, v10
	s_and_saveexec_b64 s[20:21], vcc
	s_cbranch_execz .LBB6_4799
; %bb.4794:                             ;   in Loop: Header=BB6_4252 Depth=2
	v_cmp_ne_u16_e32 vcc, s69, v10
	v_bfrev_b32_e32 v11, 1
	s_and_saveexec_b64 s[58:59], vcc
	s_cbranch_execz .LBB6_4798
; %bb.4795:                             ;   in Loop: Header=BB6_4252 Depth=2
	v_and_b32_e32 v14, 0x7f, v10
	v_cmp_ne_u32_e32 vcc, s71, v14
	v_mov_b32_e32 v11, 0x7f800001
	s_and_saveexec_b64 s[60:61], vcc
	s_cbranch_execz .LBB6_4797
; %bb.4796:                             ;   in Loop: Header=BB6_4252 Depth=2
	v_and_b32_e32 v8, 7, v10
	v_ffbh_u32_e32 v6, v8
	v_min_u32_e32 v11, 32, v6
	v_subrev_u32_e32 v6, 28, v11
	v_lshlrev_b64 v[6:7], v6, v[10:11]
	v_lshrrev_b32_e32 v9, 3, v14
	v_sub_u32_e32 v7, 29, v11
	v_and_b32_e32 v6, 7, v6
	v_cmp_gt_u32_e32 vcc, 8, v14
	v_cndmask_b32_e32 v7, v9, v7, vcc
	v_cndmask_b32_e32 v6, v8, v6, vcc
	v_lshlrev_b32_e32 v2, 16, v2
	v_lshlrev_b32_e32 v6, 20, v6
	v_and_b32_e32 v2, 0x80000000, v2
	v_lshl_add_u32 v7, v7, 23, v61
	v_or3_b32 v11, v2, v7, v6
.LBB6_4797:                             ;   in Loop: Header=BB6_4252 Depth=2
	s_or_b64 exec, exec, s[60:61]
.LBB6_4798:                             ;   in Loop: Header=BB6_4252 Depth=2
	s_or_b64 exec, exec, s[58:59]
.LBB6_4799:                             ;   in Loop: Header=BB6_4252 Depth=2
	s_or_b64 exec, exec, s[20:21]
	v_max_f32_e32 v2, v11, v11
	v_max_f32_e32 v3, v3, v3
	v_min_f32_e32 v3, v3, v2
.LBB6_4800:                             ;   in Loop: Header=BB6_4252 Depth=2
	v_and_b32_sdwa v10, v3, s69 dst_sel:DWORD dst_unused:UNUSED_PAD src0_sel:BYTE_3 src1_sel:DWORD
	v_and_b32_e32 v6, 0x7f800000, v3
	v_mov_b32_e32 v7, v53
	v_and_b32_e32 v52, 0x7fffff, v3
	v_or_b32_e32 v11, 0x7e, v10
	v_cmp_ne_u64_e32 vcc, s[40:41], v[6:7]
	s_and_saveexec_b64 s[20:21], vcc
	s_xor_b64 s[58:59], exec, s[20:21]
	s_cbranch_execz .LBB6_4810
; %bb.4801:                             ;   in Loop: Header=BB6_4252 Depth=2
	v_and_b32_e32 v6, 0x7fffffff, v3
	v_mov_b32_e32 v7, v53
	v_cmp_gt_u64_e32 vcc, s[42:43], v[6:7]
	s_and_saveexec_b64 s[60:61], vcc
	s_cbranch_execz .LBB6_4809
; %bb.4802:                             ;   in Loop: Header=BB6_4252 Depth=2
	v_cmp_ne_u32_e32 vcc, 0, v3
	v_mov_b32_e32 v11, 0
	s_and_saveexec_b64 s[62:63], vcc
	s_cbranch_execz .LBB6_4808
; %bb.4803:                             ;   in Loop: Header=BB6_4252 Depth=2
	v_bfe_u32 v2, v3, 23, 8
	v_sub_u32_e32 v6, 0x79, v2
	v_cmp_gt_u32_e32 vcc, s73, v2
	v_cndmask_b32_e32 v6, 0, v6, vcc
	v_cmp_eq_u32_e32 vcc, 0, v2
	v_or_b32_e32 v7, 0x800000, v52
	v_cndmask_b32_e32 v14, v6, v32, vcc
	v_add_u32_e32 v3, 0xffffff81, v2
	v_cndmask_b32_e32 v52, v7, v52, vcc
	v_add_u32_e32 v2, 20, v14
	v_cndmask_b32_e32 v11, v3, v33, vcc
	v_lshlrev_b64 v[2:3], v2, -1
	v_lshrrev_b64 v[8:9], v14, v[52:53]
	v_not_b32_e32 v3, v3
	v_not_b32_e32 v2, v2
	v_add_u32_e32 v6, 19, v14
	v_lshrrev_b32_e32 v32, 23, v8
	v_and_b32_e32 v3, 0, v3
	v_and_b32_e32 v2, v52, v2
	v_lshlrev_b64 v[6:7], v6, 1
	v_add3_u32 v38, v14, v11, v32
	v_bfe_u32 v11, v8, 20, 1
	v_add_u32_e32 v11, -1, v11
	v_cmp_eq_u64_e32 vcc, v[2:3], v[6:7]
	v_cndmask_b32_e32 v2, 0, v11, vcc
	v_add_u32_e32 v2, v2, v8
	v_and_b32_e32 v2, 0xfffff, v2
	v_add_co_u32_e32 v2, vcc, v2, v8
	v_add_u32_e32 v14, 6, v38
	v_addc_co_u32_e32 v3, vcc, 0, v9, vcc
	v_cmp_ne_u32_e32 vcc, 0, v14
                                        ; implicit-def: $vgpr11
	s_and_saveexec_b64 s[20:21], vcc
	s_xor_b64 s[20:21], exec, s[20:21]
; %bb.4804:                             ;   in Loop: Header=BB6_4252 Depth=2
	v_add_u32_e32 v6, 7, v38
	v_cmp_lt_u64_e32 vcc, s[46:47], v[2:3]
	v_cndmask_b32_e32 v11, v14, v6, vcc
	v_cndmask_b32_e64 v6, 0, 1, vcc
	v_lshrrev_b64 v[2:3], v6, v[2:3]
; %bb.4805:                             ;   in Loop: Header=BB6_4252 Depth=2
	s_andn2_saveexec_b64 s[20:21], s[20:21]
; %bb.4806:                             ;   in Loop: Header=BB6_4252 Depth=2
	v_bfe_u32 v11, v2, 23, 1
; %bb.4807:                             ;   in Loop: Header=BB6_4252 Depth=2
	s_or_b64 exec, exec, s[20:21]
	v_lshrrev_b64 v[2:3], 20, v[2:3]
	v_cmp_gt_i32_e32 vcc, 16, v11
	v_cndmask_b32_e32 v3, 0, v3, vcc
	v_cndmask_b32_e32 v2, 7, v2, vcc
	v_cmp_eq_u64_e64 s[20:21], 0, v[2:3]
	v_min_i32_e32 v3, 15, v11
	v_cmp_eq_u32_e32 vcc, 0, v11
	v_lshlrev_b32_e32 v3, 3, v3
	v_and_or_b32 v2, v2, 7, v3
	s_and_b64 s[20:21], vcc, s[20:21]
	v_cndmask_b32_e64 v2, v2, 0, s[20:21]
	v_or_b32_e32 v11, v2, v10
	v_mov_b32_e32 v32, 0x78
.LBB6_4808:                             ;   in Loop: Header=BB6_4252 Depth=2
	s_or_b64 exec, exec, s[62:63]
.LBB6_4809:                             ;   in Loop: Header=BB6_4252 Depth=2
	s_or_b64 exec, exec, s[60:61]
                                        ; implicit-def: $vgpr3
.LBB6_4810:                             ;   in Loop: Header=BB6_4252 Depth=2
	s_andn2_saveexec_b64 s[20:21], s[58:59]
; %bb.4811:                             ;   in Loop: Header=BB6_4252 Depth=2
	v_or_b32_sdwa v2, v3, s71 dst_sel:DWORD dst_unused:UNUSED_PAD src0_sel:BYTE_3 src1_sel:DWORD
	v_cmp_eq_u64_e32 vcc, 0, v[52:53]
	v_cndmask_b32_e32 v11, v2, v11, vcc
; %bb.4812:                             ;   in Loop: Header=BB6_4252 Depth=2
	s_or_b64 exec, exec, s[20:21]
	v_lshrrev_b32_e32 v10, 16, v17
	v_lshrrev_b32_e32 v2, 16, v13
	v_cmp_ne_u16_sdwa s[20:21], v10, v53 src0_sel:BYTE_0 src1_sel:DWORD
	s_and_b64 vcc, exec, s[56:57]
	s_cbranch_vccz .LBB6_4826
; %bb.4813:                             ;   in Loop: Header=BB6_4252 Depth=2
	v_mov_b32_e32 v14, 0
	v_mov_b32_e32 v3, 0
	s_and_saveexec_b64 s[58:59], s[20:21]
	s_cbranch_execz .LBB6_4819
; %bb.4814:                             ;   in Loop: Header=BB6_4252 Depth=2
	v_cmp_ne_u16_sdwa vcc, v10, s69 src0_sel:BYTE_0 src1_sel:DWORD
	v_bfrev_b32_e32 v3, 1
	s_and_saveexec_b64 s[60:61], vcc
	s_cbranch_execz .LBB6_4818
; %bb.4815:                             ;   in Loop: Header=BB6_4252 Depth=2
	v_bfe_u32 v38, v17, 16, 7
	v_cmp_ne_u32_e32 vcc, s71, v38
	v_mov_b32_e32 v3, 0x7f800001
	s_and_saveexec_b64 s[62:63], vcc
	s_cbranch_execz .LBB6_4817
; %bb.4816:                             ;   in Loop: Header=BB6_4252 Depth=2
	v_and_b32_e32 v3, 7, v10
	v_ffbh_u32_e32 v6, v3
	v_min_u32_e32 v9, 32, v6
	v_subrev_u32_e32 v6, 28, v9
	v_lshlrev_b64 v[6:7], v6, v[10:11]
	v_lshrrev_b32_e32 v8, 3, v38
	v_sub_u32_e32 v7, 29, v9
	v_and_b32_e32 v6, 7, v6
	v_cmp_gt_u32_e32 vcc, 8, v38
	v_cndmask_b32_e32 v7, v8, v7, vcc
	v_cndmask_b32_e32 v3, v3, v6, vcc
	v_lshlrev_b32_e32 v6, 24, v10
	v_lshlrev_b32_e32 v3, 20, v3
	v_and_b32_e32 v6, 0x80000000, v6
	v_lshl_add_u32 v7, v7, 23, v61
	v_or3_b32 v3, v6, v7, v3
.LBB6_4817:                             ;   in Loop: Header=BB6_4252 Depth=2
	s_or_b64 exec, exec, s[62:63]
.LBB6_4818:                             ;   in Loop: Header=BB6_4252 Depth=2
	s_or_b64 exec, exec, s[60:61]
.LBB6_4819:                             ;   in Loop: Header=BB6_4252 Depth=2
	s_or_b64 exec, exec, s[58:59]
	v_cmp_ne_u16_sdwa vcc, v2, v53 src0_sel:BYTE_0 src1_sel:DWORD
	s_and_saveexec_b64 s[58:59], vcc
	s_cbranch_execz .LBB6_4825
; %bb.4820:                             ;   in Loop: Header=BB6_4252 Depth=2
	v_cmp_ne_u16_sdwa vcc, v2, s69 src0_sel:BYTE_0 src1_sel:DWORD
	v_bfrev_b32_e32 v14, 1
	s_and_saveexec_b64 s[60:61], vcc
	s_cbranch_execz .LBB6_4824
; %bb.4821:                             ;   in Loop: Header=BB6_4252 Depth=2
	v_bfe_u32 v38, v13, 16, 7
	v_cmp_ne_u32_e32 vcc, s71, v38
	v_mov_b32_e32 v14, 0x7f800001
	s_and_saveexec_b64 s[62:63], vcc
	s_cbranch_execz .LBB6_4823
; %bb.4822:                             ;   in Loop: Header=BB6_4252 Depth=2
	v_and_b32_e32 v8, 7, v2
	v_ffbh_u32_e32 v6, v8
	v_min_u32_e32 v14, 32, v6
	v_subrev_u32_e32 v6, 28, v14
	v_lshlrev_b64 v[6:7], v6, v[2:3]
	v_lshrrev_b32_e32 v9, 3, v38
	v_sub_u32_e32 v7, 29, v14
	v_and_b32_e32 v6, 7, v6
	v_cmp_gt_u32_e32 vcc, 8, v38
	v_cndmask_b32_e32 v7, v9, v7, vcc
	v_cndmask_b32_e32 v6, v8, v6, vcc
	v_lshlrev_b32_e32 v8, 24, v2
	v_lshlrev_b32_e32 v6, 20, v6
	v_and_b32_e32 v8, 0x80000000, v8
	v_lshl_add_u32 v7, v7, 23, v61
	v_or3_b32 v14, v8, v7, v6
.LBB6_4823:                             ;   in Loop: Header=BB6_4252 Depth=2
	s_or_b64 exec, exec, s[62:63]
.LBB6_4824:                             ;   in Loop: Header=BB6_4252 Depth=2
	s_or_b64 exec, exec, s[60:61]
.LBB6_4825:                             ;   in Loop: Header=BB6_4252 Depth=2
	s_or_b64 exec, exec, s[58:59]
	v_max_f32_e32 v6, v14, v14
	v_max_f32_e32 v3, v3, v3
	;; [unrolled: 1-line block ×3, first 2 shown]
	s_branch .LBB6_4840
.LBB6_4826:                             ;   in Loop: Header=BB6_4252 Depth=2
                                        ; implicit-def: $vgpr3
	s_cbranch_execz .LBB6_4840
; %bb.4827:                             ;   in Loop: Header=BB6_4252 Depth=2
	v_mov_b32_e32 v14, 0
	v_mov_b32_e32 v3, 0
	s_and_saveexec_b64 s[58:59], s[20:21]
	s_cbranch_execz .LBB6_4833
; %bb.4828:                             ;   in Loop: Header=BB6_4252 Depth=2
	v_cmp_ne_u16_sdwa vcc, v10, s69 src0_sel:BYTE_0 src1_sel:DWORD
	v_bfrev_b32_e32 v3, 1
	s_and_saveexec_b64 s[20:21], vcc
	s_cbranch_execz .LBB6_4832
; %bb.4829:                             ;   in Loop: Header=BB6_4252 Depth=2
	v_bfe_u32 v38, v17, 16, 7
	v_cmp_ne_u32_e32 vcc, s71, v38
	v_mov_b32_e32 v3, 0x7f800001
	s_and_saveexec_b64 s[60:61], vcc
	s_cbranch_execz .LBB6_4831
; %bb.4830:                             ;   in Loop: Header=BB6_4252 Depth=2
	v_and_b32_e32 v3, 7, v10
	v_ffbh_u32_e32 v6, v3
	v_min_u32_e32 v9, 32, v6
	v_subrev_u32_e32 v6, 28, v9
	v_lshlrev_b64 v[6:7], v6, v[10:11]
	v_lshrrev_b32_e32 v8, 3, v38
	v_sub_u32_e32 v7, 29, v9
	v_and_b32_e32 v6, 7, v6
	v_cmp_gt_u32_e32 vcc, 8, v38
	v_cndmask_b32_e32 v7, v8, v7, vcc
	v_cndmask_b32_e32 v3, v3, v6, vcc
	v_lshlrev_b32_e32 v6, 24, v10
	v_lshlrev_b32_e32 v3, 20, v3
	v_and_b32_e32 v6, 0x80000000, v6
	v_lshl_add_u32 v7, v7, 23, v61
	v_or3_b32 v3, v6, v7, v3
.LBB6_4831:                             ;   in Loop: Header=BB6_4252 Depth=2
	s_or_b64 exec, exec, s[60:61]
.LBB6_4832:                             ;   in Loop: Header=BB6_4252 Depth=2
	s_or_b64 exec, exec, s[20:21]
.LBB6_4833:                             ;   in Loop: Header=BB6_4252 Depth=2
	s_or_b64 exec, exec, s[58:59]
	v_cmp_ne_u16_sdwa vcc, v2, v53 src0_sel:BYTE_0 src1_sel:DWORD
	s_and_saveexec_b64 s[20:21], vcc
	s_cbranch_execz .LBB6_4839
; %bb.4834:                             ;   in Loop: Header=BB6_4252 Depth=2
	v_cmp_ne_u16_sdwa vcc, v2, s69 src0_sel:BYTE_0 src1_sel:DWORD
	v_bfrev_b32_e32 v14, 1
	s_and_saveexec_b64 s[58:59], vcc
	s_cbranch_execz .LBB6_4838
; %bb.4835:                             ;   in Loop: Header=BB6_4252 Depth=2
	v_bfe_u32 v10, v13, 16, 7
	v_cmp_ne_u32_e32 vcc, s71, v10
	v_mov_b32_e32 v14, 0x7f800001
	s_and_saveexec_b64 s[60:61], vcc
	s_cbranch_execz .LBB6_4837
; %bb.4836:                             ;   in Loop: Header=BB6_4252 Depth=2
	v_and_b32_e32 v8, 7, v2
	v_ffbh_u32_e32 v6, v8
	v_min_u32_e32 v14, 32, v6
	v_subrev_u32_e32 v6, 28, v14
	v_lshlrev_b64 v[6:7], v6, v[2:3]
	v_lshrrev_b32_e32 v9, 3, v10
	v_sub_u32_e32 v7, 29, v14
	v_and_b32_e32 v6, 7, v6
	v_cmp_gt_u32_e32 vcc, 8, v10
	v_cndmask_b32_e32 v7, v9, v7, vcc
	v_cndmask_b32_e32 v6, v8, v6, vcc
	v_lshlrev_b32_e32 v2, 24, v2
	v_lshlrev_b32_e32 v6, 20, v6
	v_and_b32_e32 v2, 0x80000000, v2
	v_lshl_add_u32 v7, v7, 23, v61
	v_or3_b32 v14, v2, v7, v6
.LBB6_4837:                             ;   in Loop: Header=BB6_4252 Depth=2
	s_or_b64 exec, exec, s[60:61]
.LBB6_4838:                             ;   in Loop: Header=BB6_4252 Depth=2
	s_or_b64 exec, exec, s[58:59]
.LBB6_4839:                             ;   in Loop: Header=BB6_4252 Depth=2
	s_or_b64 exec, exec, s[20:21]
	v_max_f32_e32 v2, v14, v14
	v_max_f32_e32 v3, v3, v3
	v_min_f32_e32 v3, v3, v2
.LBB6_4840:                             ;   in Loop: Header=BB6_4252 Depth=2
	v_and_b32_sdwa v10, v3, s69 dst_sel:DWORD dst_unused:UNUSED_PAD src0_sel:BYTE_3 src1_sel:DWORD
	v_and_b32_e32 v6, 0x7f800000, v3
	v_mov_b32_e32 v7, v53
	v_and_b32_e32 v52, 0x7fffff, v3
	v_or_b32_e32 v14, 0x7e, v10
	v_cmp_ne_u64_e32 vcc, s[40:41], v[6:7]
	s_and_saveexec_b64 s[20:21], vcc
	s_xor_b64 s[58:59], exec, s[20:21]
	s_cbranch_execz .LBB6_4850
; %bb.4841:                             ;   in Loop: Header=BB6_4252 Depth=2
	v_and_b32_e32 v6, 0x7fffffff, v3
	v_mov_b32_e32 v7, v53
	v_cmp_gt_u64_e32 vcc, s[42:43], v[6:7]
	s_and_saveexec_b64 s[60:61], vcc
	s_cbranch_execz .LBB6_4849
; %bb.4842:                             ;   in Loop: Header=BB6_4252 Depth=2
	v_cmp_ne_u32_e32 vcc, 0, v3
	v_mov_b32_e32 v14, 0
	s_and_saveexec_b64 s[62:63], vcc
	s_cbranch_execz .LBB6_4848
; %bb.4843:                             ;   in Loop: Header=BB6_4252 Depth=2
	v_bfe_u32 v2, v3, 23, 8
	v_sub_u32_e32 v6, 0x79, v2
	v_cmp_gt_u32_e32 vcc, s73, v2
	v_add_u32_e32 v3, 0xffffff81, v2
	v_cndmask_b32_e32 v6, 0, v6, vcc
	v_cmp_eq_u32_e32 vcc, 0, v2
	v_mov_b32_e32 v2, 0x78
	v_or_b32_e32 v7, 0x800000, v52
	v_cndmask_b32_e32 v32, v6, v2, vcc
	v_cndmask_b32_e32 v52, v7, v52, vcc
	v_add_u32_e32 v2, 20, v32
	v_cndmask_b32_e32 v14, v3, v33, vcc
	v_lshlrev_b64 v[2:3], v2, -1
	v_lshrrev_b64 v[8:9], v32, v[52:53]
	v_not_b32_e32 v3, v3
	v_not_b32_e32 v2, v2
	v_add_u32_e32 v6, 19, v32
	v_lshrrev_b32_e32 v33, 23, v8
	v_and_b32_e32 v3, 0, v3
	v_and_b32_e32 v2, v52, v2
	v_lshlrev_b64 v[6:7], v6, 1
	v_add3_u32 v38, v32, v14, v33
	v_bfe_u32 v14, v8, 20, 1
	v_add_u32_e32 v14, -1, v14
	v_cmp_eq_u64_e32 vcc, v[2:3], v[6:7]
	v_cndmask_b32_e32 v2, 0, v14, vcc
	v_add_u32_e32 v2, v2, v8
	v_and_b32_e32 v2, 0xfffff, v2
	v_add_co_u32_e32 v2, vcc, v2, v8
	v_add_u32_e32 v50, 6, v38
	v_addc_co_u32_e32 v3, vcc, 0, v9, vcc
	v_cmp_ne_u32_e32 vcc, 0, v50
                                        ; implicit-def: $vgpr14
	s_and_saveexec_b64 s[20:21], vcc
	s_xor_b64 s[20:21], exec, s[20:21]
; %bb.4844:                             ;   in Loop: Header=BB6_4252 Depth=2
	v_add_u32_e32 v6, 7, v38
	v_cmp_lt_u64_e32 vcc, s[46:47], v[2:3]
	v_cndmask_b32_e32 v14, v50, v6, vcc
	v_cndmask_b32_e64 v6, 0, 1, vcc
	v_lshrrev_b64 v[2:3], v6, v[2:3]
; %bb.4845:                             ;   in Loop: Header=BB6_4252 Depth=2
	s_andn2_saveexec_b64 s[20:21], s[20:21]
; %bb.4846:                             ;   in Loop: Header=BB6_4252 Depth=2
	v_bfe_u32 v14, v2, 23, 1
; %bb.4847:                             ;   in Loop: Header=BB6_4252 Depth=2
	s_or_b64 exec, exec, s[20:21]
	v_lshrrev_b64 v[2:3], 20, v[2:3]
	v_cmp_gt_i32_e32 vcc, 16, v14
	v_cndmask_b32_e32 v3, 0, v3, vcc
	v_cndmask_b32_e32 v2, 7, v2, vcc
	v_cmp_eq_u64_e64 s[20:21], 0, v[2:3]
	v_min_i32_e32 v3, 15, v14
	v_lshlrev_b32_e32 v3, 3, v3
	v_cmp_eq_u32_e32 vcc, 0, v14
	v_and_b32_e32 v3, 0xf8, v3
	v_and_or_b32 v2, v2, 7, v3
	s_and_b64 s[20:21], vcc, s[20:21]
	v_cndmask_b32_e64 v2, v2, 0, s[20:21]
	v_or_b32_e32 v14, v2, v10
	v_mov_b32_e32 v33, 0xffffff82
	v_mov_b32_e32 v32, 0x78
.LBB6_4848:                             ;   in Loop: Header=BB6_4252 Depth=2
	s_or_b64 exec, exec, s[62:63]
.LBB6_4849:                             ;   in Loop: Header=BB6_4252 Depth=2
	s_or_b64 exec, exec, s[60:61]
                                        ; implicit-def: $vgpr3
.LBB6_4850:                             ;   in Loop: Header=BB6_4252 Depth=2
	s_andn2_saveexec_b64 s[20:21], s[58:59]
; %bb.4851:                             ;   in Loop: Header=BB6_4252 Depth=2
	v_or_b32_sdwa v2, v3, s71 dst_sel:DWORD dst_unused:UNUSED_PAD src0_sel:BYTE_3 src1_sel:DWORD
	v_cmp_eq_u64_e32 vcc, 0, v[52:53]
	v_cndmask_b32_e32 v14, v2, v14, vcc
; %bb.4852:                             ;   in Loop: Header=BB6_4252 Depth=2
	s_or_b64 exec, exec, s[20:21]
	v_lshrrev_b32_e32 v10, 24, v17
	v_lshrrev_b32_e32 v2, 24, v13
	v_cmp_lt_u64_e64 s[20:21], s[44:45], v[16:17]
	s_and_b64 vcc, exec, s[56:57]
	s_cbranch_vccz .LBB6_4866
; %bb.4853:                             ;   in Loop: Header=BB6_4252 Depth=2
	v_mov_b32_e32 v16, 0
	v_mov_b32_e32 v3, 0
	s_and_saveexec_b64 s[58:59], s[20:21]
	s_cbranch_execz .LBB6_4859
; %bb.4854:                             ;   in Loop: Header=BB6_4252 Depth=2
	v_cmp_ne_u32_e32 vcc, s69, v10
	v_bfrev_b32_e32 v3, 1
	s_and_saveexec_b64 s[60:61], vcc
	s_cbranch_execz .LBB6_4858
; %bb.4855:                             ;   in Loop: Header=BB6_4252 Depth=2
	v_bfe_u32 v38, v17, 24, 7
	v_cmp_ne_u32_e32 vcc, s71, v38
	v_mov_b32_e32 v3, 0x7f800001
	s_and_saveexec_b64 s[62:63], vcc
	s_cbranch_execz .LBB6_4857
; %bb.4856:                             ;   in Loop: Header=BB6_4252 Depth=2
	v_and_b32_e32 v3, 7, v10
	v_ffbh_u32_e32 v6, v3
	v_min_u32_e32 v9, 32, v6
	v_subrev_u32_e32 v6, 28, v9
	v_lshlrev_b64 v[6:7], v6, v[10:11]
	v_lshrrev_b32_e32 v8, 3, v38
	v_sub_u32_e32 v7, 29, v9
	v_and_b32_e32 v6, 7, v6
	v_cmp_gt_u32_e32 vcc, 8, v38
	v_cndmask_b32_e32 v7, v8, v7, vcc
	v_cndmask_b32_e32 v3, v3, v6, vcc
	v_lshlrev_b32_e32 v6, 24, v10
	v_lshlrev_b32_e32 v3, 20, v3
	v_and_b32_e32 v6, 0x80000000, v6
	v_lshl_add_u32 v7, v7, 23, v61
	v_or3_b32 v3, v6, v7, v3
.LBB6_4857:                             ;   in Loop: Header=BB6_4252 Depth=2
	s_or_b64 exec, exec, s[62:63]
.LBB6_4858:                             ;   in Loop: Header=BB6_4252 Depth=2
	s_or_b64 exec, exec, s[60:61]
.LBB6_4859:                             ;   in Loop: Header=BB6_4252 Depth=2
	s_or_b64 exec, exec, s[58:59]
	v_cmp_lt_u64_e32 vcc, s[44:45], v[12:13]
	s_and_saveexec_b64 s[58:59], vcc
	s_cbranch_execz .LBB6_4865
; %bb.4860:                             ;   in Loop: Header=BB6_4252 Depth=2
	v_cmp_ne_u32_e32 vcc, s69, v2
	v_bfrev_b32_e32 v16, 1
	s_and_saveexec_b64 s[60:61], vcc
	s_cbranch_execz .LBB6_4864
; %bb.4861:                             ;   in Loop: Header=BB6_4252 Depth=2
	v_bfe_u32 v38, v13, 24, 7
	v_cmp_ne_u32_e32 vcc, s71, v38
	v_mov_b32_e32 v16, 0x7f800001
	s_and_saveexec_b64 s[62:63], vcc
	s_cbranch_execz .LBB6_4863
; %bb.4862:                             ;   in Loop: Header=BB6_4252 Depth=2
	v_and_b32_e32 v8, 7, v2
	v_ffbh_u32_e32 v6, v8
	v_min_u32_e32 v16, 32, v6
	v_subrev_u32_e32 v6, 28, v16
	v_lshlrev_b64 v[6:7], v6, v[2:3]
	v_lshrrev_b32_e32 v9, 3, v38
	v_sub_u32_e32 v7, 29, v16
	v_and_b32_e32 v6, 7, v6
	v_cmp_gt_u32_e32 vcc, 8, v38
	v_cndmask_b32_e32 v7, v9, v7, vcc
	v_cndmask_b32_e32 v6, v8, v6, vcc
	v_lshlrev_b32_e32 v8, 24, v2
	v_lshlrev_b32_e32 v6, 20, v6
	v_and_b32_e32 v8, 0x80000000, v8
	v_lshl_add_u32 v7, v7, 23, v61
	v_or3_b32 v16, v8, v7, v6
.LBB6_4863:                             ;   in Loop: Header=BB6_4252 Depth=2
	s_or_b64 exec, exec, s[62:63]
.LBB6_4864:                             ;   in Loop: Header=BB6_4252 Depth=2
	s_or_b64 exec, exec, s[60:61]
.LBB6_4865:                             ;   in Loop: Header=BB6_4252 Depth=2
	s_or_b64 exec, exec, s[58:59]
	v_max_f32_e32 v6, v16, v16
	v_max_f32_e32 v3, v3, v3
	;; [unrolled: 1-line block ×3, first 2 shown]
	s_branch .LBB6_4880
.LBB6_4866:                             ;   in Loop: Header=BB6_4252 Depth=2
                                        ; implicit-def: $vgpr3
	s_cbranch_execz .LBB6_4880
; %bb.4867:                             ;   in Loop: Header=BB6_4252 Depth=2
	v_mov_b32_e32 v16, 0
	v_mov_b32_e32 v3, 0
	s_and_saveexec_b64 s[58:59], s[20:21]
	s_cbranch_execz .LBB6_4873
; %bb.4868:                             ;   in Loop: Header=BB6_4252 Depth=2
	v_cmp_ne_u32_e32 vcc, s69, v10
	v_bfrev_b32_e32 v3, 1
	s_and_saveexec_b64 s[20:21], vcc
	s_cbranch_execz .LBB6_4872
; %bb.4869:                             ;   in Loop: Header=BB6_4252 Depth=2
	v_bfe_u32 v17, v17, 24, 7
	v_cmp_ne_u32_e32 vcc, s71, v17
	v_mov_b32_e32 v3, 0x7f800001
	s_and_saveexec_b64 s[60:61], vcc
	s_cbranch_execz .LBB6_4871
; %bb.4870:                             ;   in Loop: Header=BB6_4252 Depth=2
	v_and_b32_e32 v3, 7, v10
	v_ffbh_u32_e32 v6, v3
	v_min_u32_e32 v9, 32, v6
	v_subrev_u32_e32 v6, 28, v9
	v_lshlrev_b64 v[6:7], v6, v[10:11]
	v_lshrrev_b32_e32 v8, 3, v17
	v_sub_u32_e32 v7, 29, v9
	v_and_b32_e32 v6, 7, v6
	v_cmp_gt_u32_e32 vcc, 8, v17
	v_cndmask_b32_e32 v7, v8, v7, vcc
	v_cndmask_b32_e32 v3, v3, v6, vcc
	v_lshlrev_b32_e32 v6, 24, v10
	v_lshlrev_b32_e32 v3, 20, v3
	v_and_b32_e32 v6, 0x80000000, v6
	v_lshl_add_u32 v7, v7, 23, v61
	v_or3_b32 v3, v6, v7, v3
.LBB6_4871:                             ;   in Loop: Header=BB6_4252 Depth=2
	s_or_b64 exec, exec, s[60:61]
.LBB6_4872:                             ;   in Loop: Header=BB6_4252 Depth=2
	s_or_b64 exec, exec, s[20:21]
.LBB6_4873:                             ;   in Loop: Header=BB6_4252 Depth=2
	s_or_b64 exec, exec, s[58:59]
	v_cmp_lt_u64_e32 vcc, s[44:45], v[12:13]
	s_and_saveexec_b64 s[20:21], vcc
	s_cbranch_execz .LBB6_4879
; %bb.4874:                             ;   in Loop: Header=BB6_4252 Depth=2
	v_cmp_ne_u32_e32 vcc, s69, v2
	v_bfrev_b32_e32 v16, 1
	s_and_saveexec_b64 s[58:59], vcc
	s_cbranch_execz .LBB6_4878
; %bb.4875:                             ;   in Loop: Header=BB6_4252 Depth=2
	v_bfe_u32 v10, v13, 24, 7
	v_cmp_ne_u32_e32 vcc, s71, v10
	v_mov_b32_e32 v16, 0x7f800001
	s_and_saveexec_b64 s[60:61], vcc
	s_cbranch_execz .LBB6_4877
; %bb.4876:                             ;   in Loop: Header=BB6_4252 Depth=2
	v_and_b32_e32 v8, 7, v2
	v_ffbh_u32_e32 v6, v8
	v_min_u32_e32 v12, 32, v6
	v_subrev_u32_e32 v6, 28, v12
	v_lshlrev_b64 v[6:7], v6, v[2:3]
	v_lshrrev_b32_e32 v9, 3, v10
	v_sub_u32_e32 v7, 29, v12
	v_and_b32_e32 v6, 7, v6
	v_cmp_gt_u32_e32 vcc, 8, v10
	v_cndmask_b32_e32 v7, v9, v7, vcc
	v_cndmask_b32_e32 v6, v8, v6, vcc
	v_lshlrev_b32_e32 v2, 24, v2
	v_lshlrev_b32_e32 v6, 20, v6
	v_and_b32_e32 v2, 0x80000000, v2
	v_lshl_add_u32 v7, v7, 23, v61
	v_or3_b32 v16, v2, v7, v6
.LBB6_4877:                             ;   in Loop: Header=BB6_4252 Depth=2
	s_or_b64 exec, exec, s[60:61]
.LBB6_4878:                             ;   in Loop: Header=BB6_4252 Depth=2
	s_or_b64 exec, exec, s[58:59]
.LBB6_4879:                             ;   in Loop: Header=BB6_4252 Depth=2
	s_or_b64 exec, exec, s[20:21]
	v_max_f32_e32 v2, v16, v16
	v_max_f32_e32 v3, v3, v3
	v_min_f32_e32 v3, v3, v2
.LBB6_4880:                             ;   in Loop: Header=BB6_4252 Depth=2
	v_and_b32_sdwa v10, v3, s69 dst_sel:DWORD dst_unused:UNUSED_PAD src0_sel:BYTE_3 src1_sel:DWORD
	v_and_b32_e32 v6, 0x7f800000, v3
	v_mov_b32_e32 v7, v53
	v_and_b32_e32 v52, 0x7fffff, v3
	v_or_b32_e32 v2, 0x7e, v10
	v_cmp_ne_u64_e32 vcc, s[40:41], v[6:7]
	s_and_saveexec_b64 s[20:21], vcc
	s_xor_b64 s[58:59], exec, s[20:21]
	s_cbranch_execz .LBB6_4890
; %bb.4881:                             ;   in Loop: Header=BB6_4252 Depth=2
	v_and_b32_e32 v6, 0x7fffffff, v3
	v_mov_b32_e32 v7, v53
	v_cmp_gt_u64_e32 vcc, s[42:43], v[6:7]
	s_and_saveexec_b64 s[60:61], vcc
	s_cbranch_execz .LBB6_4889
; %bb.4882:                             ;   in Loop: Header=BB6_4252 Depth=2
	v_cmp_ne_u32_e32 vcc, 0, v3
	v_mov_b32_e32 v2, 0
	s_and_saveexec_b64 s[62:63], vcc
	s_cbranch_execz .LBB6_4888
; %bb.4883:                             ;   in Loop: Header=BB6_4252 Depth=2
	v_bfe_u32 v2, v3, 23, 8
	v_sub_u32_e32 v6, 0x79, v2
	v_cmp_gt_u32_e32 vcc, s73, v2
	v_cndmask_b32_e32 v6, 0, v6, vcc
	v_cmp_eq_u32_e32 vcc, 0, v2
	v_or_b32_e32 v7, 0x800000, v52
	v_cndmask_b32_e32 v13, v6, v32, vcc
	v_add_u32_e32 v3, 0xffffff81, v2
	v_cndmask_b32_e32 v52, v7, v52, vcc
	v_add_u32_e32 v2, 20, v13
	v_cndmask_b32_e32 v12, v3, v33, vcc
	v_lshlrev_b64 v[2:3], v2, -1
	v_lshrrev_b64 v[8:9], v13, v[52:53]
	v_not_b32_e32 v3, v3
	v_not_b32_e32 v2, v2
	v_add_u32_e32 v6, 19, v13
	v_lshrrev_b32_e32 v16, 23, v8
	v_and_b32_e32 v3, 0, v3
	v_and_b32_e32 v2, v52, v2
	v_lshlrev_b64 v[6:7], v6, 1
	v_add3_u32 v16, v13, v12, v16
	v_bfe_u32 v12, v8, 20, 1
	v_add_u32_e32 v12, -1, v12
	v_cmp_eq_u64_e32 vcc, v[2:3], v[6:7]
	v_cndmask_b32_e32 v2, 0, v12, vcc
	v_add_u32_e32 v2, v2, v8
	v_and_b32_e32 v2, 0xfffff, v2
	v_add_co_u32_e32 v2, vcc, v2, v8
	v_add_u32_e32 v13, 6, v16
	v_addc_co_u32_e32 v3, vcc, 0, v9, vcc
	v_cmp_ne_u32_e32 vcc, 0, v13
                                        ; implicit-def: $vgpr12
	s_and_saveexec_b64 s[20:21], vcc
	s_xor_b64 s[20:21], exec, s[20:21]
; %bb.4884:                             ;   in Loop: Header=BB6_4252 Depth=2
	v_add_u32_e32 v6, 7, v16
	v_cmp_lt_u64_e32 vcc, s[46:47], v[2:3]
	v_cndmask_b32_e32 v12, v13, v6, vcc
	v_cndmask_b32_e64 v6, 0, 1, vcc
	v_lshrrev_b64 v[2:3], v6, v[2:3]
; %bb.4885:                             ;   in Loop: Header=BB6_4252 Depth=2
	s_andn2_saveexec_b64 s[20:21], s[20:21]
; %bb.4886:                             ;   in Loop: Header=BB6_4252 Depth=2
	v_bfe_u32 v12, v2, 23, 1
; %bb.4887:                             ;   in Loop: Header=BB6_4252 Depth=2
	s_or_b64 exec, exec, s[20:21]
	v_lshrrev_b64 v[2:3], 20, v[2:3]
	v_cmp_gt_i32_e32 vcc, 16, v12
	v_cndmask_b32_e32 v3, 0, v3, vcc
	v_cndmask_b32_e32 v2, 7, v2, vcc
	v_cmp_eq_u64_e64 s[20:21], 0, v[2:3]
	v_min_i32_e32 v3, 15, v12
	v_lshlrev_b32_e32 v3, 3, v3
	v_cmp_eq_u32_e32 vcc, 0, v12
	v_and_b32_e32 v3, 0xf8, v3
	v_and_or_b32 v2, v2, 7, v3
	s_and_b64 s[20:21], vcc, s[20:21]
	v_cndmask_b32_e64 v2, v2, 0, s[20:21]
	v_or_b32_e32 v2, v2, v10
.LBB6_4888:                             ;   in Loop: Header=BB6_4252 Depth=2
	s_or_b64 exec, exec, s[62:63]
.LBB6_4889:                             ;   in Loop: Header=BB6_4252 Depth=2
	s_or_b64 exec, exec, s[60:61]
                                        ; implicit-def: $vgpr3
.LBB6_4890:                             ;   in Loop: Header=BB6_4252 Depth=2
	s_andn2_saveexec_b64 s[20:21], s[58:59]
	s_cbranch_execz .LBB6_4251
; %bb.4891:                             ;   in Loop: Header=BB6_4252 Depth=2
	v_or_b32_sdwa v3, v3, s71 dst_sel:DWORD dst_unused:UNUSED_PAD src0_sel:BYTE_3 src1_sel:DWORD
	v_cmp_eq_u64_e32 vcc, 0, v[52:53]
	v_cndmask_b32_e32 v2, v3, v2, vcc
	s_branch .LBB6_4251
.LBB6_4892:                             ;   in Loop: Header=BB6_2894 Depth=1
	s_or_b64 exec, exec, s[54:55]
	v_accvgpr_read_b32 v8, a34
.LBB6_4893:                             ;   in Loop: Header=BB6_2894 Depth=1
	s_or_b64 exec, exec, s[52:53]
	v_and_b32_e32 v2, 15, v55
	v_cndmask_b32_e64 v18, v29, v2, s[18:19]
	v_cmp_ne_u32_e32 vcc, 0, v18
	s_mov_b64 s[20:21], 0
	v_mov_b32_e32 v17, 0
                                        ; implicit-def: $vgpr19
                                        ; implicit-def: $vgpr1
	s_and_saveexec_b64 s[52:53], vcc
	s_cbranch_execz .LBB6_4895
; %bb.4894:                             ;   in Loop: Header=BB6_2894 Depth=1
	v_sub_u32_e32 v2, v29, v2
	v_and_b32_e32 v1, 0x3ffffc00, v55
	v_cndmask_b32_e64 v2, 0, v2, s[18:19]
	v_add_u32_e32 v17, v2, v1
	v_cmp_lt_i32_e32 vcc, 0, v26
	v_accvgpr_read_b32 v2, a8
	v_cndmask_b32_e32 v1, 0, v2, vcc
	v_sub_u32_e32 v1, v1, v26
	v_lshl_add_u32 v19, v1, 6, v0
	v_ashrrev_i32_e32 v0, 31, v19
	v_lshrrev_b32_e32 v0, 26, v0
	v_add_u32_e32 v0, v19, v0
	s_mov_b64 s[20:21], exec
	v_ashrrev_i32_e32 v1, 6, v0
.LBB6_4895:                             ;   in Loop: Header=BB6_2894 Depth=1
	s_or_b64 exec, exec, s[52:53]
	s_and_b64 s[18:19], s[20:21], exec
.LBB6_4896:                             ;   in Loop: Header=BB6_2894 Depth=1
	s_or_b64 exec, exec, s[22:23]
	s_and_saveexec_b64 s[52:53], s[18:19]
	s_cbranch_execz .LBB6_5653
.LBB6_4897:                             ;   in Loop: Header=BB6_2894 Depth=1
	v_ashrrev_i32_e32 v0, 31, v18
	v_lshrrev_b32_e32 v0, 22, v0
	v_add_u32_e32 v0, v18, v0
	v_ashrrev_i32_e32 v21, 10, v0
	v_sub_u32_e32 v0, v21, v1
	v_ashrrev_i32_e32 v2, 31, v19
	v_cmp_lt_i32_e32 vcc, 0, v0
	v_lshrrev_b32_e32 v2, 26, v2
	s_and_saveexec_b64 s[22:23], vcc
	s_cbranch_execz .LBB6_5605
; %bb.4898:                             ;   in Loop: Header=BB6_2894 Depth=1
	v_accvgpr_write_b32 a37, v2
	v_add_u32_e32 v2, v19, v2
	v_and_b32_e32 v2, 0xffffffc0, v2
	s_trap 2
	v_sub_u32_e32 v6, v19, v2
	ds_read_b128 v[2:5], v0
	v_lshlrev_b32_e32 v1, 10, v1
	v_add3_u32 v1, v17, v6, v1
	ds_read_b64 v[6:7], v0
	v_ashrrev_i32_e32 v8, 31, v1
	s_waitcnt lgkmcnt(0)
	v_add_co_u32_e32 v10, vcc, v2, v1
	v_addc_co_u32_e32 v11, vcc, v3, v8, vcc
	v_add_co_u32_e32 v12, vcc, v4, v1
	v_addc_co_u32_e32 v13, vcc, v5, v8, vcc
	s_waitcnt lgkmcnt(0)
	v_add_co_u32_e32 v2, vcc, 0x3c0, v6
	v_addc_co_u32_e32 v3, vcc, 0, v7, vcc
	s_bitcmp1_b32 s64, 0
	v_add_co_u32_e32 v14, vcc, v2, v1
	v_accvgpr_write_b32 a36, v55
	v_accvgpr_write_b32 a35, v54
	s_cselect_b64 s[54:55], -1, 0
	v_addc_co_u32_e32 v15, vcc, v3, v8, vcc
	s_mov_b64 s[56:57], 0
	s_branch .LBB6_4900
.LBB6_4899:                             ;   in Loop: Header=BB6_4900 Depth=2
	s_or_b64 exec, exec, s[18:19]
	v_add_co_u32_e32 v6, vcc, 0xfffffc40, v14
	v_addc_co_u32_e32 v7, vcc, -1, v15, vcc
	flat_store_byte v[6:7], v24 glc slc
	v_add_co_u32_e32 v6, vcc, 0xfffffc80, v14
	v_addc_co_u32_e32 v7, vcc, -1, v15, vcc
	flat_store_byte v[6:7], v28 glc slc
	;; [unrolled: 3-line block ×13, first 2 shown]
	v_add_co_u32_e32 v6, vcc, 0xffffff80, v14
	v_addc_co_u32_e32 v7, vcc, -1, v15, vcc
	v_add_co_u32_e32 v4, vcc, s67, v14
	flat_store_byte v[6:7], v5 glc slc
	v_addc_co_u32_e32 v5, vcc, -1, v15, vcc
	v_add_co_u32_e32 v10, vcc, v10, v41
	v_addc_co_u32_e32 v11, vcc, v11, v60, vcc
	v_add_co_u32_e32 v12, vcc, v12, v41
	v_accvgpr_read_b32 v2, a8
	v_addc_co_u32_e32 v13, vcc, v13, v60, vcc
	v_sub_u32_e32 v0, v0, v2
	v_cmp_gt_i32_e32 vcc, 1, v0
	flat_store_byte v[4:5], v20 glc slc
	flat_store_byte v[14:15], v3 glc slc
	s_or_b64 s[56:57], vcc, s[56:57]
	v_add_co_u32_e32 v14, vcc, v14, v41
	v_addc_co_u32_e32 v15, vcc, v15, v60, vcc
	s_andn2_b64 exec, exec, s[56:57]
	s_cbranch_execz .LBB6_5604
.LBB6_4900:                             ;   Parent Loop BB6_2894 Depth=1
                                        ; =>  This Inner Loop Header: Depth=2
	flat_load_ubyte v16, v[10:11] glc slc
	flat_load_ubyte v20, v[10:11] offset:64 glc slc
	flat_load_ubyte v50, v[10:11] offset:128 glc slc
	;; [unrolled: 1-line block ×15, first 2 shown]
	flat_load_ubyte v3, v[12:13] glc slc
	flat_load_ubyte v28, v[12:13] offset:64 glc slc
	flat_load_ubyte v31, v[12:13] offset:128 glc slc
	;; [unrolled: 1-line block ×15, first 2 shown]
	s_and_b64 vcc, exec, s[54:55]
	s_waitcnt vmcnt(0) lgkmcnt(0)
	v_cmp_ne_u16_e64 s[18:19], 0, v16
	s_cbranch_vccz .LBB6_4914
; %bb.4901:                             ;   in Loop: Header=BB6_4900 Depth=2
	v_mov_b32_e32 v24, 0
	v_mov_b32_e32 v52, 0
	s_and_saveexec_b64 s[20:21], s[18:19]
	s_cbranch_execz .LBB6_4907
; %bb.4902:                             ;   in Loop: Header=BB6_4900 Depth=2
	v_cmp_ne_u16_e32 vcc, s69, v16
	v_bfrev_b32_e32 v52, 1
	s_and_saveexec_b64 s[58:59], vcc
	s_cbranch_execz .LBB6_4906
; %bb.4903:                             ;   in Loop: Header=BB6_4900 Depth=2
	v_and_b32_e32 v2, 0xffff, v16
	v_and_b32_e32 v38, 0x7f, v2
	v_cmp_ne_u32_e32 vcc, s71, v38
	v_mov_b32_e32 v52, 0x7f800001
	s_and_saveexec_b64 s[60:61], vcc
	s_cbranch_execz .LBB6_4905
; %bb.4904:                             ;   in Loop: Header=BB6_4900 Depth=2
	v_and_b32_e32 v8, 7, v2
	v_ffbh_u32_e32 v6, v8
	v_min_u32_e32 v32, 32, v6
	v_subrev_u32_e32 v6, 28, v32
	v_lshlrev_b64 v[6:7], v6, v[2:3]
	v_lshrrev_b32_e32 v9, 3, v38
	v_sub_u32_e32 v2, 29, v32
	v_and_b32_e32 v6, 7, v6
	v_cmp_gt_u32_e32 vcc, 8, v38
	v_cndmask_b32_e32 v2, v9, v2, vcc
	v_cndmask_b32_e32 v6, v8, v6, vcc
	v_lshlrev_b32_e32 v7, 24, v16
	v_lshlrev_b32_e32 v6, 20, v6
	v_and_b32_e32 v7, 0x80000000, v7
	v_lshl_add_u32 v2, v2, 23, v61
	v_mov_b32_e32 v32, 0x78
	v_or3_b32 v52, v7, v2, v6
.LBB6_4905:                             ;   in Loop: Header=BB6_4900 Depth=2
	s_or_b64 exec, exec, s[60:61]
.LBB6_4906:                             ;   in Loop: Header=BB6_4900 Depth=2
	s_or_b64 exec, exec, s[58:59]
.LBB6_4907:                             ;   in Loop: Header=BB6_4900 Depth=2
	s_or_b64 exec, exec, s[20:21]
	v_and_b32_e32 v2, 0xff, v3
	v_cmp_ne_u16_e32 vcc, 0, v2
	s_and_saveexec_b64 s[20:21], vcc
	s_cbranch_execz .LBB6_4913
; %bb.4908:                             ;   in Loop: Header=BB6_4900 Depth=2
	v_cmp_ne_u16_e32 vcc, s69, v2
	v_bfrev_b32_e32 v24, 1
	s_and_saveexec_b64 s[58:59], vcc
	s_cbranch_execz .LBB6_4912
; %bb.4909:                             ;   in Loop: Header=BB6_4900 Depth=2
	v_and_b32_e32 v38, 0x7f, v3
	v_cmp_ne_u32_e32 vcc, s71, v38
	v_mov_b32_e32 v24, 0x7f800001
	s_and_saveexec_b64 s[60:61], vcc
	s_cbranch_execz .LBB6_4911
; %bb.4910:                             ;   in Loop: Header=BB6_4900 Depth=2
	v_and_b32_e32 v8, 7, v2
	v_ffbh_u32_e32 v6, v8
	v_min_u32_e32 v24, 32, v6
	v_subrev_u32_e32 v6, 28, v24
	v_lshlrev_b64 v[6:7], v6, v[2:3]
	v_lshrrev_b32_e32 v9, 3, v38
	v_sub_u32_e32 v2, 29, v24
	v_and_b32_e32 v6, 7, v6
	v_cmp_gt_u32_e32 vcc, 8, v38
	v_cndmask_b32_e32 v2, v9, v2, vcc
	v_cndmask_b32_e32 v6, v8, v6, vcc
	v_lshlrev_b32_e32 v7, 24, v3
	v_lshlrev_b32_e32 v6, 20, v6
	v_and_b32_e32 v7, 0x80000000, v7
	v_lshl_add_u32 v2, v2, 23, v61
	v_or3_b32 v24, v7, v2, v6
.LBB6_4911:                             ;   in Loop: Header=BB6_4900 Depth=2
	s_or_b64 exec, exec, s[60:61]
.LBB6_4912:                             ;   in Loop: Header=BB6_4900 Depth=2
	s_or_b64 exec, exec, s[58:59]
.LBB6_4913:                             ;   in Loop: Header=BB6_4900 Depth=2
	s_or_b64 exec, exec, s[20:21]
	v_max_f32_e32 v2, v24, v24
	v_max_f32_e32 v6, v52, v52
	v_max_f32_e32 v2, v6, v2
	s_branch .LBB6_4928
.LBB6_4914:                             ;   in Loop: Header=BB6_4900 Depth=2
                                        ; implicit-def: $vgpr2
	s_cbranch_execz .LBB6_4928
; %bb.4915:                             ;   in Loop: Header=BB6_4900 Depth=2
	v_mov_b32_e32 v24, 0
	v_mov_b32_e32 v52, 0
	s_and_saveexec_b64 s[20:21], s[18:19]
	s_cbranch_execz .LBB6_4921
; %bb.4916:                             ;   in Loop: Header=BB6_4900 Depth=2
	v_cmp_ne_u16_e32 vcc, s69, v16
	v_bfrev_b32_e32 v52, 1
	s_and_saveexec_b64 s[18:19], vcc
	s_cbranch_execz .LBB6_4920
; %bb.4917:                             ;   in Loop: Header=BB6_4900 Depth=2
	v_and_b32_e32 v2, 0xffff, v16
	v_and_b32_e32 v38, 0x7f, v2
	v_cmp_ne_u32_e32 vcc, s71, v38
	v_mov_b32_e32 v52, 0x7f800001
	s_and_saveexec_b64 s[58:59], vcc
	s_cbranch_execz .LBB6_4919
; %bb.4918:                             ;   in Loop: Header=BB6_4900 Depth=2
	v_and_b32_e32 v8, 7, v2
	v_ffbh_u32_e32 v6, v8
	v_min_u32_e32 v32, 32, v6
	v_subrev_u32_e32 v6, 28, v32
	v_lshlrev_b64 v[6:7], v6, v[2:3]
	v_lshrrev_b32_e32 v9, 3, v38
	v_sub_u32_e32 v2, 29, v32
	v_and_b32_e32 v6, 7, v6
	v_cmp_gt_u32_e32 vcc, 8, v38
	v_cndmask_b32_e32 v2, v9, v2, vcc
	v_cndmask_b32_e32 v6, v8, v6, vcc
	v_lshlrev_b32_e32 v7, 24, v16
	v_lshlrev_b32_e32 v6, 20, v6
	v_and_b32_e32 v7, 0x80000000, v7
	v_lshl_add_u32 v2, v2, 23, v61
	v_mov_b32_e32 v32, 0x78
	v_or3_b32 v52, v7, v2, v6
.LBB6_4919:                             ;   in Loop: Header=BB6_4900 Depth=2
	s_or_b64 exec, exec, s[58:59]
.LBB6_4920:                             ;   in Loop: Header=BB6_4900 Depth=2
	s_or_b64 exec, exec, s[18:19]
.LBB6_4921:                             ;   in Loop: Header=BB6_4900 Depth=2
	s_or_b64 exec, exec, s[20:21]
	v_and_b32_e32 v2, 0xff, v3
	v_cmp_ne_u16_e32 vcc, 0, v2
	s_and_saveexec_b64 s[18:19], vcc
	s_cbranch_execz .LBB6_4927
; %bb.4922:                             ;   in Loop: Header=BB6_4900 Depth=2
	v_cmp_ne_u16_e32 vcc, s69, v2
	v_bfrev_b32_e32 v24, 1
	s_and_saveexec_b64 s[20:21], vcc
	s_cbranch_execz .LBB6_4926
; %bb.4923:                             ;   in Loop: Header=BB6_4900 Depth=2
	v_and_b32_e32 v16, 0x7f, v3
	v_cmp_ne_u32_e32 vcc, s71, v16
	v_mov_b32_e32 v24, 0x7f800001
	s_and_saveexec_b64 s[58:59], vcc
	s_cbranch_execz .LBB6_4925
; %bb.4924:                             ;   in Loop: Header=BB6_4900 Depth=2
	v_and_b32_e32 v8, 7, v2
	v_ffbh_u32_e32 v6, v8
	v_min_u32_e32 v24, 32, v6
	v_subrev_u32_e32 v6, 28, v24
	v_lshlrev_b64 v[6:7], v6, v[2:3]
	v_lshrrev_b32_e32 v9, 3, v16
	v_sub_u32_e32 v2, 29, v24
	v_and_b32_e32 v6, 7, v6
	v_cmp_gt_u32_e32 vcc, 8, v16
	v_cndmask_b32_e32 v2, v9, v2, vcc
	v_cndmask_b32_e32 v6, v8, v6, vcc
	v_lshlrev_b32_e32 v3, 24, v3
	v_lshlrev_b32_e32 v6, 20, v6
	v_and_b32_e32 v3, 0x80000000, v3
	v_lshl_add_u32 v2, v2, 23, v61
	v_or3_b32 v24, v3, v2, v6
.LBB6_4925:                             ;   in Loop: Header=BB6_4900 Depth=2
	s_or_b64 exec, exec, s[58:59]
.LBB6_4926:                             ;   in Loop: Header=BB6_4900 Depth=2
	s_or_b64 exec, exec, s[20:21]
.LBB6_4927:                             ;   in Loop: Header=BB6_4900 Depth=2
	s_or_b64 exec, exec, s[18:19]
	v_max_f32_e32 v2, v24, v24
	v_max_f32_e32 v3, v52, v52
	v_min_f32_e32 v2, v3, v2
.LBB6_4928:                             ;   in Loop: Header=BB6_4900 Depth=2
	v_and_b32_sdwa v16, v2, s69 dst_sel:DWORD dst_unused:UNUSED_PAD src0_sel:BYTE_3 src1_sel:DWORD
	v_and_b32_e32 v6, 0x7f800000, v2
	v_mov_b32_e32 v7, v53
	v_and_b32_e32 v52, 0x7fffff, v2
	v_or_b32_e32 v24, 0x7e, v16
	v_cmp_ne_u64_e32 vcc, s[40:41], v[6:7]
	s_and_saveexec_b64 s[18:19], vcc
	s_xor_b64 s[20:21], exec, s[18:19]
	s_cbranch_execz .LBB6_4942
; %bb.4929:                             ;   in Loop: Header=BB6_4900 Depth=2
	v_and_b32_e32 v6, 0x7fffffff, v2
	v_mov_b32_e32 v7, v53
	v_cmp_gt_u64_e32 vcc, s[42:43], v[6:7]
	s_and_saveexec_b64 s[18:19], vcc
	s_xor_b64 s[58:59], exec, s[18:19]
	s_cbranch_execz .LBB6_4941
; %bb.4930:                             ;   in Loop: Header=BB6_4900 Depth=2
	v_cmp_ne_u32_e32 vcc, 0, v2
	v_mov_b32_e32 v24, 0
	s_and_saveexec_b64 s[60:61], vcc
	s_cbranch_execz .LBB6_4940
; %bb.4931:                             ;   in Loop: Header=BB6_4900 Depth=2
	v_bfe_u32 v2, v2, 23, 8
	v_sub_u32_e32 v6, 0x79, v2
	v_cmp_gt_u32_e32 vcc, s73, v2
	v_add_u32_e32 v3, 0xffffff81, v2
	v_cndmask_b32_e32 v6, 0, v6, vcc
	v_cmp_eq_u32_e32 vcc, 0, v2
	v_mov_b32_e32 v2, 0x78
	v_or_b32_e32 v7, 0x800000, v52
	v_cndmask_b32_e32 v32, v6, v2, vcc
	v_cndmask_b32_e32 v52, v7, v52, vcc
	v_add_u32_e32 v2, 20, v32
	v_cndmask_b32_e32 v24, v3, v33, vcc
	v_lshlrev_b64 v[2:3], v2, -1
	v_lshrrev_b64 v[8:9], v32, v[52:53]
	v_not_b32_e32 v3, v3
	v_not_b32_e32 v2, v2
	v_add_u32_e32 v6, 19, v32
	v_lshrrev_b32_e32 v33, 23, v8
	v_and_b32_e32 v3, 0, v3
	v_and_b32_e32 v2, v52, v2
	v_lshlrev_b64 v[6:7], v6, 1
	v_add3_u32 v38, v32, v24, v33
	v_bfe_u32 v32, v8, 20, 1
	v_add_u32_e32 v32, -1, v32
	v_cmp_eq_u64_e32 vcc, v[2:3], v[6:7]
	v_cndmask_b32_e32 v2, 0, v32, vcc
	v_add_u32_e32 v2, v2, v8
	v_and_b32_e32 v2, 0xfffff, v2
	v_add_co_u32_e32 v2, vcc, v2, v8
	v_add_u32_e32 v24, 6, v38
	v_addc_co_u32_e32 v3, vcc, 0, v9, vcc
	v_cmp_ne_u32_e32 vcc, 0, v24
                                        ; implicit-def: $vgpr52
	s_and_saveexec_b64 s[18:19], vcc
	s_xor_b64 s[18:19], exec, s[18:19]
; %bb.4932:                             ;   in Loop: Header=BB6_4900 Depth=2
	v_add_u32_e32 v6, 7, v38
	v_cmp_lt_u64_e32 vcc, s[46:47], v[2:3]
	v_cndmask_b32_e32 v52, v24, v6, vcc
	v_cndmask_b32_e64 v6, 0, 1, vcc
	v_lshrrev_b64 v[2:3], v6, v[2:3]
; %bb.4933:                             ;   in Loop: Header=BB6_4900 Depth=2
	s_andn2_saveexec_b64 s[18:19], s[18:19]
; %bb.4934:                             ;   in Loop: Header=BB6_4900 Depth=2
	v_bfe_u32 v52, v2, 23, 1
; %bb.4935:                             ;   in Loop: Header=BB6_4900 Depth=2
	s_or_b64 exec, exec, s[18:19]
	v_lshrrev_b64 v[2:3], 20, v[2:3]
	v_cmp_gt_i32_e32 vcc, 16, v52
	v_cndmask_b32_e32 v3, 0, v3, vcc
	v_cndmask_b32_e32 v2, 7, v2, vcc
	v_cmp_ne_u32_e32 vcc, 0, v52
	v_cmp_ne_u64_e64 s[18:19], 0, v[2:3]
	s_or_b64 s[18:19], vcc, s[18:19]
                                        ; implicit-def: $vgpr24
	s_mov_b64 vcc, exec
	s_and_b64 s[62:63], vcc, s[18:19]
	s_xor_b64 s[18:19], s[62:63], vcc
	v_mov_b32_e32 v33, 0xffffff82
	v_mov_b32_e32 v32, 0x78
	s_mov_b64 exec, s[62:63]
; %bb.4936:                             ;   in Loop: Header=BB6_4900 Depth=2
	v_min_i32_e32 v3, 15, v52
	v_lshl_or_b32 v3, v3, 3, v16
	v_and_or_b32 v24, v2, 7, v3
                                        ; implicit-def: $vgpr16
; %bb.4937:                             ;   in Loop: Header=BB6_4900 Depth=2
	s_andn2_saveexec_b64 s[18:19], s[18:19]
; %bb.4938:                             ;   in Loop: Header=BB6_4900 Depth=2
	v_mov_b32_e32 v24, v16
; %bb.4939:                             ;   in Loop: Header=BB6_4900 Depth=2
	s_or_b64 exec, exec, s[18:19]
.LBB6_4940:                             ;   in Loop: Header=BB6_4900 Depth=2
	s_or_b64 exec, exec, s[60:61]
.LBB6_4941:                             ;   in Loop: Header=BB6_4900 Depth=2
	s_andn2_saveexec_b64 s[18:19], s[58:59]
	s_or_b64 exec, exec, s[18:19]
                                        ; implicit-def: $vgpr2
.LBB6_4942:                             ;   in Loop: Header=BB6_4900 Depth=2
	s_andn2_saveexec_b64 s[18:19], s[20:21]
; %bb.4943:                             ;   in Loop: Header=BB6_4900 Depth=2
	v_or_b32_sdwa v2, v2, s71 dst_sel:DWORD dst_unused:UNUSED_PAD src0_sel:BYTE_3 src1_sel:DWORD
	v_cmp_eq_u64_e32 vcc, 0, v[52:53]
	v_cndmask_b32_e32 v24, v2, v24, vcc
; %bb.4944:                             ;   in Loop: Header=BB6_4900 Depth=2
	s_or_b64 exec, exec, s[18:19]
	v_and_b32_e32 v2, 0xff, v20
	v_cndmask_b32_e64 v3, 0, 1, s[54:55]
	v_cmp_ne_u32_e64 s[18:19], 1, v3
	s_andn2_b64 vcc, exec, s[54:55]
	v_cmp_ne_u16_e64 s[20:21], 0, v2
	s_cbranch_vccnz .LBB6_4958
; %bb.4945:                             ;   in Loop: Header=BB6_4900 Depth=2
	v_mov_b32_e32 v52, 0
	v_mov_b32_e32 v3, 0
	s_and_saveexec_b64 s[58:59], s[20:21]
	s_cbranch_execz .LBB6_4951
; %bb.4946:                             ;   in Loop: Header=BB6_4900 Depth=2
	v_cmp_ne_u16_e32 vcc, s69, v2
	v_bfrev_b32_e32 v3, 1
	s_and_saveexec_b64 s[60:61], vcc
	s_cbranch_execz .LBB6_4950
; %bb.4947:                             ;   in Loop: Header=BB6_4900 Depth=2
	v_and_b32_e32 v16, 0x7f, v20
	v_cmp_ne_u32_e32 vcc, s71, v16
	v_mov_b32_e32 v3, 0x7f800001
	s_and_saveexec_b64 s[62:63], vcc
	s_cbranch_execz .LBB6_4949
; %bb.4948:                             ;   in Loop: Header=BB6_4900 Depth=2
	v_and_b32_e32 v3, 7, v2
	v_ffbh_u32_e32 v6, v3
	v_min_u32_e32 v9, 32, v6
	v_subrev_u32_e32 v6, 28, v9
	v_lshlrev_b64 v[6:7], v6, v[2:3]
	v_lshrrev_b32_e32 v8, 3, v16
	v_sub_u32_e32 v7, 29, v9
	v_and_b32_e32 v6, 7, v6
	v_cmp_gt_u32_e32 vcc, 8, v16
	v_cndmask_b32_e32 v7, v8, v7, vcc
	v_cndmask_b32_e32 v3, v3, v6, vcc
	v_lshlrev_b32_e32 v6, 24, v20
	v_lshlrev_b32_e32 v3, 20, v3
	v_and_b32_e32 v6, 0x80000000, v6
	v_lshl_add_u32 v7, v7, 23, v61
	v_or3_b32 v3, v6, v7, v3
.LBB6_4949:                             ;   in Loop: Header=BB6_4900 Depth=2
	s_or_b64 exec, exec, s[62:63]
.LBB6_4950:                             ;   in Loop: Header=BB6_4900 Depth=2
	s_or_b64 exec, exec, s[60:61]
.LBB6_4951:                             ;   in Loop: Header=BB6_4900 Depth=2
	s_or_b64 exec, exec, s[58:59]
	v_and_b32_e32 v16, 0xff, v28
	v_cmp_ne_u16_e32 vcc, 0, v16
	s_and_saveexec_b64 s[58:59], vcc
	s_cbranch_execz .LBB6_4957
; %bb.4952:                             ;   in Loop: Header=BB6_4900 Depth=2
	v_cmp_ne_u16_e32 vcc, s69, v16
	v_bfrev_b32_e32 v52, 1
	s_and_saveexec_b64 s[60:61], vcc
	s_cbranch_execz .LBB6_4956
; %bb.4953:                             ;   in Loop: Header=BB6_4900 Depth=2
	v_and_b32_e32 v38, 0x7f, v28
	v_cmp_ne_u32_e32 vcc, s71, v38
	v_mov_b32_e32 v52, 0x7f800001
	s_and_saveexec_b64 s[62:63], vcc
	s_cbranch_execz .LBB6_4955
; %bb.4954:                             ;   in Loop: Header=BB6_4900 Depth=2
	v_and_b32_e32 v8, 7, v16
	v_ffbh_u32_e32 v6, v8
	v_min_u32_e32 v32, 32, v6
	v_subrev_u32_e32 v6, 28, v32
	v_lshlrev_b64 v[6:7], v6, v[16:17]
	v_lshrrev_b32_e32 v9, 3, v38
	v_sub_u32_e32 v7, 29, v32
	v_and_b32_e32 v6, 7, v6
	v_cmp_gt_u32_e32 vcc, 8, v38
	v_cndmask_b32_e32 v7, v9, v7, vcc
	v_cndmask_b32_e32 v6, v8, v6, vcc
	v_lshlrev_b32_e32 v8, 24, v28
	v_lshlrev_b32_e32 v6, 20, v6
	v_and_b32_e32 v8, 0x80000000, v8
	v_lshl_add_u32 v7, v7, 23, v61
	v_mov_b32_e32 v32, 0x78
	v_or3_b32 v52, v8, v7, v6
.LBB6_4955:                             ;   in Loop: Header=BB6_4900 Depth=2
	s_or_b64 exec, exec, s[62:63]
.LBB6_4956:                             ;   in Loop: Header=BB6_4900 Depth=2
	s_or_b64 exec, exec, s[60:61]
.LBB6_4957:                             ;   in Loop: Header=BB6_4900 Depth=2
	s_or_b64 exec, exec, s[58:59]
	v_max_f32_e32 v6, v52, v52
	v_max_f32_e32 v3, v3, v3
	;; [unrolled: 1-line block ×3, first 2 shown]
	s_branch .LBB6_4972
.LBB6_4958:                             ;   in Loop: Header=BB6_4900 Depth=2
                                        ; implicit-def: $vgpr3
	s_cbranch_execz .LBB6_4972
; %bb.4959:                             ;   in Loop: Header=BB6_4900 Depth=2
	v_mov_b32_e32 v16, 0
	v_mov_b32_e32 v3, 0
	s_and_saveexec_b64 s[58:59], s[20:21]
	s_cbranch_execz .LBB6_4965
; %bb.4960:                             ;   in Loop: Header=BB6_4900 Depth=2
	v_cmp_ne_u16_e32 vcc, s69, v2
	v_bfrev_b32_e32 v3, 1
	s_and_saveexec_b64 s[20:21], vcc
	s_cbranch_execz .LBB6_4964
; %bb.4961:                             ;   in Loop: Header=BB6_4900 Depth=2
	v_and_b32_e32 v38, 0x7f, v20
	v_cmp_ne_u32_e32 vcc, s71, v38
	v_mov_b32_e32 v3, 0x7f800001
	s_and_saveexec_b64 s[60:61], vcc
	s_cbranch_execz .LBB6_4963
; %bb.4962:                             ;   in Loop: Header=BB6_4900 Depth=2
	v_and_b32_e32 v6, 7, v2
	v_ffbh_u32_e32 v3, v6
	v_min_u32_e32 v8, 32, v3
	v_subrev_u32_e32 v3, 28, v8
	v_lshlrev_b64 v[2:3], v3, v[2:3]
	v_lshrrev_b32_e32 v7, 3, v38
	v_sub_u32_e32 v3, 29, v8
	v_and_b32_e32 v2, 7, v2
	v_cmp_gt_u32_e32 vcc, 8, v38
	v_cndmask_b32_e32 v3, v7, v3, vcc
	v_cndmask_b32_e32 v2, v6, v2, vcc
	v_lshlrev_b32_e32 v6, 24, v20
	v_lshlrev_b32_e32 v2, 20, v2
	v_and_b32_e32 v6, 0x80000000, v6
	v_lshl_add_u32 v3, v3, 23, v61
	v_or3_b32 v3, v6, v3, v2
.LBB6_4963:                             ;   in Loop: Header=BB6_4900 Depth=2
	s_or_b64 exec, exec, s[60:61]
.LBB6_4964:                             ;   in Loop: Header=BB6_4900 Depth=2
	s_or_b64 exec, exec, s[20:21]
.LBB6_4965:                             ;   in Loop: Header=BB6_4900 Depth=2
	s_or_b64 exec, exec, s[58:59]
	v_and_b32_e32 v2, 0xff, v28
	v_cmp_ne_u16_e32 vcc, 0, v2
	s_and_saveexec_b64 s[20:21], vcc
	s_cbranch_execz .LBB6_4971
; %bb.4966:                             ;   in Loop: Header=BB6_4900 Depth=2
	v_cmp_ne_u16_e32 vcc, s69, v2
	v_bfrev_b32_e32 v16, 1
	s_and_saveexec_b64 s[58:59], vcc
	s_cbranch_execz .LBB6_4970
; %bb.4967:                             ;   in Loop: Header=BB6_4900 Depth=2
	v_and_b32_e32 v20, 0x7f, v28
	v_cmp_ne_u32_e32 vcc, s71, v20
	v_mov_b32_e32 v16, 0x7f800001
	s_and_saveexec_b64 s[60:61], vcc
	s_cbranch_execz .LBB6_4969
; %bb.4968:                             ;   in Loop: Header=BB6_4900 Depth=2
	v_and_b32_e32 v8, 7, v2
	v_ffbh_u32_e32 v6, v8
	v_min_u32_e32 v16, 32, v6
	v_subrev_u32_e32 v6, 28, v16
	v_lshlrev_b64 v[6:7], v6, v[2:3]
	v_lshrrev_b32_e32 v9, 3, v20
	v_sub_u32_e32 v2, 29, v16
	v_and_b32_e32 v6, 7, v6
	v_cmp_gt_u32_e32 vcc, 8, v20
	v_cndmask_b32_e32 v2, v9, v2, vcc
	v_cndmask_b32_e32 v6, v8, v6, vcc
	v_lshlrev_b32_e32 v7, 24, v28
	v_lshlrev_b32_e32 v6, 20, v6
	v_and_b32_e32 v7, 0x80000000, v7
	v_lshl_add_u32 v2, v2, 23, v61
	v_or3_b32 v16, v7, v2, v6
.LBB6_4969:                             ;   in Loop: Header=BB6_4900 Depth=2
	s_or_b64 exec, exec, s[60:61]
.LBB6_4970:                             ;   in Loop: Header=BB6_4900 Depth=2
	s_or_b64 exec, exec, s[58:59]
.LBB6_4971:                             ;   in Loop: Header=BB6_4900 Depth=2
	s_or_b64 exec, exec, s[20:21]
	v_max_f32_e32 v2, v16, v16
	v_max_f32_e32 v3, v3, v3
	v_min_f32_e32 v3, v3, v2
.LBB6_4972:                             ;   in Loop: Header=BB6_4900 Depth=2
	v_and_b32_sdwa v16, v3, s69 dst_sel:DWORD dst_unused:UNUSED_PAD src0_sel:BYTE_3 src1_sel:DWORD
	v_and_b32_e32 v6, 0x7f800000, v3
	v_mov_b32_e32 v7, v53
	v_and_b32_e32 v52, 0x7fffff, v3
	v_or_b32_e32 v28, 0x7e, v16
	v_cmp_ne_u64_e32 vcc, s[40:41], v[6:7]
	s_and_saveexec_b64 s[20:21], vcc
	s_xor_b64 s[58:59], exec, s[20:21]
	s_cbranch_execz .LBB6_4986
; %bb.4973:                             ;   in Loop: Header=BB6_4900 Depth=2
	v_and_b32_e32 v6, 0x7fffffff, v3
	v_mov_b32_e32 v7, v53
	v_cmp_gt_u64_e32 vcc, s[42:43], v[6:7]
	s_and_saveexec_b64 s[20:21], vcc
	s_xor_b64 s[60:61], exec, s[20:21]
	s_cbranch_execz .LBB6_4985
; %bb.4974:                             ;   in Loop: Header=BB6_4900 Depth=2
	v_cmp_ne_u32_e32 vcc, 0, v3
	v_mov_b32_e32 v28, 0
	s_and_saveexec_b64 s[62:63], vcc
	s_cbranch_execz .LBB6_4984
; %bb.4975:                             ;   in Loop: Header=BB6_4900 Depth=2
	v_bfe_u32 v2, v3, 23, 8
	v_sub_u32_e32 v6, 0x79, v2
	v_cmp_gt_u32_e32 vcc, s73, v2
	v_cndmask_b32_e32 v6, 0, v6, vcc
	v_cmp_eq_u32_e32 vcc, 0, v2
	v_or_b32_e32 v7, 0x800000, v52
	v_cndmask_b32_e32 v28, v6, v32, vcc
	v_add_u32_e32 v3, 0xffffff81, v2
	v_cndmask_b32_e32 v52, v7, v52, vcc
	v_add_u32_e32 v2, 20, v28
	v_cndmask_b32_e32 v20, v3, v33, vcc
	v_lshlrev_b64 v[2:3], v2, -1
	v_lshrrev_b64 v[8:9], v28, v[52:53]
	v_not_b32_e32 v3, v3
	v_not_b32_e32 v2, v2
	v_add_u32_e32 v6, 19, v28
	v_lshrrev_b32_e32 v32, 23, v8
	v_and_b32_e32 v3, 0, v3
	v_and_b32_e32 v2, v52, v2
	v_lshlrev_b64 v[6:7], v6, 1
	v_add3_u32 v38, v28, v20, v32
	v_bfe_u32 v20, v8, 20, 1
	v_add_u32_e32 v20, -1, v20
	v_cmp_eq_u64_e32 vcc, v[2:3], v[6:7]
	v_cndmask_b32_e32 v2, 0, v20, vcc
	v_add_u32_e32 v2, v2, v8
	v_and_b32_e32 v2, 0xfffff, v2
	v_add_co_u32_e32 v2, vcc, v2, v8
	v_add_u32_e32 v28, 6, v38
	v_addc_co_u32_e32 v3, vcc, 0, v9, vcc
	v_cmp_ne_u32_e32 vcc, 0, v28
                                        ; implicit-def: $vgpr20
	s_and_saveexec_b64 s[20:21], vcc
	s_xor_b64 s[20:21], exec, s[20:21]
; %bb.4976:                             ;   in Loop: Header=BB6_4900 Depth=2
	v_add_u32_e32 v6, 7, v38
	v_cmp_lt_u64_e32 vcc, s[46:47], v[2:3]
	v_cndmask_b32_e32 v20, v28, v6, vcc
	v_cndmask_b32_e64 v6, 0, 1, vcc
	v_lshrrev_b64 v[2:3], v6, v[2:3]
; %bb.4977:                             ;   in Loop: Header=BB6_4900 Depth=2
	s_andn2_saveexec_b64 s[20:21], s[20:21]
; %bb.4978:                             ;   in Loop: Header=BB6_4900 Depth=2
	v_bfe_u32 v20, v2, 23, 1
; %bb.4979:                             ;   in Loop: Header=BB6_4900 Depth=2
	s_or_b64 exec, exec, s[20:21]
	v_lshrrev_b64 v[2:3], 20, v[2:3]
	v_cmp_gt_i32_e32 vcc, 16, v20
	v_cndmask_b32_e32 v3, 0, v3, vcc
	v_cndmask_b32_e32 v2, 7, v2, vcc
	v_cmp_ne_u32_e32 vcc, 0, v20
	v_cmp_ne_u64_e64 s[20:21], 0, v[2:3]
	s_or_b64 s[20:21], vcc, s[20:21]
                                        ; implicit-def: $vgpr28
	s_mov_b64 vcc, exec
	s_and_b64 s[76:77], vcc, s[20:21]
	s_xor_b64 s[20:21], s[76:77], vcc
	v_mov_b32_e32 v32, 0x78
	s_mov_b64 exec, s[76:77]
; %bb.4980:                             ;   in Loop: Header=BB6_4900 Depth=2
	v_min_i32_e32 v3, 15, v20
	v_lshl_or_b32 v3, v3, 3, v16
	v_and_or_b32 v28, v2, 7, v3
                                        ; implicit-def: $vgpr16
; %bb.4981:                             ;   in Loop: Header=BB6_4900 Depth=2
	s_andn2_saveexec_b64 s[20:21], s[20:21]
; %bb.4982:                             ;   in Loop: Header=BB6_4900 Depth=2
	v_mov_b32_e32 v28, v16
; %bb.4983:                             ;   in Loop: Header=BB6_4900 Depth=2
	s_or_b64 exec, exec, s[20:21]
.LBB6_4984:                             ;   in Loop: Header=BB6_4900 Depth=2
	s_or_b64 exec, exec, s[62:63]
.LBB6_4985:                             ;   in Loop: Header=BB6_4900 Depth=2
	s_andn2_saveexec_b64 s[20:21], s[60:61]
	s_or_b64 exec, exec, s[20:21]
                                        ; implicit-def: $vgpr3
.LBB6_4986:                             ;   in Loop: Header=BB6_4900 Depth=2
	s_andn2_saveexec_b64 s[20:21], s[58:59]
; %bb.4987:                             ;   in Loop: Header=BB6_4900 Depth=2
	v_or_b32_sdwa v2, v3, s71 dst_sel:DWORD dst_unused:UNUSED_PAD src0_sel:BYTE_3 src1_sel:DWORD
	v_cmp_eq_u64_e32 vcc, 0, v[52:53]
	v_cndmask_b32_e32 v28, v2, v28, vcc
; %bb.4988:                             ;   in Loop: Header=BB6_4900 Depth=2
	s_or_b64 exec, exec, s[20:21]
	v_and_b32_e32 v2, 0xff, v50
	s_and_b64 vcc, exec, s[18:19]
	v_cmp_ne_u16_e64 s[20:21], 0, v2
	s_cbranch_vccnz .LBB6_5002
; %bb.4989:                             ;   in Loop: Header=BB6_4900 Depth=2
	v_mov_b32_e32 v20, 0
	v_mov_b32_e32 v3, 0
	s_and_saveexec_b64 s[58:59], s[20:21]
	s_cbranch_execz .LBB6_4995
; %bb.4990:                             ;   in Loop: Header=BB6_4900 Depth=2
	v_cmp_ne_u16_e32 vcc, s69, v2
	v_bfrev_b32_e32 v3, 1
	s_and_saveexec_b64 s[60:61], vcc
	s_cbranch_execz .LBB6_4994
; %bb.4991:                             ;   in Loop: Header=BB6_4900 Depth=2
	v_and_b32_e32 v16, 0x7f, v50
	v_cmp_ne_u32_e32 vcc, s71, v16
	v_mov_b32_e32 v3, 0x7f800001
	s_and_saveexec_b64 s[62:63], vcc
	s_cbranch_execz .LBB6_4993
; %bb.4992:                             ;   in Loop: Header=BB6_4900 Depth=2
	v_and_b32_e32 v3, 7, v2
	v_ffbh_u32_e32 v6, v3
	v_min_u32_e32 v9, 32, v6
	v_subrev_u32_e32 v6, 28, v9
	v_lshlrev_b64 v[6:7], v6, v[2:3]
	v_lshrrev_b32_e32 v8, 3, v16
	v_sub_u32_e32 v7, 29, v9
	v_and_b32_e32 v6, 7, v6
	v_cmp_gt_u32_e32 vcc, 8, v16
	v_cndmask_b32_e32 v7, v8, v7, vcc
	v_cndmask_b32_e32 v3, v3, v6, vcc
	v_lshlrev_b32_e32 v6, 24, v50
	v_lshlrev_b32_e32 v3, 20, v3
	v_and_b32_e32 v6, 0x80000000, v6
	v_lshl_add_u32 v7, v7, 23, v61
	v_or3_b32 v3, v6, v7, v3
.LBB6_4993:                             ;   in Loop: Header=BB6_4900 Depth=2
	s_or_b64 exec, exec, s[62:63]
.LBB6_4994:                             ;   in Loop: Header=BB6_4900 Depth=2
	s_or_b64 exec, exec, s[60:61]
.LBB6_4995:                             ;   in Loop: Header=BB6_4900 Depth=2
	s_or_b64 exec, exec, s[58:59]
	v_and_b32_e32 v16, 0xff, v31
	v_cmp_ne_u16_e32 vcc, 0, v16
	s_and_saveexec_b64 s[58:59], vcc
	s_cbranch_execz .LBB6_5001
; %bb.4996:                             ;   in Loop: Header=BB6_4900 Depth=2
	v_cmp_ne_u16_e32 vcc, s69, v16
	v_bfrev_b32_e32 v20, 1
	s_and_saveexec_b64 s[60:61], vcc
	s_cbranch_execz .LBB6_5000
; %bb.4997:                             ;   in Loop: Header=BB6_4900 Depth=2
	v_and_b32_e32 v38, 0x7f, v31
	v_cmp_ne_u32_e32 vcc, s71, v38
	v_mov_b32_e32 v20, 0x7f800001
	s_and_saveexec_b64 s[62:63], vcc
	s_cbranch_execz .LBB6_4999
; %bb.4998:                             ;   in Loop: Header=BB6_4900 Depth=2
	v_and_b32_e32 v8, 7, v16
	v_ffbh_u32_e32 v6, v8
	v_min_u32_e32 v20, 32, v6
	v_subrev_u32_e32 v6, 28, v20
	v_lshlrev_b64 v[6:7], v6, v[16:17]
	v_lshrrev_b32_e32 v9, 3, v38
	v_sub_u32_e32 v7, 29, v20
	v_and_b32_e32 v6, 7, v6
	v_cmp_gt_u32_e32 vcc, 8, v38
	v_cndmask_b32_e32 v7, v9, v7, vcc
	v_cndmask_b32_e32 v6, v8, v6, vcc
	v_lshlrev_b32_e32 v8, 24, v31
	v_lshlrev_b32_e32 v6, 20, v6
	v_and_b32_e32 v8, 0x80000000, v8
	v_lshl_add_u32 v7, v7, 23, v61
	v_or3_b32 v20, v8, v7, v6
.LBB6_4999:                             ;   in Loop: Header=BB6_4900 Depth=2
	s_or_b64 exec, exec, s[62:63]
.LBB6_5000:                             ;   in Loop: Header=BB6_4900 Depth=2
	s_or_b64 exec, exec, s[60:61]
.LBB6_5001:                             ;   in Loop: Header=BB6_4900 Depth=2
	s_or_b64 exec, exec, s[58:59]
	v_max_f32_e32 v6, v20, v20
	v_max_f32_e32 v3, v3, v3
	;; [unrolled: 1-line block ×3, first 2 shown]
	s_branch .LBB6_5016
.LBB6_5002:                             ;   in Loop: Header=BB6_4900 Depth=2
                                        ; implicit-def: $vgpr3
	s_cbranch_execz .LBB6_5016
; %bb.5003:                             ;   in Loop: Header=BB6_4900 Depth=2
	v_mov_b32_e32 v16, 0
	v_mov_b32_e32 v3, 0
	s_and_saveexec_b64 s[58:59], s[20:21]
	s_cbranch_execz .LBB6_5009
; %bb.5004:                             ;   in Loop: Header=BB6_4900 Depth=2
	v_cmp_ne_u16_e32 vcc, s69, v2
	v_bfrev_b32_e32 v3, 1
	s_and_saveexec_b64 s[20:21], vcc
	s_cbranch_execz .LBB6_5008
; %bb.5005:                             ;   in Loop: Header=BB6_4900 Depth=2
	v_and_b32_e32 v20, 0x7f, v50
	v_cmp_ne_u32_e32 vcc, s71, v20
	v_mov_b32_e32 v3, 0x7f800001
	s_and_saveexec_b64 s[60:61], vcc
	s_cbranch_execz .LBB6_5007
; %bb.5006:                             ;   in Loop: Header=BB6_4900 Depth=2
	v_and_b32_e32 v6, 7, v2
	v_ffbh_u32_e32 v3, v6
	v_min_u32_e32 v8, 32, v3
	v_subrev_u32_e32 v3, 28, v8
	v_lshlrev_b64 v[2:3], v3, v[2:3]
	v_lshrrev_b32_e32 v7, 3, v20
	v_sub_u32_e32 v3, 29, v8
	v_and_b32_e32 v2, 7, v2
	v_cmp_gt_u32_e32 vcc, 8, v20
	v_cndmask_b32_e32 v3, v7, v3, vcc
	v_cndmask_b32_e32 v2, v6, v2, vcc
	v_lshlrev_b32_e32 v6, 24, v50
	v_lshlrev_b32_e32 v2, 20, v2
	v_and_b32_e32 v6, 0x80000000, v6
	v_lshl_add_u32 v3, v3, 23, v61
	v_or3_b32 v3, v6, v3, v2
.LBB6_5007:                             ;   in Loop: Header=BB6_4900 Depth=2
	s_or_b64 exec, exec, s[60:61]
.LBB6_5008:                             ;   in Loop: Header=BB6_4900 Depth=2
	s_or_b64 exec, exec, s[20:21]
.LBB6_5009:                             ;   in Loop: Header=BB6_4900 Depth=2
	s_or_b64 exec, exec, s[58:59]
	v_and_b32_e32 v2, 0xff, v31
	v_cmp_ne_u16_e32 vcc, 0, v2
	s_and_saveexec_b64 s[20:21], vcc
	s_cbranch_execz .LBB6_5015
; %bb.5010:                             ;   in Loop: Header=BB6_4900 Depth=2
	v_cmp_ne_u16_e32 vcc, s69, v2
	v_bfrev_b32_e32 v16, 1
	s_and_saveexec_b64 s[58:59], vcc
	s_cbranch_execz .LBB6_5014
; %bb.5011:                             ;   in Loop: Header=BB6_4900 Depth=2
	v_and_b32_e32 v20, 0x7f, v31
	v_cmp_ne_u32_e32 vcc, s71, v20
	v_mov_b32_e32 v16, 0x7f800001
	s_and_saveexec_b64 s[60:61], vcc
	s_cbranch_execz .LBB6_5013
; %bb.5012:                             ;   in Loop: Header=BB6_4900 Depth=2
	v_and_b32_e32 v8, 7, v2
	v_ffbh_u32_e32 v6, v8
	v_min_u32_e32 v16, 32, v6
	v_subrev_u32_e32 v6, 28, v16
	v_lshlrev_b64 v[6:7], v6, v[2:3]
	v_lshrrev_b32_e32 v9, 3, v20
	v_sub_u32_e32 v2, 29, v16
	v_and_b32_e32 v6, 7, v6
	v_cmp_gt_u32_e32 vcc, 8, v20
	v_cndmask_b32_e32 v2, v9, v2, vcc
	v_cndmask_b32_e32 v6, v8, v6, vcc
	v_lshlrev_b32_e32 v7, 24, v31
	v_lshlrev_b32_e32 v6, 20, v6
	v_and_b32_e32 v7, 0x80000000, v7
	v_lshl_add_u32 v2, v2, 23, v61
	v_or3_b32 v16, v7, v2, v6
.LBB6_5013:                             ;   in Loop: Header=BB6_4900 Depth=2
	s_or_b64 exec, exec, s[60:61]
.LBB6_5014:                             ;   in Loop: Header=BB6_4900 Depth=2
	s_or_b64 exec, exec, s[58:59]
.LBB6_5015:                             ;   in Loop: Header=BB6_4900 Depth=2
	s_or_b64 exec, exec, s[20:21]
	v_max_f32_e32 v2, v16, v16
	v_max_f32_e32 v3, v3, v3
	v_min_f32_e32 v3, v3, v2
.LBB6_5016:                             ;   in Loop: Header=BB6_4900 Depth=2
	v_and_b32_sdwa v16, v3, s69 dst_sel:DWORD dst_unused:UNUSED_PAD src0_sel:BYTE_3 src1_sel:DWORD
	v_and_b32_e32 v6, 0x7f800000, v3
	v_mov_b32_e32 v7, v53
	v_and_b32_e32 v52, 0x7fffff, v3
	v_or_b32_e32 v31, 0x7e, v16
	v_cmp_ne_u64_e32 vcc, s[40:41], v[6:7]
	s_and_saveexec_b64 s[20:21], vcc
	s_xor_b64 s[58:59], exec, s[20:21]
	s_cbranch_execz .LBB6_5030
; %bb.5017:                             ;   in Loop: Header=BB6_4900 Depth=2
	v_and_b32_e32 v6, 0x7fffffff, v3
	v_mov_b32_e32 v7, v53
	v_cmp_gt_u64_e32 vcc, s[42:43], v[6:7]
	s_and_saveexec_b64 s[20:21], vcc
	s_xor_b64 s[60:61], exec, s[20:21]
	s_cbranch_execz .LBB6_5029
; %bb.5018:                             ;   in Loop: Header=BB6_4900 Depth=2
	v_cmp_ne_u32_e32 vcc, 0, v3
	v_mov_b32_e32 v31, 0
	s_and_saveexec_b64 s[62:63], vcc
	s_cbranch_execz .LBB6_5028
; %bb.5019:                             ;   in Loop: Header=BB6_4900 Depth=2
	v_bfe_u32 v2, v3, 23, 8
	v_sub_u32_e32 v6, 0x79, v2
	v_cmp_gt_u32_e32 vcc, s73, v2
	v_cndmask_b32_e32 v6, 0, v6, vcc
	v_cmp_eq_u32_e32 vcc, 0, v2
	v_or_b32_e32 v7, 0x800000, v52
	v_cndmask_b32_e32 v31, v6, v32, vcc
	v_add_u32_e32 v3, 0xffffff81, v2
	v_cndmask_b32_e32 v52, v7, v52, vcc
	v_add_u32_e32 v2, 20, v31
	v_cndmask_b32_e32 v20, v3, v33, vcc
	v_lshlrev_b64 v[2:3], v2, -1
	v_lshrrev_b64 v[8:9], v31, v[52:53]
	v_not_b32_e32 v3, v3
	v_not_b32_e32 v2, v2
	v_add_u32_e32 v6, 19, v31
	v_lshrrev_b32_e32 v32, 23, v8
	v_and_b32_e32 v3, 0, v3
	v_and_b32_e32 v2, v52, v2
	v_lshlrev_b64 v[6:7], v6, 1
	v_add3_u32 v38, v31, v20, v32
	v_bfe_u32 v20, v8, 20, 1
	v_add_u32_e32 v20, -1, v20
	v_cmp_eq_u64_e32 vcc, v[2:3], v[6:7]
	v_cndmask_b32_e32 v2, 0, v20, vcc
	v_add_u32_e32 v2, v2, v8
	v_and_b32_e32 v2, 0xfffff, v2
	v_add_co_u32_e32 v2, vcc, v2, v8
	v_add_u32_e32 v31, 6, v38
	v_addc_co_u32_e32 v3, vcc, 0, v9, vcc
	v_cmp_ne_u32_e32 vcc, 0, v31
                                        ; implicit-def: $vgpr20
	s_and_saveexec_b64 s[20:21], vcc
	s_xor_b64 s[20:21], exec, s[20:21]
; %bb.5020:                             ;   in Loop: Header=BB6_4900 Depth=2
	v_add_u32_e32 v6, 7, v38
	v_cmp_lt_u64_e32 vcc, s[46:47], v[2:3]
	v_cndmask_b32_e32 v20, v31, v6, vcc
	v_cndmask_b32_e64 v6, 0, 1, vcc
	v_lshrrev_b64 v[2:3], v6, v[2:3]
; %bb.5021:                             ;   in Loop: Header=BB6_4900 Depth=2
	s_andn2_saveexec_b64 s[20:21], s[20:21]
; %bb.5022:                             ;   in Loop: Header=BB6_4900 Depth=2
	v_bfe_u32 v20, v2, 23, 1
; %bb.5023:                             ;   in Loop: Header=BB6_4900 Depth=2
	s_or_b64 exec, exec, s[20:21]
	v_lshrrev_b64 v[2:3], 20, v[2:3]
	v_cmp_gt_i32_e32 vcc, 16, v20
	v_cndmask_b32_e32 v3, 0, v3, vcc
	v_cndmask_b32_e32 v2, 7, v2, vcc
	v_cmp_ne_u32_e32 vcc, 0, v20
	v_cmp_ne_u64_e64 s[20:21], 0, v[2:3]
	s_or_b64 s[20:21], vcc, s[20:21]
                                        ; implicit-def: $vgpr31
	s_mov_b64 vcc, exec
	s_and_b64 s[76:77], vcc, s[20:21]
	s_xor_b64 s[20:21], s[76:77], vcc
	v_mov_b32_e32 v32, 0x78
	s_mov_b64 exec, s[76:77]
; %bb.5024:                             ;   in Loop: Header=BB6_4900 Depth=2
	v_min_i32_e32 v3, 15, v20
	v_lshl_or_b32 v3, v3, 3, v16
	v_and_or_b32 v31, v2, 7, v3
                                        ; implicit-def: $vgpr16
; %bb.5025:                             ;   in Loop: Header=BB6_4900 Depth=2
	s_andn2_saveexec_b64 s[20:21], s[20:21]
; %bb.5026:                             ;   in Loop: Header=BB6_4900 Depth=2
	v_mov_b32_e32 v31, v16
; %bb.5027:                             ;   in Loop: Header=BB6_4900 Depth=2
	s_or_b64 exec, exec, s[20:21]
.LBB6_5028:                             ;   in Loop: Header=BB6_4900 Depth=2
	s_or_b64 exec, exec, s[62:63]
.LBB6_5029:                             ;   in Loop: Header=BB6_4900 Depth=2
	s_andn2_saveexec_b64 s[20:21], s[60:61]
	s_or_b64 exec, exec, s[20:21]
                                        ; implicit-def: $vgpr3
.LBB6_5030:                             ;   in Loop: Header=BB6_4900 Depth=2
	s_andn2_saveexec_b64 s[20:21], s[58:59]
; %bb.5031:                             ;   in Loop: Header=BB6_4900 Depth=2
	v_or_b32_sdwa v2, v3, s71 dst_sel:DWORD dst_unused:UNUSED_PAD src0_sel:BYTE_3 src1_sel:DWORD
	v_cmp_eq_u64_e32 vcc, 0, v[52:53]
	v_cndmask_b32_e32 v31, v2, v31, vcc
; %bb.5032:                             ;   in Loop: Header=BB6_4900 Depth=2
	s_or_b64 exec, exec, s[20:21]
	v_and_b32_e32 v2, 0xff, v5
	s_and_b64 vcc, exec, s[18:19]
	v_cmp_ne_u16_e64 s[20:21], 0, v2
	s_cbranch_vccnz .LBB6_5046
; %bb.5033:                             ;   in Loop: Header=BB6_4900 Depth=2
	v_mov_b32_e32 v20, 0
	v_mov_b32_e32 v3, 0
	s_and_saveexec_b64 s[58:59], s[20:21]
	s_cbranch_execz .LBB6_5039
; %bb.5034:                             ;   in Loop: Header=BB6_4900 Depth=2
	v_cmp_ne_u16_e32 vcc, s69, v2
	v_bfrev_b32_e32 v3, 1
	s_and_saveexec_b64 s[60:61], vcc
	s_cbranch_execz .LBB6_5038
; %bb.5035:                             ;   in Loop: Header=BB6_4900 Depth=2
	v_and_b32_e32 v16, 0x7f, v5
	v_cmp_ne_u32_e32 vcc, s71, v16
	v_mov_b32_e32 v3, 0x7f800001
	s_and_saveexec_b64 s[62:63], vcc
	s_cbranch_execz .LBB6_5037
; %bb.5036:                             ;   in Loop: Header=BB6_4900 Depth=2
	v_and_b32_e32 v3, 7, v2
	v_ffbh_u32_e32 v6, v3
	v_min_u32_e32 v9, 32, v6
	v_subrev_u32_e32 v6, 28, v9
	v_lshlrev_b64 v[6:7], v6, v[2:3]
	v_lshrrev_b32_e32 v8, 3, v16
	v_sub_u32_e32 v7, 29, v9
	v_and_b32_e32 v6, 7, v6
	v_cmp_gt_u32_e32 vcc, 8, v16
	v_cndmask_b32_e32 v7, v8, v7, vcc
	v_cndmask_b32_e32 v3, v3, v6, vcc
	v_lshlrev_b32_e32 v6, 24, v5
	v_lshlrev_b32_e32 v3, 20, v3
	v_and_b32_e32 v6, 0x80000000, v6
	v_lshl_add_u32 v7, v7, 23, v61
	v_or3_b32 v3, v6, v7, v3
.LBB6_5037:                             ;   in Loop: Header=BB6_4900 Depth=2
	s_or_b64 exec, exec, s[62:63]
.LBB6_5038:                             ;   in Loop: Header=BB6_4900 Depth=2
	s_or_b64 exec, exec, s[60:61]
.LBB6_5039:                             ;   in Loop: Header=BB6_4900 Depth=2
	s_or_b64 exec, exec, s[58:59]
	v_and_b32_e32 v16, 0xff, v4
	v_cmp_ne_u16_e32 vcc, 0, v16
	s_and_saveexec_b64 s[58:59], vcc
	s_cbranch_execz .LBB6_5045
; %bb.5040:                             ;   in Loop: Header=BB6_4900 Depth=2
	v_cmp_ne_u16_e32 vcc, s69, v16
	v_bfrev_b32_e32 v20, 1
	s_and_saveexec_b64 s[60:61], vcc
	s_cbranch_execz .LBB6_5044
; %bb.5041:                             ;   in Loop: Header=BB6_4900 Depth=2
	v_and_b32_e32 v38, 0x7f, v4
	v_cmp_ne_u32_e32 vcc, s71, v38
	v_mov_b32_e32 v20, 0x7f800001
	s_and_saveexec_b64 s[62:63], vcc
	s_cbranch_execz .LBB6_5043
; %bb.5042:                             ;   in Loop: Header=BB6_4900 Depth=2
	v_and_b32_e32 v8, 7, v16
	v_ffbh_u32_e32 v6, v8
	v_min_u32_e32 v20, 32, v6
	v_subrev_u32_e32 v6, 28, v20
	v_lshlrev_b64 v[6:7], v6, v[16:17]
	v_lshrrev_b32_e32 v9, 3, v38
	v_sub_u32_e32 v7, 29, v20
	v_and_b32_e32 v6, 7, v6
	v_cmp_gt_u32_e32 vcc, 8, v38
	v_cndmask_b32_e32 v7, v9, v7, vcc
	v_cndmask_b32_e32 v6, v8, v6, vcc
	v_lshlrev_b32_e32 v8, 24, v4
	v_lshlrev_b32_e32 v6, 20, v6
	v_and_b32_e32 v8, 0x80000000, v8
	v_lshl_add_u32 v7, v7, 23, v61
	v_or3_b32 v20, v8, v7, v6
.LBB6_5043:                             ;   in Loop: Header=BB6_4900 Depth=2
	s_or_b64 exec, exec, s[62:63]
.LBB6_5044:                             ;   in Loop: Header=BB6_4900 Depth=2
	s_or_b64 exec, exec, s[60:61]
.LBB6_5045:                             ;   in Loop: Header=BB6_4900 Depth=2
	s_or_b64 exec, exec, s[58:59]
	v_max_f32_e32 v6, v20, v20
	v_max_f32_e32 v3, v3, v3
	v_max_f32_e32 v3, v3, v6
	s_branch .LBB6_5060
.LBB6_5046:                             ;   in Loop: Header=BB6_4900 Depth=2
                                        ; implicit-def: $vgpr3
	s_cbranch_execz .LBB6_5060
; %bb.5047:                             ;   in Loop: Header=BB6_4900 Depth=2
	v_mov_b32_e32 v16, 0
	v_mov_b32_e32 v3, 0
	s_and_saveexec_b64 s[58:59], s[20:21]
	s_cbranch_execz .LBB6_5053
; %bb.5048:                             ;   in Loop: Header=BB6_4900 Depth=2
	v_cmp_ne_u16_e32 vcc, s69, v2
	v_bfrev_b32_e32 v3, 1
	s_and_saveexec_b64 s[20:21], vcc
	s_cbranch_execz .LBB6_5052
; %bb.5049:                             ;   in Loop: Header=BB6_4900 Depth=2
	v_and_b32_e32 v20, 0x7f, v5
	v_cmp_ne_u32_e32 vcc, s71, v20
	v_mov_b32_e32 v3, 0x7f800001
	s_and_saveexec_b64 s[60:61], vcc
	s_cbranch_execz .LBB6_5051
; %bb.5050:                             ;   in Loop: Header=BB6_4900 Depth=2
	v_and_b32_e32 v6, 7, v2
	v_ffbh_u32_e32 v3, v6
	v_min_u32_e32 v8, 32, v3
	v_subrev_u32_e32 v3, 28, v8
	v_lshlrev_b64 v[2:3], v3, v[2:3]
	v_lshrrev_b32_e32 v7, 3, v20
	v_sub_u32_e32 v3, 29, v8
	v_and_b32_e32 v2, 7, v2
	v_cmp_gt_u32_e32 vcc, 8, v20
	v_cndmask_b32_e32 v3, v7, v3, vcc
	v_cndmask_b32_e32 v2, v6, v2, vcc
	v_lshlrev_b32_e32 v5, 24, v5
	v_lshlrev_b32_e32 v2, 20, v2
	v_and_b32_e32 v5, 0x80000000, v5
	v_lshl_add_u32 v3, v3, 23, v61
	v_or3_b32 v3, v5, v3, v2
.LBB6_5051:                             ;   in Loop: Header=BB6_4900 Depth=2
	s_or_b64 exec, exec, s[60:61]
.LBB6_5052:                             ;   in Loop: Header=BB6_4900 Depth=2
	s_or_b64 exec, exec, s[20:21]
.LBB6_5053:                             ;   in Loop: Header=BB6_4900 Depth=2
	s_or_b64 exec, exec, s[58:59]
	v_and_b32_e32 v2, 0xff, v4
	v_cmp_ne_u16_e32 vcc, 0, v2
	s_and_saveexec_b64 s[20:21], vcc
	s_cbranch_execz .LBB6_5059
; %bb.5054:                             ;   in Loop: Header=BB6_4900 Depth=2
	v_cmp_ne_u16_e32 vcc, s69, v2
	v_bfrev_b32_e32 v16, 1
	s_and_saveexec_b64 s[58:59], vcc
	s_cbranch_execz .LBB6_5058
; %bb.5055:                             ;   in Loop: Header=BB6_4900 Depth=2
	v_and_b32_e32 v5, 0x7f, v4
	v_cmp_ne_u32_e32 vcc, s71, v5
	v_mov_b32_e32 v16, 0x7f800001
	s_and_saveexec_b64 s[60:61], vcc
	s_cbranch_execz .LBB6_5057
; %bb.5056:                             ;   in Loop: Header=BB6_4900 Depth=2
	v_and_b32_e32 v8, 7, v2
	v_ffbh_u32_e32 v6, v8
	v_min_u32_e32 v16, 32, v6
	v_subrev_u32_e32 v6, 28, v16
	v_lshlrev_b64 v[6:7], v6, v[2:3]
	v_lshrrev_b32_e32 v9, 3, v5
	v_sub_u32_e32 v2, 29, v16
	v_and_b32_e32 v6, 7, v6
	v_cmp_gt_u32_e32 vcc, 8, v5
	v_cndmask_b32_e32 v2, v9, v2, vcc
	v_cndmask_b32_e32 v5, v8, v6, vcc
	v_lshlrev_b32_e32 v4, 24, v4
	v_lshlrev_b32_e32 v5, 20, v5
	v_and_b32_e32 v4, 0x80000000, v4
	v_lshl_add_u32 v2, v2, 23, v61
	v_or3_b32 v16, v4, v2, v5
.LBB6_5057:                             ;   in Loop: Header=BB6_4900 Depth=2
	s_or_b64 exec, exec, s[60:61]
.LBB6_5058:                             ;   in Loop: Header=BB6_4900 Depth=2
	s_or_b64 exec, exec, s[58:59]
.LBB6_5059:                             ;   in Loop: Header=BB6_4900 Depth=2
	s_or_b64 exec, exec, s[20:21]
	v_max_f32_e32 v2, v16, v16
	v_max_f32_e32 v3, v3, v3
	v_min_f32_e32 v3, v3, v2
.LBB6_5060:                             ;   in Loop: Header=BB6_4900 Depth=2
	v_and_b32_sdwa v4, v3, s69 dst_sel:DWORD dst_unused:UNUSED_PAD src0_sel:BYTE_3 src1_sel:DWORD
	v_and_b32_e32 v6, 0x7f800000, v3
	v_mov_b32_e32 v7, v53
	v_and_b32_e32 v52, 0x7fffff, v3
	v_or_b32_e32 v50, 0x7e, v4
	v_cmp_ne_u64_e32 vcc, s[40:41], v[6:7]
	s_and_saveexec_b64 s[20:21], vcc
	s_xor_b64 s[58:59], exec, s[20:21]
	s_cbranch_execz .LBB6_5074
; %bb.5061:                             ;   in Loop: Header=BB6_4900 Depth=2
	v_and_b32_e32 v6, 0x7fffffff, v3
	v_mov_b32_e32 v7, v53
	v_cmp_gt_u64_e32 vcc, s[42:43], v[6:7]
	s_and_saveexec_b64 s[20:21], vcc
	s_xor_b64 s[60:61], exec, s[20:21]
	s_cbranch_execz .LBB6_5073
; %bb.5062:                             ;   in Loop: Header=BB6_4900 Depth=2
	v_cmp_ne_u32_e32 vcc, 0, v3
	v_mov_b32_e32 v50, 0
	s_and_saveexec_b64 s[62:63], vcc
	s_cbranch_execz .LBB6_5072
; %bb.5063:                             ;   in Loop: Header=BB6_4900 Depth=2
	v_bfe_u32 v2, v3, 23, 8
	v_sub_u32_e32 v5, 0x79, v2
	v_cmp_gt_u32_e32 vcc, s73, v2
	v_cndmask_b32_e32 v5, 0, v5, vcc
	v_cmp_eq_u32_e32 vcc, 0, v2
	v_or_b32_e32 v6, 0x800000, v52
	v_cndmask_b32_e32 v5, v5, v32, vcc
	v_add_u32_e32 v3, 0xffffff81, v2
	v_cndmask_b32_e32 v52, v6, v52, vcc
	v_add_u32_e32 v2, 20, v5
	v_cndmask_b32_e32 v16, v3, v33, vcc
	v_lshlrev_b64 v[2:3], v2, -1
	v_lshrrev_b64 v[8:9], v5, v[52:53]
	v_not_b32_e32 v3, v3
	v_not_b32_e32 v2, v2
	v_add_u32_e32 v6, 19, v5
	v_lshrrev_b32_e32 v20, 23, v8
	v_and_b32_e32 v3, 0, v3
	v_and_b32_e32 v2, v52, v2
	v_lshlrev_b64 v[6:7], v6, 1
	v_add3_u32 v20, v5, v16, v20
	v_bfe_u32 v5, v8, 20, 1
	v_add_u32_e32 v5, -1, v5
	v_cmp_eq_u64_e32 vcc, v[2:3], v[6:7]
	v_cndmask_b32_e32 v2, 0, v5, vcc
	v_add_u32_e32 v2, v2, v8
	v_and_b32_e32 v2, 0xfffff, v2
	v_add_co_u32_e32 v2, vcc, v2, v8
	v_add_u32_e32 v16, 6, v20
	v_addc_co_u32_e32 v3, vcc, 0, v9, vcc
	v_cmp_ne_u32_e32 vcc, 0, v16
                                        ; implicit-def: $vgpr5
	s_and_saveexec_b64 s[20:21], vcc
	s_xor_b64 s[20:21], exec, s[20:21]
; %bb.5064:                             ;   in Loop: Header=BB6_4900 Depth=2
	v_cmp_lt_u64_e32 vcc, s[46:47], v[2:3]
	v_add_u32_e32 v5, 7, v20
	v_cndmask_b32_e64 v6, 0, 1, vcc
	v_cndmask_b32_e32 v5, v16, v5, vcc
	v_lshrrev_b64 v[2:3], v6, v[2:3]
; %bb.5065:                             ;   in Loop: Header=BB6_4900 Depth=2
	s_andn2_saveexec_b64 s[20:21], s[20:21]
; %bb.5066:                             ;   in Loop: Header=BB6_4900 Depth=2
	v_bfe_u32 v5, v2, 23, 1
; %bb.5067:                             ;   in Loop: Header=BB6_4900 Depth=2
	s_or_b64 exec, exec, s[20:21]
	v_lshrrev_b64 v[2:3], 20, v[2:3]
	v_cmp_gt_i32_e32 vcc, 16, v5
	v_cndmask_b32_e32 v3, 0, v3, vcc
	v_cndmask_b32_e32 v2, 7, v2, vcc
	v_cmp_ne_u32_e32 vcc, 0, v5
	v_cmp_ne_u64_e64 s[20:21], 0, v[2:3]
	s_or_b64 s[20:21], vcc, s[20:21]
                                        ; implicit-def: $vgpr50
	s_and_saveexec_b64 vcc, s[20:21]
	s_xor_b64 s[20:21], exec, vcc
; %bb.5068:                             ;   in Loop: Header=BB6_4900 Depth=2
	v_min_i32_e32 v3, 15, v5
	v_lshl_or_b32 v3, v3, 3, v4
	v_and_or_b32 v50, v2, 7, v3
                                        ; implicit-def: $vgpr4
; %bb.5069:                             ;   in Loop: Header=BB6_4900 Depth=2
	s_andn2_saveexec_b64 s[20:21], s[20:21]
; %bb.5070:                             ;   in Loop: Header=BB6_4900 Depth=2
	v_mov_b32_e32 v50, v4
; %bb.5071:                             ;   in Loop: Header=BB6_4900 Depth=2
	s_or_b64 exec, exec, s[20:21]
.LBB6_5072:                             ;   in Loop: Header=BB6_4900 Depth=2
	s_or_b64 exec, exec, s[62:63]
.LBB6_5073:                             ;   in Loop: Header=BB6_4900 Depth=2
	s_andn2_saveexec_b64 s[20:21], s[60:61]
	s_or_b64 exec, exec, s[20:21]
                                        ; implicit-def: $vgpr3
.LBB6_5074:                             ;   in Loop: Header=BB6_4900 Depth=2
	s_andn2_saveexec_b64 s[20:21], s[58:59]
; %bb.5075:                             ;   in Loop: Header=BB6_4900 Depth=2
	v_or_b32_sdwa v2, v3, s71 dst_sel:DWORD dst_unused:UNUSED_PAD src0_sel:BYTE_3 src1_sel:DWORD
	v_cmp_eq_u64_e32 vcc, 0, v[52:53]
	v_cndmask_b32_e32 v50, v2, v50, vcc
; %bb.5076:                             ;   in Loop: Header=BB6_4900 Depth=2
	s_or_b64 exec, exec, s[20:21]
	v_and_b32_e32 v2, 0xff, v44
	s_and_b64 vcc, exec, s[18:19]
	v_cmp_ne_u16_e64 s[20:21], 0, v2
	s_cbranch_vccnz .LBB6_5090
; %bb.5077:                             ;   in Loop: Header=BB6_4900 Depth=2
	v_mov_b32_e32 v4, 0
	v_mov_b32_e32 v3, 0
	s_and_saveexec_b64 s[58:59], s[20:21]
	s_cbranch_execz .LBB6_5083
; %bb.5078:                             ;   in Loop: Header=BB6_4900 Depth=2
	v_cmp_ne_u16_e32 vcc, s69, v2
	v_bfrev_b32_e32 v3, 1
	s_and_saveexec_b64 s[60:61], vcc
	s_cbranch_execz .LBB6_5082
; %bb.5079:                             ;   in Loop: Header=BB6_4900 Depth=2
	v_and_b32_e32 v5, 0x7f, v44
	v_cmp_ne_u32_e32 vcc, s71, v5
	v_mov_b32_e32 v3, 0x7f800001
	s_and_saveexec_b64 s[62:63], vcc
	s_cbranch_execz .LBB6_5081
; %bb.5080:                             ;   in Loop: Header=BB6_4900 Depth=2
	v_and_b32_e32 v3, 7, v2
	v_ffbh_u32_e32 v6, v3
	v_min_u32_e32 v9, 32, v6
	v_subrev_u32_e32 v6, 28, v9
	v_lshlrev_b64 v[6:7], v6, v[2:3]
	v_lshrrev_b32_e32 v8, 3, v5
	v_sub_u32_e32 v7, 29, v9
	v_and_b32_e32 v6, 7, v6
	v_cmp_gt_u32_e32 vcc, 8, v5
	v_cndmask_b32_e32 v5, v8, v7, vcc
	v_cndmask_b32_e32 v3, v3, v6, vcc
	v_lshlrev_b32_e32 v6, 24, v44
	v_lshlrev_b32_e32 v3, 20, v3
	v_and_b32_e32 v6, 0x80000000, v6
	v_lshl_add_u32 v5, v5, 23, v61
	v_or3_b32 v3, v6, v5, v3
.LBB6_5081:                             ;   in Loop: Header=BB6_4900 Depth=2
	s_or_b64 exec, exec, s[62:63]
.LBB6_5082:                             ;   in Loop: Header=BB6_4900 Depth=2
	s_or_b64 exec, exec, s[60:61]
.LBB6_5083:                             ;   in Loop: Header=BB6_4900 Depth=2
	s_or_b64 exec, exec, s[58:59]
	v_and_b32_e32 v16, 0xff, v55
	v_cmp_ne_u16_e32 vcc, 0, v16
	s_and_saveexec_b64 s[58:59], vcc
	s_cbranch_execz .LBB6_5089
; %bb.5084:                             ;   in Loop: Header=BB6_4900 Depth=2
	v_cmp_ne_u16_e32 vcc, s69, v16
	v_bfrev_b32_e32 v4, 1
	s_and_saveexec_b64 s[60:61], vcc
	s_cbranch_execz .LBB6_5088
; %bb.5085:                             ;   in Loop: Header=BB6_4900 Depth=2
	v_and_b32_e32 v5, 0x7f, v55
	v_cmp_ne_u32_e32 vcc, s71, v5
	v_mov_b32_e32 v4, 0x7f800001
	s_and_saveexec_b64 s[62:63], vcc
	s_cbranch_execz .LBB6_5087
; %bb.5086:                             ;   in Loop: Header=BB6_4900 Depth=2
	v_and_b32_e32 v4, 7, v16
	v_ffbh_u32_e32 v6, v4
	v_min_u32_e32 v9, 32, v6
	v_subrev_u32_e32 v6, 28, v9
	v_lshlrev_b64 v[6:7], v6, v[16:17]
	v_lshrrev_b32_e32 v8, 3, v5
	v_sub_u32_e32 v7, 29, v9
	v_and_b32_e32 v6, 7, v6
	v_cmp_gt_u32_e32 vcc, 8, v5
	v_cndmask_b32_e32 v5, v8, v7, vcc
	v_cndmask_b32_e32 v4, v4, v6, vcc
	v_lshlrev_b32_e32 v6, 24, v55
	v_lshlrev_b32_e32 v4, 20, v4
	v_and_b32_e32 v6, 0x80000000, v6
	v_lshl_add_u32 v5, v5, 23, v61
	v_or3_b32 v4, v6, v5, v4
.LBB6_5087:                             ;   in Loop: Header=BB6_4900 Depth=2
	s_or_b64 exec, exec, s[62:63]
.LBB6_5088:                             ;   in Loop: Header=BB6_4900 Depth=2
	s_or_b64 exec, exec, s[60:61]
.LBB6_5089:                             ;   in Loop: Header=BB6_4900 Depth=2
	s_or_b64 exec, exec, s[58:59]
	v_max_f32_e32 v4, v4, v4
	v_max_f32_e32 v3, v3, v3
	;; [unrolled: 1-line block ×3, first 2 shown]
	s_branch .LBB6_5104
.LBB6_5090:                             ;   in Loop: Header=BB6_4900 Depth=2
                                        ; implicit-def: $vgpr3
	s_cbranch_execz .LBB6_5104
; %bb.5091:                             ;   in Loop: Header=BB6_4900 Depth=2
	v_mov_b32_e32 v4, 0
	v_mov_b32_e32 v3, 0
	s_and_saveexec_b64 s[58:59], s[20:21]
	s_cbranch_execz .LBB6_5097
; %bb.5092:                             ;   in Loop: Header=BB6_4900 Depth=2
	v_cmp_ne_u16_e32 vcc, s69, v2
	v_bfrev_b32_e32 v3, 1
	s_and_saveexec_b64 s[20:21], vcc
	s_cbranch_execz .LBB6_5096
; %bb.5093:                             ;   in Loop: Header=BB6_4900 Depth=2
	v_and_b32_e32 v5, 0x7f, v44
	v_cmp_ne_u32_e32 vcc, s71, v5
	v_mov_b32_e32 v3, 0x7f800001
	s_and_saveexec_b64 s[60:61], vcc
	s_cbranch_execz .LBB6_5095
; %bb.5094:                             ;   in Loop: Header=BB6_4900 Depth=2
	v_and_b32_e32 v6, 7, v2
	v_ffbh_u32_e32 v3, v6
	v_min_u32_e32 v8, 32, v3
	v_subrev_u32_e32 v3, 28, v8
	v_lshlrev_b64 v[2:3], v3, v[2:3]
	v_lshrrev_b32_e32 v7, 3, v5
	v_sub_u32_e32 v3, 29, v8
	v_and_b32_e32 v2, 7, v2
	v_cmp_gt_u32_e32 vcc, 8, v5
	v_cndmask_b32_e32 v3, v7, v3, vcc
	v_cndmask_b32_e32 v2, v6, v2, vcc
	v_lshlrev_b32_e32 v5, 24, v44
	v_lshlrev_b32_e32 v2, 20, v2
	v_and_b32_e32 v5, 0x80000000, v5
	v_lshl_add_u32 v3, v3, 23, v61
	v_or3_b32 v3, v5, v3, v2
.LBB6_5095:                             ;   in Loop: Header=BB6_4900 Depth=2
	s_or_b64 exec, exec, s[60:61]
.LBB6_5096:                             ;   in Loop: Header=BB6_4900 Depth=2
	s_or_b64 exec, exec, s[20:21]
.LBB6_5097:                             ;   in Loop: Header=BB6_4900 Depth=2
	s_or_b64 exec, exec, s[58:59]
	v_and_b32_e32 v2, 0xff, v55
	v_cmp_ne_u16_e32 vcc, 0, v2
	s_and_saveexec_b64 s[20:21], vcc
	s_cbranch_execz .LBB6_5103
; %bb.5098:                             ;   in Loop: Header=BB6_4900 Depth=2
	v_cmp_ne_u16_e32 vcc, s69, v2
	v_bfrev_b32_e32 v4, 1
	s_and_saveexec_b64 s[58:59], vcc
	s_cbranch_execz .LBB6_5102
; %bb.5099:                             ;   in Loop: Header=BB6_4900 Depth=2
	v_and_b32_e32 v5, 0x7f, v55
	v_cmp_ne_u32_e32 vcc, s71, v5
	v_mov_b32_e32 v4, 0x7f800001
	s_and_saveexec_b64 s[60:61], vcc
	s_cbranch_execz .LBB6_5101
; %bb.5100:                             ;   in Loop: Header=BB6_4900 Depth=2
	v_and_b32_e32 v4, 7, v2
	v_ffbh_u32_e32 v6, v4
	v_min_u32_e32 v9, 32, v6
	v_subrev_u32_e32 v6, 28, v9
	v_lshlrev_b64 v[6:7], v6, v[2:3]
	v_lshrrev_b32_e32 v8, 3, v5
	v_sub_u32_e32 v2, 29, v9
	v_and_b32_e32 v6, 7, v6
	v_cmp_gt_u32_e32 vcc, 8, v5
	v_cndmask_b32_e32 v2, v8, v2, vcc
	v_cndmask_b32_e32 v4, v4, v6, vcc
	v_lshlrev_b32_e32 v5, 24, v55
	v_lshlrev_b32_e32 v4, 20, v4
	v_and_b32_e32 v5, 0x80000000, v5
	v_lshl_add_u32 v2, v2, 23, v61
	v_or3_b32 v4, v5, v2, v4
.LBB6_5101:                             ;   in Loop: Header=BB6_4900 Depth=2
	s_or_b64 exec, exec, s[60:61]
.LBB6_5102:                             ;   in Loop: Header=BB6_4900 Depth=2
	s_or_b64 exec, exec, s[58:59]
.LBB6_5103:                             ;   in Loop: Header=BB6_4900 Depth=2
	s_or_b64 exec, exec, s[20:21]
	v_max_f32_e32 v2, v4, v4
	v_max_f32_e32 v3, v3, v3
	v_min_f32_e32 v3, v3, v2
.LBB6_5104:                             ;   in Loop: Header=BB6_4900 Depth=2
	v_and_b32_sdwa v4, v3, s69 dst_sel:DWORD dst_unused:UNUSED_PAD src0_sel:BYTE_3 src1_sel:DWORD
	v_and_b32_e32 v6, 0x7f800000, v3
	v_mov_b32_e32 v7, v53
	v_and_b32_e32 v52, 0x7fffff, v3
	v_or_b32_e32 v55, 0x7e, v4
	v_cmp_ne_u64_e32 vcc, s[40:41], v[6:7]
	s_and_saveexec_b64 s[20:21], vcc
	s_xor_b64 s[58:59], exec, s[20:21]
	s_cbranch_execz .LBB6_5118
; %bb.5105:                             ;   in Loop: Header=BB6_4900 Depth=2
	v_and_b32_e32 v6, 0x7fffffff, v3
	v_mov_b32_e32 v7, v53
	v_cmp_gt_u64_e32 vcc, s[42:43], v[6:7]
	s_and_saveexec_b64 s[20:21], vcc
	s_xor_b64 s[60:61], exec, s[20:21]
	s_cbranch_execz .LBB6_5117
; %bb.5106:                             ;   in Loop: Header=BB6_4900 Depth=2
	v_cmp_ne_u32_e32 vcc, 0, v3
	v_mov_b32_e32 v55, 0
	s_and_saveexec_b64 s[62:63], vcc
	s_cbranch_execz .LBB6_5116
; %bb.5107:                             ;   in Loop: Header=BB6_4900 Depth=2
	v_bfe_u32 v2, v3, 23, 8
	v_sub_u32_e32 v5, 0x79, v2
	v_cmp_gt_u32_e32 vcc, s73, v2
	v_cndmask_b32_e32 v5, 0, v5, vcc
	v_cmp_eq_u32_e32 vcc, 0, v2
	v_or_b32_e32 v6, 0x800000, v52
	v_cndmask_b32_e32 v5, v5, v32, vcc
	v_add_u32_e32 v3, 0xffffff81, v2
	v_cndmask_b32_e32 v52, v6, v52, vcc
	v_add_u32_e32 v2, 20, v5
	v_cndmask_b32_e32 v16, v3, v33, vcc
	v_lshlrev_b64 v[2:3], v2, -1
	v_lshrrev_b64 v[8:9], v5, v[52:53]
	v_not_b32_e32 v3, v3
	v_not_b32_e32 v2, v2
	v_add_u32_e32 v6, 19, v5
	v_lshrrev_b32_e32 v20, 23, v8
	v_and_b32_e32 v3, 0, v3
	v_and_b32_e32 v2, v52, v2
	v_lshlrev_b64 v[6:7], v6, 1
	v_add3_u32 v20, v5, v16, v20
	v_bfe_u32 v5, v8, 20, 1
	v_add_u32_e32 v5, -1, v5
	v_cmp_eq_u64_e32 vcc, v[2:3], v[6:7]
	v_cndmask_b32_e32 v2, 0, v5, vcc
	v_add_u32_e32 v2, v2, v8
	v_and_b32_e32 v2, 0xfffff, v2
	v_add_co_u32_e32 v2, vcc, v2, v8
	v_add_u32_e32 v16, 6, v20
	v_addc_co_u32_e32 v3, vcc, 0, v9, vcc
	v_cmp_ne_u32_e32 vcc, 0, v16
                                        ; implicit-def: $vgpr5
	s_and_saveexec_b64 s[20:21], vcc
	s_xor_b64 s[20:21], exec, s[20:21]
; %bb.5108:                             ;   in Loop: Header=BB6_4900 Depth=2
	v_cmp_lt_u64_e32 vcc, s[46:47], v[2:3]
	v_add_u32_e32 v5, 7, v20
	v_cndmask_b32_e64 v6, 0, 1, vcc
	v_cndmask_b32_e32 v5, v16, v5, vcc
	v_lshrrev_b64 v[2:3], v6, v[2:3]
; %bb.5109:                             ;   in Loop: Header=BB6_4900 Depth=2
	s_andn2_saveexec_b64 s[20:21], s[20:21]
; %bb.5110:                             ;   in Loop: Header=BB6_4900 Depth=2
	v_bfe_u32 v5, v2, 23, 1
; %bb.5111:                             ;   in Loop: Header=BB6_4900 Depth=2
	s_or_b64 exec, exec, s[20:21]
	v_lshrrev_b64 v[2:3], 20, v[2:3]
	v_cmp_gt_i32_e32 vcc, 16, v5
	v_cndmask_b32_e32 v3, 0, v3, vcc
	v_cndmask_b32_e32 v2, 7, v2, vcc
	v_cmp_ne_u32_e32 vcc, 0, v5
	v_cmp_ne_u64_e64 s[20:21], 0, v[2:3]
	s_or_b64 s[20:21], vcc, s[20:21]
                                        ; implicit-def: $vgpr55
	s_and_saveexec_b64 vcc, s[20:21]
	s_xor_b64 s[20:21], exec, vcc
; %bb.5112:                             ;   in Loop: Header=BB6_4900 Depth=2
	v_min_i32_e32 v3, 15, v5
	v_lshl_or_b32 v3, v3, 3, v4
	v_and_or_b32 v55, v2, 7, v3
                                        ; implicit-def: $vgpr4
; %bb.5113:                             ;   in Loop: Header=BB6_4900 Depth=2
	s_andn2_saveexec_b64 s[20:21], s[20:21]
; %bb.5114:                             ;   in Loop: Header=BB6_4900 Depth=2
	v_mov_b32_e32 v55, v4
; %bb.5115:                             ;   in Loop: Header=BB6_4900 Depth=2
	s_or_b64 exec, exec, s[20:21]
.LBB6_5116:                             ;   in Loop: Header=BB6_4900 Depth=2
	s_or_b64 exec, exec, s[62:63]
.LBB6_5117:                             ;   in Loop: Header=BB6_4900 Depth=2
	s_andn2_saveexec_b64 s[20:21], s[60:61]
	s_or_b64 exec, exec, s[20:21]
                                        ; implicit-def: $vgpr3
.LBB6_5118:                             ;   in Loop: Header=BB6_4900 Depth=2
	s_andn2_saveexec_b64 s[20:21], s[58:59]
; %bb.5119:                             ;   in Loop: Header=BB6_4900 Depth=2
	v_or_b32_sdwa v2, v3, s71 dst_sel:DWORD dst_unused:UNUSED_PAD src0_sel:BYTE_3 src1_sel:DWORD
	v_cmp_eq_u64_e32 vcc, 0, v[52:53]
	v_cndmask_b32_e32 v55, v2, v55, vcc
; %bb.5120:                             ;   in Loop: Header=BB6_4900 Depth=2
	s_or_b64 exec, exec, s[20:21]
	v_and_b32_e32 v2, 0xff, v49
	s_and_b64 vcc, exec, s[18:19]
	v_cmp_ne_u16_e64 s[20:21], 0, v2
	s_cbranch_vccnz .LBB6_5134
; %bb.5121:                             ;   in Loop: Header=BB6_4900 Depth=2
	v_mov_b32_e32 v4, 0
	v_mov_b32_e32 v3, 0
	s_and_saveexec_b64 s[58:59], s[20:21]
	s_cbranch_execz .LBB6_5127
; %bb.5122:                             ;   in Loop: Header=BB6_4900 Depth=2
	v_cmp_ne_u16_e32 vcc, s69, v2
	v_bfrev_b32_e32 v3, 1
	s_and_saveexec_b64 s[60:61], vcc
	s_cbranch_execz .LBB6_5126
; %bb.5123:                             ;   in Loop: Header=BB6_4900 Depth=2
	v_and_b32_e32 v5, 0x7f, v49
	v_cmp_ne_u32_e32 vcc, s71, v5
	v_mov_b32_e32 v3, 0x7f800001
	s_and_saveexec_b64 s[62:63], vcc
	s_cbranch_execz .LBB6_5125
; %bb.5124:                             ;   in Loop: Header=BB6_4900 Depth=2
	v_and_b32_e32 v3, 7, v2
	v_ffbh_u32_e32 v6, v3
	v_min_u32_e32 v9, 32, v6
	v_subrev_u32_e32 v6, 28, v9
	v_lshlrev_b64 v[6:7], v6, v[2:3]
	v_lshrrev_b32_e32 v8, 3, v5
	v_sub_u32_e32 v7, 29, v9
	v_and_b32_e32 v6, 7, v6
	v_cmp_gt_u32_e32 vcc, 8, v5
	v_cndmask_b32_e32 v5, v8, v7, vcc
	v_cndmask_b32_e32 v3, v3, v6, vcc
	v_lshlrev_b32_e32 v6, 24, v49
	v_lshlrev_b32_e32 v3, 20, v3
	v_and_b32_e32 v6, 0x80000000, v6
	v_lshl_add_u32 v5, v5, 23, v61
	v_or3_b32 v3, v6, v5, v3
.LBB6_5125:                             ;   in Loop: Header=BB6_4900 Depth=2
	s_or_b64 exec, exec, s[62:63]
.LBB6_5126:                             ;   in Loop: Header=BB6_4900 Depth=2
	s_or_b64 exec, exec, s[60:61]
.LBB6_5127:                             ;   in Loop: Header=BB6_4900 Depth=2
	s_or_b64 exec, exec, s[58:59]
	v_and_b32_e32 v16, 0xff, v48
	v_cmp_ne_u16_e32 vcc, 0, v16
	s_and_saveexec_b64 s[58:59], vcc
	s_cbranch_execz .LBB6_5133
; %bb.5128:                             ;   in Loop: Header=BB6_4900 Depth=2
	v_cmp_ne_u16_e32 vcc, s69, v16
	v_bfrev_b32_e32 v4, 1
	s_and_saveexec_b64 s[60:61], vcc
	s_cbranch_execz .LBB6_5132
; %bb.5129:                             ;   in Loop: Header=BB6_4900 Depth=2
	v_and_b32_e32 v5, 0x7f, v48
	v_cmp_ne_u32_e32 vcc, s71, v5
	v_mov_b32_e32 v4, 0x7f800001
	s_and_saveexec_b64 s[62:63], vcc
	s_cbranch_execz .LBB6_5131
; %bb.5130:                             ;   in Loop: Header=BB6_4900 Depth=2
	v_and_b32_e32 v4, 7, v16
	v_ffbh_u32_e32 v6, v4
	v_min_u32_e32 v9, 32, v6
	v_subrev_u32_e32 v6, 28, v9
	v_lshlrev_b64 v[6:7], v6, v[16:17]
	v_lshrrev_b32_e32 v8, 3, v5
	v_sub_u32_e32 v7, 29, v9
	v_and_b32_e32 v6, 7, v6
	v_cmp_gt_u32_e32 vcc, 8, v5
	v_cndmask_b32_e32 v5, v8, v7, vcc
	v_cndmask_b32_e32 v4, v4, v6, vcc
	v_lshlrev_b32_e32 v6, 24, v48
	v_lshlrev_b32_e32 v4, 20, v4
	v_and_b32_e32 v6, 0x80000000, v6
	v_lshl_add_u32 v5, v5, 23, v61
	v_or3_b32 v4, v6, v5, v4
.LBB6_5131:                             ;   in Loop: Header=BB6_4900 Depth=2
	s_or_b64 exec, exec, s[62:63]
.LBB6_5132:                             ;   in Loop: Header=BB6_4900 Depth=2
	s_or_b64 exec, exec, s[60:61]
.LBB6_5133:                             ;   in Loop: Header=BB6_4900 Depth=2
	s_or_b64 exec, exec, s[58:59]
	v_max_f32_e32 v4, v4, v4
	v_max_f32_e32 v3, v3, v3
	;; [unrolled: 1-line block ×3, first 2 shown]
	s_branch .LBB6_5148
.LBB6_5134:                             ;   in Loop: Header=BB6_4900 Depth=2
                                        ; implicit-def: $vgpr3
	s_cbranch_execz .LBB6_5148
; %bb.5135:                             ;   in Loop: Header=BB6_4900 Depth=2
	v_mov_b32_e32 v4, 0
	v_mov_b32_e32 v3, 0
	s_and_saveexec_b64 s[58:59], s[20:21]
	s_cbranch_execz .LBB6_5141
; %bb.5136:                             ;   in Loop: Header=BB6_4900 Depth=2
	v_cmp_ne_u16_e32 vcc, s69, v2
	v_bfrev_b32_e32 v3, 1
	s_and_saveexec_b64 s[20:21], vcc
	s_cbranch_execz .LBB6_5140
; %bb.5137:                             ;   in Loop: Header=BB6_4900 Depth=2
	v_and_b32_e32 v5, 0x7f, v49
	v_cmp_ne_u32_e32 vcc, s71, v5
	v_mov_b32_e32 v3, 0x7f800001
	s_and_saveexec_b64 s[60:61], vcc
	s_cbranch_execz .LBB6_5139
; %bb.5138:                             ;   in Loop: Header=BB6_4900 Depth=2
	v_and_b32_e32 v6, 7, v2
	v_ffbh_u32_e32 v3, v6
	v_min_u32_e32 v8, 32, v3
	v_subrev_u32_e32 v3, 28, v8
	v_lshlrev_b64 v[2:3], v3, v[2:3]
	v_lshrrev_b32_e32 v7, 3, v5
	v_sub_u32_e32 v3, 29, v8
	v_and_b32_e32 v2, 7, v2
	v_cmp_gt_u32_e32 vcc, 8, v5
	v_cndmask_b32_e32 v3, v7, v3, vcc
	v_cndmask_b32_e32 v2, v6, v2, vcc
	v_lshlrev_b32_e32 v5, 24, v49
	v_lshlrev_b32_e32 v2, 20, v2
	v_and_b32_e32 v5, 0x80000000, v5
	v_lshl_add_u32 v3, v3, 23, v61
	v_or3_b32 v3, v5, v3, v2
.LBB6_5139:                             ;   in Loop: Header=BB6_4900 Depth=2
	s_or_b64 exec, exec, s[60:61]
.LBB6_5140:                             ;   in Loop: Header=BB6_4900 Depth=2
	s_or_b64 exec, exec, s[20:21]
.LBB6_5141:                             ;   in Loop: Header=BB6_4900 Depth=2
	s_or_b64 exec, exec, s[58:59]
	v_and_b32_e32 v2, 0xff, v48
	v_cmp_ne_u16_e32 vcc, 0, v2
	s_and_saveexec_b64 s[20:21], vcc
	s_cbranch_execz .LBB6_5147
; %bb.5142:                             ;   in Loop: Header=BB6_4900 Depth=2
	v_cmp_ne_u16_e32 vcc, s69, v2
	v_bfrev_b32_e32 v4, 1
	s_and_saveexec_b64 s[58:59], vcc
	s_cbranch_execz .LBB6_5146
; %bb.5143:                             ;   in Loop: Header=BB6_4900 Depth=2
	v_and_b32_e32 v5, 0x7f, v48
	v_cmp_ne_u32_e32 vcc, s71, v5
	v_mov_b32_e32 v4, 0x7f800001
	s_and_saveexec_b64 s[60:61], vcc
	s_cbranch_execz .LBB6_5145
; %bb.5144:                             ;   in Loop: Header=BB6_4900 Depth=2
	v_and_b32_e32 v4, 7, v2
	v_ffbh_u32_e32 v6, v4
	v_min_u32_e32 v9, 32, v6
	v_subrev_u32_e32 v6, 28, v9
	v_lshlrev_b64 v[6:7], v6, v[2:3]
	v_lshrrev_b32_e32 v8, 3, v5
	v_sub_u32_e32 v2, 29, v9
	v_and_b32_e32 v6, 7, v6
	v_cmp_gt_u32_e32 vcc, 8, v5
	v_cndmask_b32_e32 v2, v8, v2, vcc
	v_cndmask_b32_e32 v4, v4, v6, vcc
	v_lshlrev_b32_e32 v5, 24, v48
	v_lshlrev_b32_e32 v4, 20, v4
	v_and_b32_e32 v5, 0x80000000, v5
	v_lshl_add_u32 v2, v2, 23, v61
	v_or3_b32 v4, v5, v2, v4
.LBB6_5145:                             ;   in Loop: Header=BB6_4900 Depth=2
	s_or_b64 exec, exec, s[60:61]
.LBB6_5146:                             ;   in Loop: Header=BB6_4900 Depth=2
	s_or_b64 exec, exec, s[58:59]
.LBB6_5147:                             ;   in Loop: Header=BB6_4900 Depth=2
	s_or_b64 exec, exec, s[20:21]
	v_max_f32_e32 v2, v4, v4
	v_max_f32_e32 v3, v3, v3
	v_min_f32_e32 v3, v3, v2
.LBB6_5148:                             ;   in Loop: Header=BB6_4900 Depth=2
	v_and_b32_sdwa v4, v3, s69 dst_sel:DWORD dst_unused:UNUSED_PAD src0_sel:BYTE_3 src1_sel:DWORD
	v_and_b32_e32 v6, 0x7f800000, v3
	v_mov_b32_e32 v7, v53
	v_and_b32_e32 v52, 0x7fffff, v3
	v_or_b32_e32 v44, 0x7e, v4
	v_cmp_ne_u64_e32 vcc, s[40:41], v[6:7]
	s_and_saveexec_b64 s[20:21], vcc
	s_xor_b64 s[58:59], exec, s[20:21]
	s_cbranch_execz .LBB6_5162
; %bb.5149:                             ;   in Loop: Header=BB6_4900 Depth=2
	v_and_b32_e32 v6, 0x7fffffff, v3
	v_mov_b32_e32 v7, v53
	v_cmp_gt_u64_e32 vcc, s[42:43], v[6:7]
	s_and_saveexec_b64 s[20:21], vcc
	s_xor_b64 s[60:61], exec, s[20:21]
	s_cbranch_execz .LBB6_5161
; %bb.5150:                             ;   in Loop: Header=BB6_4900 Depth=2
	v_cmp_ne_u32_e32 vcc, 0, v3
	v_mov_b32_e32 v44, 0
	s_and_saveexec_b64 s[62:63], vcc
	s_cbranch_execz .LBB6_5160
; %bb.5151:                             ;   in Loop: Header=BB6_4900 Depth=2
	v_bfe_u32 v2, v3, 23, 8
	v_sub_u32_e32 v5, 0x79, v2
	v_cmp_gt_u32_e32 vcc, s73, v2
	v_cndmask_b32_e32 v5, 0, v5, vcc
	v_cmp_eq_u32_e32 vcc, 0, v2
	v_or_b32_e32 v6, 0x800000, v52
	v_cndmask_b32_e32 v5, v5, v32, vcc
	v_add_u32_e32 v3, 0xffffff81, v2
	v_cndmask_b32_e32 v52, v6, v52, vcc
	v_add_u32_e32 v2, 20, v5
	v_cndmask_b32_e32 v16, v3, v33, vcc
	v_lshlrev_b64 v[2:3], v2, -1
	v_lshrrev_b64 v[8:9], v5, v[52:53]
	v_not_b32_e32 v3, v3
	v_not_b32_e32 v2, v2
	v_add_u32_e32 v6, 19, v5
	v_lshrrev_b32_e32 v20, 23, v8
	v_and_b32_e32 v3, 0, v3
	v_and_b32_e32 v2, v52, v2
	v_lshlrev_b64 v[6:7], v6, 1
	v_add3_u32 v20, v5, v16, v20
	v_bfe_u32 v5, v8, 20, 1
	v_add_u32_e32 v5, -1, v5
	v_cmp_eq_u64_e32 vcc, v[2:3], v[6:7]
	v_cndmask_b32_e32 v2, 0, v5, vcc
	v_add_u32_e32 v2, v2, v8
	v_and_b32_e32 v2, 0xfffff, v2
	v_add_co_u32_e32 v2, vcc, v2, v8
	v_add_u32_e32 v16, 6, v20
	v_addc_co_u32_e32 v3, vcc, 0, v9, vcc
	v_cmp_ne_u32_e32 vcc, 0, v16
                                        ; implicit-def: $vgpr5
	s_and_saveexec_b64 s[20:21], vcc
	s_xor_b64 s[20:21], exec, s[20:21]
; %bb.5152:                             ;   in Loop: Header=BB6_4900 Depth=2
	v_cmp_lt_u64_e32 vcc, s[46:47], v[2:3]
	v_add_u32_e32 v5, 7, v20
	v_cndmask_b32_e64 v6, 0, 1, vcc
	v_cndmask_b32_e32 v5, v16, v5, vcc
	v_lshrrev_b64 v[2:3], v6, v[2:3]
; %bb.5153:                             ;   in Loop: Header=BB6_4900 Depth=2
	s_andn2_saveexec_b64 s[20:21], s[20:21]
; %bb.5154:                             ;   in Loop: Header=BB6_4900 Depth=2
	v_bfe_u32 v5, v2, 23, 1
; %bb.5155:                             ;   in Loop: Header=BB6_4900 Depth=2
	s_or_b64 exec, exec, s[20:21]
	v_lshrrev_b64 v[2:3], 20, v[2:3]
	v_cmp_gt_i32_e32 vcc, 16, v5
	v_cndmask_b32_e32 v3, 0, v3, vcc
	v_cndmask_b32_e32 v2, 7, v2, vcc
	v_cmp_ne_u32_e32 vcc, 0, v5
	v_cmp_ne_u64_e64 s[20:21], 0, v[2:3]
	s_or_b64 s[20:21], vcc, s[20:21]
                                        ; implicit-def: $vgpr44
	s_and_saveexec_b64 vcc, s[20:21]
	s_xor_b64 s[20:21], exec, vcc
; %bb.5156:                             ;   in Loop: Header=BB6_4900 Depth=2
	v_min_i32_e32 v3, 15, v5
	v_lshl_or_b32 v3, v3, 3, v4
	v_and_or_b32 v44, v2, 7, v3
                                        ; implicit-def: $vgpr4
; %bb.5157:                             ;   in Loop: Header=BB6_4900 Depth=2
	s_andn2_saveexec_b64 s[20:21], s[20:21]
; %bb.5158:                             ;   in Loop: Header=BB6_4900 Depth=2
	v_mov_b32_e32 v44, v4
; %bb.5159:                             ;   in Loop: Header=BB6_4900 Depth=2
	s_or_b64 exec, exec, s[20:21]
.LBB6_5160:                             ;   in Loop: Header=BB6_4900 Depth=2
	s_or_b64 exec, exec, s[62:63]
.LBB6_5161:                             ;   in Loop: Header=BB6_4900 Depth=2
	s_andn2_saveexec_b64 s[20:21], s[60:61]
	s_or_b64 exec, exec, s[20:21]
                                        ; implicit-def: $vgpr3
.LBB6_5162:                             ;   in Loop: Header=BB6_4900 Depth=2
	s_andn2_saveexec_b64 s[20:21], s[58:59]
; %bb.5163:                             ;   in Loop: Header=BB6_4900 Depth=2
	v_or_b32_sdwa v2, v3, s71 dst_sel:DWORD dst_unused:UNUSED_PAD src0_sel:BYTE_3 src1_sel:DWORD
	v_cmp_eq_u64_e32 vcc, 0, v[52:53]
	v_cndmask_b32_e32 v44, v2, v44, vcc
; %bb.5164:                             ;   in Loop: Header=BB6_4900 Depth=2
	s_or_b64 exec, exec, s[20:21]
	v_and_b32_e32 v2, 0xff, v59
	s_and_b64 vcc, exec, s[18:19]
	v_cmp_ne_u16_e64 s[20:21], 0, v2
	s_cbranch_vccnz .LBB6_5178
; %bb.5165:                             ;   in Loop: Header=BB6_4900 Depth=2
	v_mov_b32_e32 v4, 0
	v_mov_b32_e32 v3, 0
	s_and_saveexec_b64 s[58:59], s[20:21]
	s_cbranch_execz .LBB6_5171
; %bb.5166:                             ;   in Loop: Header=BB6_4900 Depth=2
	v_cmp_ne_u16_e32 vcc, s69, v2
	v_bfrev_b32_e32 v3, 1
	s_and_saveexec_b64 s[60:61], vcc
	s_cbranch_execz .LBB6_5170
; %bb.5167:                             ;   in Loop: Header=BB6_4900 Depth=2
	v_and_b32_e32 v5, 0x7f, v59
	v_cmp_ne_u32_e32 vcc, s71, v5
	v_mov_b32_e32 v3, 0x7f800001
	s_and_saveexec_b64 s[62:63], vcc
	s_cbranch_execz .LBB6_5169
; %bb.5168:                             ;   in Loop: Header=BB6_4900 Depth=2
	v_and_b32_e32 v3, 7, v2
	v_ffbh_u32_e32 v6, v3
	v_min_u32_e32 v9, 32, v6
	v_subrev_u32_e32 v6, 28, v9
	v_lshlrev_b64 v[6:7], v6, v[2:3]
	v_lshrrev_b32_e32 v8, 3, v5
	v_sub_u32_e32 v7, 29, v9
	v_and_b32_e32 v6, 7, v6
	v_cmp_gt_u32_e32 vcc, 8, v5
	v_cndmask_b32_e32 v5, v8, v7, vcc
	v_cndmask_b32_e32 v3, v3, v6, vcc
	v_lshlrev_b32_e32 v6, 24, v59
	v_lshlrev_b32_e32 v3, 20, v3
	v_and_b32_e32 v6, 0x80000000, v6
	v_lshl_add_u32 v5, v5, 23, v61
	v_or3_b32 v3, v6, v5, v3
.LBB6_5169:                             ;   in Loop: Header=BB6_4900 Depth=2
	s_or_b64 exec, exec, s[62:63]
.LBB6_5170:                             ;   in Loop: Header=BB6_4900 Depth=2
	s_or_b64 exec, exec, s[60:61]
.LBB6_5171:                             ;   in Loop: Header=BB6_4900 Depth=2
	s_or_b64 exec, exec, s[58:59]
	v_and_b32_e32 v16, 0xff, v46
	v_cmp_ne_u16_e32 vcc, 0, v16
	s_and_saveexec_b64 s[58:59], vcc
	s_cbranch_execz .LBB6_5177
; %bb.5172:                             ;   in Loop: Header=BB6_4900 Depth=2
	v_cmp_ne_u16_e32 vcc, s69, v16
	v_bfrev_b32_e32 v4, 1
	s_and_saveexec_b64 s[60:61], vcc
	s_cbranch_execz .LBB6_5176
; %bb.5173:                             ;   in Loop: Header=BB6_4900 Depth=2
	v_and_b32_e32 v5, 0x7f, v46
	v_cmp_ne_u32_e32 vcc, s71, v5
	v_mov_b32_e32 v4, 0x7f800001
	s_and_saveexec_b64 s[62:63], vcc
	s_cbranch_execz .LBB6_5175
; %bb.5174:                             ;   in Loop: Header=BB6_4900 Depth=2
	v_and_b32_e32 v4, 7, v16
	v_ffbh_u32_e32 v6, v4
	v_min_u32_e32 v9, 32, v6
	v_subrev_u32_e32 v6, 28, v9
	v_lshlrev_b64 v[6:7], v6, v[16:17]
	v_lshrrev_b32_e32 v8, 3, v5
	v_sub_u32_e32 v7, 29, v9
	v_and_b32_e32 v6, 7, v6
	v_cmp_gt_u32_e32 vcc, 8, v5
	v_cndmask_b32_e32 v5, v8, v7, vcc
	v_cndmask_b32_e32 v4, v4, v6, vcc
	v_lshlrev_b32_e32 v6, 24, v46
	v_lshlrev_b32_e32 v4, 20, v4
	v_and_b32_e32 v6, 0x80000000, v6
	v_lshl_add_u32 v5, v5, 23, v61
	v_or3_b32 v4, v6, v5, v4
.LBB6_5175:                             ;   in Loop: Header=BB6_4900 Depth=2
	s_or_b64 exec, exec, s[62:63]
.LBB6_5176:                             ;   in Loop: Header=BB6_4900 Depth=2
	s_or_b64 exec, exec, s[60:61]
.LBB6_5177:                             ;   in Loop: Header=BB6_4900 Depth=2
	s_or_b64 exec, exec, s[58:59]
	v_max_f32_e32 v4, v4, v4
	v_max_f32_e32 v3, v3, v3
	;; [unrolled: 1-line block ×3, first 2 shown]
	s_branch .LBB6_5192
.LBB6_5178:                             ;   in Loop: Header=BB6_4900 Depth=2
                                        ; implicit-def: $vgpr3
	s_cbranch_execz .LBB6_5192
; %bb.5179:                             ;   in Loop: Header=BB6_4900 Depth=2
	v_mov_b32_e32 v4, 0
	v_mov_b32_e32 v3, 0
	s_and_saveexec_b64 s[58:59], s[20:21]
	s_cbranch_execz .LBB6_5185
; %bb.5180:                             ;   in Loop: Header=BB6_4900 Depth=2
	v_cmp_ne_u16_e32 vcc, s69, v2
	v_bfrev_b32_e32 v3, 1
	s_and_saveexec_b64 s[20:21], vcc
	s_cbranch_execz .LBB6_5184
; %bb.5181:                             ;   in Loop: Header=BB6_4900 Depth=2
	v_and_b32_e32 v5, 0x7f, v59
	v_cmp_ne_u32_e32 vcc, s71, v5
	v_mov_b32_e32 v3, 0x7f800001
	s_and_saveexec_b64 s[60:61], vcc
	s_cbranch_execz .LBB6_5183
; %bb.5182:                             ;   in Loop: Header=BB6_4900 Depth=2
	v_and_b32_e32 v6, 7, v2
	v_ffbh_u32_e32 v3, v6
	v_min_u32_e32 v8, 32, v3
	v_subrev_u32_e32 v3, 28, v8
	v_lshlrev_b64 v[2:3], v3, v[2:3]
	v_lshrrev_b32_e32 v7, 3, v5
	v_sub_u32_e32 v3, 29, v8
	v_and_b32_e32 v2, 7, v2
	v_cmp_gt_u32_e32 vcc, 8, v5
	v_cndmask_b32_e32 v3, v7, v3, vcc
	v_cndmask_b32_e32 v2, v6, v2, vcc
	v_lshlrev_b32_e32 v5, 24, v59
	v_lshlrev_b32_e32 v2, 20, v2
	v_and_b32_e32 v5, 0x80000000, v5
	v_lshl_add_u32 v3, v3, 23, v61
	v_or3_b32 v3, v5, v3, v2
.LBB6_5183:                             ;   in Loop: Header=BB6_4900 Depth=2
	s_or_b64 exec, exec, s[60:61]
.LBB6_5184:                             ;   in Loop: Header=BB6_4900 Depth=2
	s_or_b64 exec, exec, s[20:21]
.LBB6_5185:                             ;   in Loop: Header=BB6_4900 Depth=2
	s_or_b64 exec, exec, s[58:59]
	v_and_b32_e32 v2, 0xff, v46
	v_cmp_ne_u16_e32 vcc, 0, v2
	s_and_saveexec_b64 s[20:21], vcc
	s_cbranch_execz .LBB6_5191
; %bb.5186:                             ;   in Loop: Header=BB6_4900 Depth=2
	v_cmp_ne_u16_e32 vcc, s69, v2
	v_bfrev_b32_e32 v4, 1
	s_and_saveexec_b64 s[58:59], vcc
	s_cbranch_execz .LBB6_5190
; %bb.5187:                             ;   in Loop: Header=BB6_4900 Depth=2
	v_and_b32_e32 v5, 0x7f, v46
	v_cmp_ne_u32_e32 vcc, s71, v5
	v_mov_b32_e32 v4, 0x7f800001
	s_and_saveexec_b64 s[60:61], vcc
	s_cbranch_execz .LBB6_5189
; %bb.5188:                             ;   in Loop: Header=BB6_4900 Depth=2
	v_and_b32_e32 v4, 7, v2
	v_ffbh_u32_e32 v6, v4
	v_min_u32_e32 v9, 32, v6
	v_subrev_u32_e32 v6, 28, v9
	v_lshlrev_b64 v[6:7], v6, v[2:3]
	v_lshrrev_b32_e32 v8, 3, v5
	v_sub_u32_e32 v2, 29, v9
	v_and_b32_e32 v6, 7, v6
	v_cmp_gt_u32_e32 vcc, 8, v5
	v_cndmask_b32_e32 v2, v8, v2, vcc
	v_cndmask_b32_e32 v4, v4, v6, vcc
	v_lshlrev_b32_e32 v5, 24, v46
	v_lshlrev_b32_e32 v4, 20, v4
	v_and_b32_e32 v5, 0x80000000, v5
	v_lshl_add_u32 v2, v2, 23, v61
	v_or3_b32 v4, v5, v2, v4
.LBB6_5189:                             ;   in Loop: Header=BB6_4900 Depth=2
	s_or_b64 exec, exec, s[60:61]
.LBB6_5190:                             ;   in Loop: Header=BB6_4900 Depth=2
	s_or_b64 exec, exec, s[58:59]
.LBB6_5191:                             ;   in Loop: Header=BB6_4900 Depth=2
	s_or_b64 exec, exec, s[20:21]
	v_max_f32_e32 v2, v4, v4
	v_max_f32_e32 v3, v3, v3
	v_min_f32_e32 v3, v3, v2
.LBB6_5192:                             ;   in Loop: Header=BB6_4900 Depth=2
	v_and_b32_sdwa v4, v3, s69 dst_sel:DWORD dst_unused:UNUSED_PAD src0_sel:BYTE_3 src1_sel:DWORD
	v_and_b32_e32 v6, 0x7f800000, v3
	v_mov_b32_e32 v7, v53
	v_and_b32_e32 v52, 0x7fffff, v3
	v_or_b32_e32 v46, 0x7e, v4
	v_cmp_ne_u64_e32 vcc, s[40:41], v[6:7]
	s_and_saveexec_b64 s[20:21], vcc
	s_xor_b64 s[58:59], exec, s[20:21]
	s_cbranch_execz .LBB6_5206
; %bb.5193:                             ;   in Loop: Header=BB6_4900 Depth=2
	v_and_b32_e32 v6, 0x7fffffff, v3
	v_mov_b32_e32 v7, v53
	v_cmp_gt_u64_e32 vcc, s[42:43], v[6:7]
	s_and_saveexec_b64 s[20:21], vcc
	s_xor_b64 s[60:61], exec, s[20:21]
	s_cbranch_execz .LBB6_5205
; %bb.5194:                             ;   in Loop: Header=BB6_4900 Depth=2
	v_cmp_ne_u32_e32 vcc, 0, v3
	v_mov_b32_e32 v46, 0
	s_and_saveexec_b64 s[62:63], vcc
	s_cbranch_execz .LBB6_5204
; %bb.5195:                             ;   in Loop: Header=BB6_4900 Depth=2
	v_bfe_u32 v2, v3, 23, 8
	v_sub_u32_e32 v5, 0x79, v2
	v_cmp_gt_u32_e32 vcc, s73, v2
	v_cndmask_b32_e32 v5, 0, v5, vcc
	v_cmp_eq_u32_e32 vcc, 0, v2
	v_or_b32_e32 v6, 0x800000, v52
	v_cndmask_b32_e32 v5, v5, v32, vcc
	v_add_u32_e32 v3, 0xffffff81, v2
	v_cndmask_b32_e32 v52, v6, v52, vcc
	v_add_u32_e32 v2, 20, v5
	v_cndmask_b32_e32 v16, v3, v33, vcc
	v_lshlrev_b64 v[2:3], v2, -1
	v_lshrrev_b64 v[8:9], v5, v[52:53]
	v_not_b32_e32 v3, v3
	v_not_b32_e32 v2, v2
	v_add_u32_e32 v6, 19, v5
	v_lshrrev_b32_e32 v20, 23, v8
	v_and_b32_e32 v3, 0, v3
	v_and_b32_e32 v2, v52, v2
	v_lshlrev_b64 v[6:7], v6, 1
	v_add3_u32 v20, v5, v16, v20
	v_bfe_u32 v5, v8, 20, 1
	v_add_u32_e32 v5, -1, v5
	v_cmp_eq_u64_e32 vcc, v[2:3], v[6:7]
	v_cndmask_b32_e32 v2, 0, v5, vcc
	v_add_u32_e32 v2, v2, v8
	v_and_b32_e32 v2, 0xfffff, v2
	v_add_co_u32_e32 v2, vcc, v2, v8
	v_add_u32_e32 v16, 6, v20
	v_addc_co_u32_e32 v3, vcc, 0, v9, vcc
	v_cmp_ne_u32_e32 vcc, 0, v16
                                        ; implicit-def: $vgpr5
	s_and_saveexec_b64 s[20:21], vcc
	s_xor_b64 s[20:21], exec, s[20:21]
; %bb.5196:                             ;   in Loop: Header=BB6_4900 Depth=2
	v_cmp_lt_u64_e32 vcc, s[46:47], v[2:3]
	v_add_u32_e32 v5, 7, v20
	v_cndmask_b32_e64 v6, 0, 1, vcc
	v_cndmask_b32_e32 v5, v16, v5, vcc
	v_lshrrev_b64 v[2:3], v6, v[2:3]
; %bb.5197:                             ;   in Loop: Header=BB6_4900 Depth=2
	s_andn2_saveexec_b64 s[20:21], s[20:21]
; %bb.5198:                             ;   in Loop: Header=BB6_4900 Depth=2
	v_bfe_u32 v5, v2, 23, 1
; %bb.5199:                             ;   in Loop: Header=BB6_4900 Depth=2
	s_or_b64 exec, exec, s[20:21]
	v_lshrrev_b64 v[2:3], 20, v[2:3]
	v_cmp_gt_i32_e32 vcc, 16, v5
	v_cndmask_b32_e32 v3, 0, v3, vcc
	v_cndmask_b32_e32 v2, 7, v2, vcc
	v_cmp_ne_u32_e32 vcc, 0, v5
	v_cmp_ne_u64_e64 s[20:21], 0, v[2:3]
	s_or_b64 s[20:21], vcc, s[20:21]
                                        ; implicit-def: $vgpr46
	s_and_saveexec_b64 vcc, s[20:21]
	s_xor_b64 s[20:21], exec, vcc
; %bb.5200:                             ;   in Loop: Header=BB6_4900 Depth=2
	v_min_i32_e32 v3, 15, v5
	v_lshl_or_b32 v3, v3, 3, v4
	v_and_or_b32 v46, v2, 7, v3
                                        ; implicit-def: $vgpr4
; %bb.5201:                             ;   in Loop: Header=BB6_4900 Depth=2
	s_andn2_saveexec_b64 s[20:21], s[20:21]
; %bb.5202:                             ;   in Loop: Header=BB6_4900 Depth=2
	v_mov_b32_e32 v46, v4
; %bb.5203:                             ;   in Loop: Header=BB6_4900 Depth=2
	s_or_b64 exec, exec, s[20:21]
.LBB6_5204:                             ;   in Loop: Header=BB6_4900 Depth=2
	s_or_b64 exec, exec, s[62:63]
.LBB6_5205:                             ;   in Loop: Header=BB6_4900 Depth=2
	s_andn2_saveexec_b64 s[20:21], s[60:61]
	s_or_b64 exec, exec, s[20:21]
                                        ; implicit-def: $vgpr3
.LBB6_5206:                             ;   in Loop: Header=BB6_4900 Depth=2
	s_andn2_saveexec_b64 s[20:21], s[58:59]
; %bb.5207:                             ;   in Loop: Header=BB6_4900 Depth=2
	v_or_b32_sdwa v2, v3, s71 dst_sel:DWORD dst_unused:UNUSED_PAD src0_sel:BYTE_3 src1_sel:DWORD
	v_cmp_eq_u64_e32 vcc, 0, v[52:53]
	v_cndmask_b32_e32 v46, v2, v46, vcc
; %bb.5208:                             ;   in Loop: Header=BB6_4900 Depth=2
	s_or_b64 exec, exec, s[20:21]
	v_and_b32_e32 v2, 0xff, v58
	s_and_b64 vcc, exec, s[18:19]
	v_cmp_ne_u16_e64 s[20:21], 0, v2
	s_cbranch_vccnz .LBB6_5222
; %bb.5209:                             ;   in Loop: Header=BB6_4900 Depth=2
	v_mov_b32_e32 v4, 0
	v_mov_b32_e32 v3, 0
	s_and_saveexec_b64 s[58:59], s[20:21]
	s_cbranch_execz .LBB6_5215
; %bb.5210:                             ;   in Loop: Header=BB6_4900 Depth=2
	v_cmp_ne_u16_e32 vcc, s69, v2
	v_bfrev_b32_e32 v3, 1
	s_and_saveexec_b64 s[60:61], vcc
	s_cbranch_execz .LBB6_5214
; %bb.5211:                             ;   in Loop: Header=BB6_4900 Depth=2
	v_and_b32_e32 v5, 0x7f, v58
	v_cmp_ne_u32_e32 vcc, s71, v5
	v_mov_b32_e32 v3, 0x7f800001
	s_and_saveexec_b64 s[62:63], vcc
	s_cbranch_execz .LBB6_5213
; %bb.5212:                             ;   in Loop: Header=BB6_4900 Depth=2
	v_and_b32_e32 v3, 7, v2
	v_ffbh_u32_e32 v6, v3
	v_min_u32_e32 v9, 32, v6
	v_subrev_u32_e32 v6, 28, v9
	v_lshlrev_b64 v[6:7], v6, v[2:3]
	v_lshrrev_b32_e32 v8, 3, v5
	v_sub_u32_e32 v7, 29, v9
	v_and_b32_e32 v6, 7, v6
	v_cmp_gt_u32_e32 vcc, 8, v5
	v_cndmask_b32_e32 v5, v8, v7, vcc
	v_cndmask_b32_e32 v3, v3, v6, vcc
	v_lshlrev_b32_e32 v6, 24, v58
	v_lshlrev_b32_e32 v3, 20, v3
	v_and_b32_e32 v6, 0x80000000, v6
	v_lshl_add_u32 v5, v5, 23, v61
	v_or3_b32 v3, v6, v5, v3
.LBB6_5213:                             ;   in Loop: Header=BB6_4900 Depth=2
	s_or_b64 exec, exec, s[62:63]
.LBB6_5214:                             ;   in Loop: Header=BB6_4900 Depth=2
	s_or_b64 exec, exec, s[60:61]
.LBB6_5215:                             ;   in Loop: Header=BB6_4900 Depth=2
	s_or_b64 exec, exec, s[58:59]
	v_and_b32_e32 v16, 0xff, v57
	v_cmp_ne_u16_e32 vcc, 0, v16
	s_and_saveexec_b64 s[58:59], vcc
	s_cbranch_execz .LBB6_5221
; %bb.5216:                             ;   in Loop: Header=BB6_4900 Depth=2
	v_cmp_ne_u16_e32 vcc, s69, v16
	v_bfrev_b32_e32 v4, 1
	s_and_saveexec_b64 s[60:61], vcc
	s_cbranch_execz .LBB6_5220
; %bb.5217:                             ;   in Loop: Header=BB6_4900 Depth=2
	v_and_b32_e32 v5, 0x7f, v57
	v_cmp_ne_u32_e32 vcc, s71, v5
	v_mov_b32_e32 v4, 0x7f800001
	s_and_saveexec_b64 s[62:63], vcc
	s_cbranch_execz .LBB6_5219
; %bb.5218:                             ;   in Loop: Header=BB6_4900 Depth=2
	v_and_b32_e32 v4, 7, v16
	v_ffbh_u32_e32 v6, v4
	v_min_u32_e32 v9, 32, v6
	v_subrev_u32_e32 v6, 28, v9
	v_lshlrev_b64 v[6:7], v6, v[16:17]
	v_lshrrev_b32_e32 v8, 3, v5
	v_sub_u32_e32 v7, 29, v9
	v_and_b32_e32 v6, 7, v6
	v_cmp_gt_u32_e32 vcc, 8, v5
	v_cndmask_b32_e32 v5, v8, v7, vcc
	v_cndmask_b32_e32 v4, v4, v6, vcc
	v_lshlrev_b32_e32 v6, 24, v57
	v_lshlrev_b32_e32 v4, 20, v4
	v_and_b32_e32 v6, 0x80000000, v6
	v_lshl_add_u32 v5, v5, 23, v61
	v_or3_b32 v4, v6, v5, v4
.LBB6_5219:                             ;   in Loop: Header=BB6_4900 Depth=2
	s_or_b64 exec, exec, s[62:63]
.LBB6_5220:                             ;   in Loop: Header=BB6_4900 Depth=2
	s_or_b64 exec, exec, s[60:61]
.LBB6_5221:                             ;   in Loop: Header=BB6_4900 Depth=2
	s_or_b64 exec, exec, s[58:59]
	v_max_f32_e32 v4, v4, v4
	v_max_f32_e32 v3, v3, v3
	;; [unrolled: 1-line block ×3, first 2 shown]
	s_branch .LBB6_5236
.LBB6_5222:                             ;   in Loop: Header=BB6_4900 Depth=2
                                        ; implicit-def: $vgpr3
	s_cbranch_execz .LBB6_5236
; %bb.5223:                             ;   in Loop: Header=BB6_4900 Depth=2
	v_mov_b32_e32 v4, 0
	v_mov_b32_e32 v3, 0
	s_and_saveexec_b64 s[58:59], s[20:21]
	s_cbranch_execz .LBB6_5229
; %bb.5224:                             ;   in Loop: Header=BB6_4900 Depth=2
	v_cmp_ne_u16_e32 vcc, s69, v2
	v_bfrev_b32_e32 v3, 1
	s_and_saveexec_b64 s[20:21], vcc
	s_cbranch_execz .LBB6_5228
; %bb.5225:                             ;   in Loop: Header=BB6_4900 Depth=2
	v_and_b32_e32 v5, 0x7f, v58
	v_cmp_ne_u32_e32 vcc, s71, v5
	v_mov_b32_e32 v3, 0x7f800001
	s_and_saveexec_b64 s[60:61], vcc
	s_cbranch_execz .LBB6_5227
; %bb.5226:                             ;   in Loop: Header=BB6_4900 Depth=2
	v_and_b32_e32 v6, 7, v2
	v_ffbh_u32_e32 v3, v6
	v_min_u32_e32 v8, 32, v3
	v_subrev_u32_e32 v3, 28, v8
	v_lshlrev_b64 v[2:3], v3, v[2:3]
	v_lshrrev_b32_e32 v7, 3, v5
	v_sub_u32_e32 v3, 29, v8
	v_and_b32_e32 v2, 7, v2
	v_cmp_gt_u32_e32 vcc, 8, v5
	v_cndmask_b32_e32 v3, v7, v3, vcc
	v_cndmask_b32_e32 v2, v6, v2, vcc
	v_lshlrev_b32_e32 v5, 24, v58
	v_lshlrev_b32_e32 v2, 20, v2
	v_and_b32_e32 v5, 0x80000000, v5
	v_lshl_add_u32 v3, v3, 23, v61
	v_or3_b32 v3, v5, v3, v2
.LBB6_5227:                             ;   in Loop: Header=BB6_4900 Depth=2
	s_or_b64 exec, exec, s[60:61]
.LBB6_5228:                             ;   in Loop: Header=BB6_4900 Depth=2
	s_or_b64 exec, exec, s[20:21]
.LBB6_5229:                             ;   in Loop: Header=BB6_4900 Depth=2
	s_or_b64 exec, exec, s[58:59]
	v_and_b32_e32 v2, 0xff, v57
	v_cmp_ne_u16_e32 vcc, 0, v2
	s_and_saveexec_b64 s[20:21], vcc
	s_cbranch_execz .LBB6_5235
; %bb.5230:                             ;   in Loop: Header=BB6_4900 Depth=2
	v_cmp_ne_u16_e32 vcc, s69, v2
	v_bfrev_b32_e32 v4, 1
	s_and_saveexec_b64 s[58:59], vcc
	s_cbranch_execz .LBB6_5234
; %bb.5231:                             ;   in Loop: Header=BB6_4900 Depth=2
	v_and_b32_e32 v5, 0x7f, v57
	v_cmp_ne_u32_e32 vcc, s71, v5
	v_mov_b32_e32 v4, 0x7f800001
	s_and_saveexec_b64 s[60:61], vcc
	s_cbranch_execz .LBB6_5233
; %bb.5232:                             ;   in Loop: Header=BB6_4900 Depth=2
	v_and_b32_e32 v4, 7, v2
	v_ffbh_u32_e32 v6, v4
	v_min_u32_e32 v9, 32, v6
	v_subrev_u32_e32 v6, 28, v9
	v_lshlrev_b64 v[6:7], v6, v[2:3]
	v_lshrrev_b32_e32 v8, 3, v5
	v_sub_u32_e32 v2, 29, v9
	v_and_b32_e32 v6, 7, v6
	v_cmp_gt_u32_e32 vcc, 8, v5
	v_cndmask_b32_e32 v2, v8, v2, vcc
	v_cndmask_b32_e32 v4, v4, v6, vcc
	v_lshlrev_b32_e32 v5, 24, v57
	v_lshlrev_b32_e32 v4, 20, v4
	v_and_b32_e32 v5, 0x80000000, v5
	v_lshl_add_u32 v2, v2, 23, v61
	v_or3_b32 v4, v5, v2, v4
.LBB6_5233:                             ;   in Loop: Header=BB6_4900 Depth=2
	s_or_b64 exec, exec, s[60:61]
.LBB6_5234:                             ;   in Loop: Header=BB6_4900 Depth=2
	s_or_b64 exec, exec, s[58:59]
.LBB6_5235:                             ;   in Loop: Header=BB6_4900 Depth=2
	s_or_b64 exec, exec, s[20:21]
	v_max_f32_e32 v2, v4, v4
	v_max_f32_e32 v3, v3, v3
	v_min_f32_e32 v3, v3, v2
.LBB6_5236:                             ;   in Loop: Header=BB6_4900 Depth=2
	v_and_b32_sdwa v4, v3, s69 dst_sel:DWORD dst_unused:UNUSED_PAD src0_sel:BYTE_3 src1_sel:DWORD
	v_and_b32_e32 v6, 0x7f800000, v3
	v_mov_b32_e32 v7, v53
	v_and_b32_e32 v52, 0x7fffff, v3
	v_or_b32_e32 v57, 0x7e, v4
	v_cmp_ne_u64_e32 vcc, s[40:41], v[6:7]
	s_and_saveexec_b64 s[20:21], vcc
	s_xor_b64 s[58:59], exec, s[20:21]
	s_cbranch_execz .LBB6_5250
; %bb.5237:                             ;   in Loop: Header=BB6_4900 Depth=2
	v_and_b32_e32 v6, 0x7fffffff, v3
	v_mov_b32_e32 v7, v53
	v_cmp_gt_u64_e32 vcc, s[42:43], v[6:7]
	s_and_saveexec_b64 s[20:21], vcc
	s_xor_b64 s[60:61], exec, s[20:21]
	s_cbranch_execz .LBB6_5249
; %bb.5238:                             ;   in Loop: Header=BB6_4900 Depth=2
	v_cmp_ne_u32_e32 vcc, 0, v3
	v_mov_b32_e32 v57, 0
	s_and_saveexec_b64 s[62:63], vcc
	s_cbranch_execz .LBB6_5248
; %bb.5239:                             ;   in Loop: Header=BB6_4900 Depth=2
	v_bfe_u32 v2, v3, 23, 8
	v_sub_u32_e32 v5, 0x79, v2
	v_cmp_gt_u32_e32 vcc, s73, v2
	v_cndmask_b32_e32 v5, 0, v5, vcc
	v_cmp_eq_u32_e32 vcc, 0, v2
	v_or_b32_e32 v6, 0x800000, v52
	v_cndmask_b32_e32 v5, v5, v32, vcc
	v_add_u32_e32 v3, 0xffffff81, v2
	v_cndmask_b32_e32 v52, v6, v52, vcc
	v_add_u32_e32 v2, 20, v5
	v_cndmask_b32_e32 v16, v3, v33, vcc
	v_lshlrev_b64 v[2:3], v2, -1
	v_lshrrev_b64 v[8:9], v5, v[52:53]
	v_not_b32_e32 v3, v3
	v_not_b32_e32 v2, v2
	v_add_u32_e32 v6, 19, v5
	v_lshrrev_b32_e32 v20, 23, v8
	v_and_b32_e32 v3, 0, v3
	v_and_b32_e32 v2, v52, v2
	v_lshlrev_b64 v[6:7], v6, 1
	v_add3_u32 v20, v5, v16, v20
	v_bfe_u32 v5, v8, 20, 1
	v_add_u32_e32 v5, -1, v5
	v_cmp_eq_u64_e32 vcc, v[2:3], v[6:7]
	v_cndmask_b32_e32 v2, 0, v5, vcc
	v_add_u32_e32 v2, v2, v8
	v_and_b32_e32 v2, 0xfffff, v2
	v_add_co_u32_e32 v2, vcc, v2, v8
	v_add_u32_e32 v16, 6, v20
	v_addc_co_u32_e32 v3, vcc, 0, v9, vcc
	v_cmp_ne_u32_e32 vcc, 0, v16
                                        ; implicit-def: $vgpr5
	s_and_saveexec_b64 s[20:21], vcc
	s_xor_b64 s[20:21], exec, s[20:21]
; %bb.5240:                             ;   in Loop: Header=BB6_4900 Depth=2
	v_cmp_lt_u64_e32 vcc, s[46:47], v[2:3]
	v_add_u32_e32 v5, 7, v20
	v_cndmask_b32_e64 v6, 0, 1, vcc
	v_cndmask_b32_e32 v5, v16, v5, vcc
	v_lshrrev_b64 v[2:3], v6, v[2:3]
; %bb.5241:                             ;   in Loop: Header=BB6_4900 Depth=2
	s_andn2_saveexec_b64 s[20:21], s[20:21]
; %bb.5242:                             ;   in Loop: Header=BB6_4900 Depth=2
	v_bfe_u32 v5, v2, 23, 1
; %bb.5243:                             ;   in Loop: Header=BB6_4900 Depth=2
	s_or_b64 exec, exec, s[20:21]
	v_lshrrev_b64 v[2:3], 20, v[2:3]
	v_cmp_gt_i32_e32 vcc, 16, v5
	v_cndmask_b32_e32 v3, 0, v3, vcc
	v_cndmask_b32_e32 v2, 7, v2, vcc
	v_cmp_ne_u32_e32 vcc, 0, v5
	v_cmp_ne_u64_e64 s[20:21], 0, v[2:3]
	s_or_b64 s[20:21], vcc, s[20:21]
                                        ; implicit-def: $vgpr57
	s_and_saveexec_b64 vcc, s[20:21]
	s_xor_b64 s[20:21], exec, vcc
; %bb.5244:                             ;   in Loop: Header=BB6_4900 Depth=2
	v_min_i32_e32 v3, 15, v5
	v_lshl_or_b32 v3, v3, 3, v4
	v_and_or_b32 v57, v2, 7, v3
                                        ; implicit-def: $vgpr4
; %bb.5245:                             ;   in Loop: Header=BB6_4900 Depth=2
	s_andn2_saveexec_b64 s[20:21], s[20:21]
; %bb.5246:                             ;   in Loop: Header=BB6_4900 Depth=2
	v_mov_b32_e32 v57, v4
; %bb.5247:                             ;   in Loop: Header=BB6_4900 Depth=2
	s_or_b64 exec, exec, s[20:21]
.LBB6_5248:                             ;   in Loop: Header=BB6_4900 Depth=2
	s_or_b64 exec, exec, s[62:63]
.LBB6_5249:                             ;   in Loop: Header=BB6_4900 Depth=2
	s_andn2_saveexec_b64 s[20:21], s[60:61]
	s_or_b64 exec, exec, s[20:21]
                                        ; implicit-def: $vgpr3
.LBB6_5250:                             ;   in Loop: Header=BB6_4900 Depth=2
	s_andn2_saveexec_b64 s[20:21], s[58:59]
; %bb.5251:                             ;   in Loop: Header=BB6_4900 Depth=2
	v_or_b32_sdwa v2, v3, s71 dst_sel:DWORD dst_unused:UNUSED_PAD src0_sel:BYTE_3 src1_sel:DWORD
	v_cmp_eq_u64_e32 vcc, 0, v[52:53]
	v_cndmask_b32_e32 v57, v2, v57, vcc
; %bb.5252:                             ;   in Loop: Header=BB6_4900 Depth=2
	s_or_b64 exec, exec, s[20:21]
	v_and_b32_e32 v2, 0xff, v56
	s_and_b64 vcc, exec, s[18:19]
	v_cmp_ne_u16_e64 s[20:21], 0, v2
	s_cbranch_vccnz .LBB6_5266
; %bb.5253:                             ;   in Loop: Header=BB6_4900 Depth=2
	v_mov_b32_e32 v4, 0
	v_mov_b32_e32 v3, 0
	s_and_saveexec_b64 s[58:59], s[20:21]
	s_cbranch_execz .LBB6_5259
; %bb.5254:                             ;   in Loop: Header=BB6_4900 Depth=2
	v_cmp_ne_u16_e32 vcc, s69, v2
	v_bfrev_b32_e32 v3, 1
	s_and_saveexec_b64 s[60:61], vcc
	s_cbranch_execz .LBB6_5258
; %bb.5255:                             ;   in Loop: Header=BB6_4900 Depth=2
	v_and_b32_e32 v5, 0x7f, v56
	v_cmp_ne_u32_e32 vcc, s71, v5
	v_mov_b32_e32 v3, 0x7f800001
	s_and_saveexec_b64 s[62:63], vcc
	s_cbranch_execz .LBB6_5257
; %bb.5256:                             ;   in Loop: Header=BB6_4900 Depth=2
	v_and_b32_e32 v3, 7, v2
	v_ffbh_u32_e32 v6, v3
	v_min_u32_e32 v9, 32, v6
	v_subrev_u32_e32 v6, 28, v9
	v_lshlrev_b64 v[6:7], v6, v[2:3]
	v_lshrrev_b32_e32 v8, 3, v5
	v_sub_u32_e32 v7, 29, v9
	v_and_b32_e32 v6, 7, v6
	v_cmp_gt_u32_e32 vcc, 8, v5
	v_cndmask_b32_e32 v5, v8, v7, vcc
	v_cndmask_b32_e32 v3, v3, v6, vcc
	v_lshlrev_b32_e32 v6, 24, v56
	v_lshlrev_b32_e32 v3, 20, v3
	v_and_b32_e32 v6, 0x80000000, v6
	v_lshl_add_u32 v5, v5, 23, v61
	v_or3_b32 v3, v6, v5, v3
.LBB6_5257:                             ;   in Loop: Header=BB6_4900 Depth=2
	s_or_b64 exec, exec, s[62:63]
.LBB6_5258:                             ;   in Loop: Header=BB6_4900 Depth=2
	s_or_b64 exec, exec, s[60:61]
.LBB6_5259:                             ;   in Loop: Header=BB6_4900 Depth=2
	s_or_b64 exec, exec, s[58:59]
	v_and_b32_e32 v16, 0xff, v47
	v_cmp_ne_u16_e32 vcc, 0, v16
	s_and_saveexec_b64 s[58:59], vcc
	s_cbranch_execz .LBB6_5265
; %bb.5260:                             ;   in Loop: Header=BB6_4900 Depth=2
	v_cmp_ne_u16_e32 vcc, s69, v16
	v_bfrev_b32_e32 v4, 1
	s_and_saveexec_b64 s[60:61], vcc
	s_cbranch_execz .LBB6_5264
; %bb.5261:                             ;   in Loop: Header=BB6_4900 Depth=2
	v_and_b32_e32 v5, 0x7f, v47
	v_cmp_ne_u32_e32 vcc, s71, v5
	v_mov_b32_e32 v4, 0x7f800001
	s_and_saveexec_b64 s[62:63], vcc
	s_cbranch_execz .LBB6_5263
; %bb.5262:                             ;   in Loop: Header=BB6_4900 Depth=2
	v_and_b32_e32 v4, 7, v16
	v_ffbh_u32_e32 v6, v4
	v_min_u32_e32 v9, 32, v6
	v_subrev_u32_e32 v6, 28, v9
	v_lshlrev_b64 v[6:7], v6, v[16:17]
	v_lshrrev_b32_e32 v8, 3, v5
	v_sub_u32_e32 v7, 29, v9
	v_and_b32_e32 v6, 7, v6
	v_cmp_gt_u32_e32 vcc, 8, v5
	v_cndmask_b32_e32 v5, v8, v7, vcc
	v_cndmask_b32_e32 v4, v4, v6, vcc
	v_lshlrev_b32_e32 v6, 24, v47
	v_lshlrev_b32_e32 v4, 20, v4
	v_and_b32_e32 v6, 0x80000000, v6
	v_lshl_add_u32 v5, v5, 23, v61
	v_or3_b32 v4, v6, v5, v4
.LBB6_5263:                             ;   in Loop: Header=BB6_4900 Depth=2
	s_or_b64 exec, exec, s[62:63]
.LBB6_5264:                             ;   in Loop: Header=BB6_4900 Depth=2
	s_or_b64 exec, exec, s[60:61]
.LBB6_5265:                             ;   in Loop: Header=BB6_4900 Depth=2
	s_or_b64 exec, exec, s[58:59]
	v_max_f32_e32 v4, v4, v4
	v_max_f32_e32 v3, v3, v3
	;; [unrolled: 1-line block ×3, first 2 shown]
	s_branch .LBB6_5280
.LBB6_5266:                             ;   in Loop: Header=BB6_4900 Depth=2
                                        ; implicit-def: $vgpr3
	s_cbranch_execz .LBB6_5280
; %bb.5267:                             ;   in Loop: Header=BB6_4900 Depth=2
	v_mov_b32_e32 v4, 0
	v_mov_b32_e32 v3, 0
	s_and_saveexec_b64 s[58:59], s[20:21]
	s_cbranch_execz .LBB6_5273
; %bb.5268:                             ;   in Loop: Header=BB6_4900 Depth=2
	v_cmp_ne_u16_e32 vcc, s69, v2
	v_bfrev_b32_e32 v3, 1
	s_and_saveexec_b64 s[20:21], vcc
	s_cbranch_execz .LBB6_5272
; %bb.5269:                             ;   in Loop: Header=BB6_4900 Depth=2
	v_and_b32_e32 v5, 0x7f, v56
	v_cmp_ne_u32_e32 vcc, s71, v5
	v_mov_b32_e32 v3, 0x7f800001
	s_and_saveexec_b64 s[60:61], vcc
	s_cbranch_execz .LBB6_5271
; %bb.5270:                             ;   in Loop: Header=BB6_4900 Depth=2
	v_and_b32_e32 v6, 7, v2
	v_ffbh_u32_e32 v3, v6
	v_min_u32_e32 v8, 32, v3
	v_subrev_u32_e32 v3, 28, v8
	v_lshlrev_b64 v[2:3], v3, v[2:3]
	v_lshrrev_b32_e32 v7, 3, v5
	v_sub_u32_e32 v3, 29, v8
	v_and_b32_e32 v2, 7, v2
	v_cmp_gt_u32_e32 vcc, 8, v5
	v_cndmask_b32_e32 v3, v7, v3, vcc
	v_cndmask_b32_e32 v2, v6, v2, vcc
	v_lshlrev_b32_e32 v5, 24, v56
	v_lshlrev_b32_e32 v2, 20, v2
	v_and_b32_e32 v5, 0x80000000, v5
	v_lshl_add_u32 v3, v3, 23, v61
	v_or3_b32 v3, v5, v3, v2
.LBB6_5271:                             ;   in Loop: Header=BB6_4900 Depth=2
	s_or_b64 exec, exec, s[60:61]
.LBB6_5272:                             ;   in Loop: Header=BB6_4900 Depth=2
	s_or_b64 exec, exec, s[20:21]
.LBB6_5273:                             ;   in Loop: Header=BB6_4900 Depth=2
	s_or_b64 exec, exec, s[58:59]
	v_and_b32_e32 v2, 0xff, v47
	v_cmp_ne_u16_e32 vcc, 0, v2
	s_and_saveexec_b64 s[20:21], vcc
	s_cbranch_execz .LBB6_5279
; %bb.5274:                             ;   in Loop: Header=BB6_4900 Depth=2
	v_cmp_ne_u16_e32 vcc, s69, v2
	v_bfrev_b32_e32 v4, 1
	s_and_saveexec_b64 s[58:59], vcc
	s_cbranch_execz .LBB6_5278
; %bb.5275:                             ;   in Loop: Header=BB6_4900 Depth=2
	v_and_b32_e32 v5, 0x7f, v47
	v_cmp_ne_u32_e32 vcc, s71, v5
	v_mov_b32_e32 v4, 0x7f800001
	s_and_saveexec_b64 s[60:61], vcc
	s_cbranch_execz .LBB6_5277
; %bb.5276:                             ;   in Loop: Header=BB6_4900 Depth=2
	v_and_b32_e32 v4, 7, v2
	v_ffbh_u32_e32 v6, v4
	v_min_u32_e32 v9, 32, v6
	v_subrev_u32_e32 v6, 28, v9
	v_lshlrev_b64 v[6:7], v6, v[2:3]
	v_lshrrev_b32_e32 v8, 3, v5
	v_sub_u32_e32 v2, 29, v9
	v_and_b32_e32 v6, 7, v6
	v_cmp_gt_u32_e32 vcc, 8, v5
	v_cndmask_b32_e32 v2, v8, v2, vcc
	v_cndmask_b32_e32 v4, v4, v6, vcc
	v_lshlrev_b32_e32 v5, 24, v47
	v_lshlrev_b32_e32 v4, 20, v4
	v_and_b32_e32 v5, 0x80000000, v5
	v_lshl_add_u32 v2, v2, 23, v61
	v_or3_b32 v4, v5, v2, v4
.LBB6_5277:                             ;   in Loop: Header=BB6_4900 Depth=2
	s_or_b64 exec, exec, s[60:61]
.LBB6_5278:                             ;   in Loop: Header=BB6_4900 Depth=2
	s_or_b64 exec, exec, s[58:59]
.LBB6_5279:                             ;   in Loop: Header=BB6_4900 Depth=2
	s_or_b64 exec, exec, s[20:21]
	v_max_f32_e32 v2, v4, v4
	v_max_f32_e32 v3, v3, v3
	v_min_f32_e32 v3, v3, v2
.LBB6_5280:                             ;   in Loop: Header=BB6_4900 Depth=2
	v_and_b32_sdwa v4, v3, s69 dst_sel:DWORD dst_unused:UNUSED_PAD src0_sel:BYTE_3 src1_sel:DWORD
	v_and_b32_e32 v6, 0x7f800000, v3
	v_mov_b32_e32 v7, v53
	v_and_b32_e32 v52, 0x7fffff, v3
	v_or_b32_e32 v47, 0x7e, v4
	v_cmp_ne_u64_e32 vcc, s[40:41], v[6:7]
	s_and_saveexec_b64 s[20:21], vcc
	s_xor_b64 s[58:59], exec, s[20:21]
	s_cbranch_execz .LBB6_5294
; %bb.5281:                             ;   in Loop: Header=BB6_4900 Depth=2
	v_and_b32_e32 v6, 0x7fffffff, v3
	v_mov_b32_e32 v7, v53
	v_cmp_gt_u64_e32 vcc, s[42:43], v[6:7]
	s_and_saveexec_b64 s[20:21], vcc
	s_xor_b64 s[60:61], exec, s[20:21]
	s_cbranch_execz .LBB6_5293
; %bb.5282:                             ;   in Loop: Header=BB6_4900 Depth=2
	v_cmp_ne_u32_e32 vcc, 0, v3
	v_mov_b32_e32 v47, 0
	s_and_saveexec_b64 s[62:63], vcc
	s_cbranch_execz .LBB6_5292
; %bb.5283:                             ;   in Loop: Header=BB6_4900 Depth=2
	v_bfe_u32 v2, v3, 23, 8
	v_sub_u32_e32 v5, 0x79, v2
	v_cmp_gt_u32_e32 vcc, s73, v2
	v_cndmask_b32_e32 v5, 0, v5, vcc
	v_cmp_eq_u32_e32 vcc, 0, v2
	v_or_b32_e32 v6, 0x800000, v52
	v_cndmask_b32_e32 v5, v5, v32, vcc
	v_add_u32_e32 v3, 0xffffff81, v2
	v_cndmask_b32_e32 v52, v6, v52, vcc
	v_add_u32_e32 v2, 20, v5
	v_cndmask_b32_e32 v16, v3, v33, vcc
	v_lshlrev_b64 v[2:3], v2, -1
	v_lshrrev_b64 v[8:9], v5, v[52:53]
	v_not_b32_e32 v3, v3
	v_not_b32_e32 v2, v2
	v_add_u32_e32 v6, 19, v5
	v_lshrrev_b32_e32 v20, 23, v8
	v_and_b32_e32 v3, 0, v3
	v_and_b32_e32 v2, v52, v2
	v_lshlrev_b64 v[6:7], v6, 1
	v_add3_u32 v20, v5, v16, v20
	v_bfe_u32 v5, v8, 20, 1
	v_add_u32_e32 v5, -1, v5
	v_cmp_eq_u64_e32 vcc, v[2:3], v[6:7]
	v_cndmask_b32_e32 v2, 0, v5, vcc
	v_add_u32_e32 v2, v2, v8
	v_and_b32_e32 v2, 0xfffff, v2
	v_add_co_u32_e32 v2, vcc, v2, v8
	v_add_u32_e32 v16, 6, v20
	v_addc_co_u32_e32 v3, vcc, 0, v9, vcc
	v_cmp_ne_u32_e32 vcc, 0, v16
                                        ; implicit-def: $vgpr5
	s_and_saveexec_b64 s[20:21], vcc
	s_xor_b64 s[20:21], exec, s[20:21]
; %bb.5284:                             ;   in Loop: Header=BB6_4900 Depth=2
	v_cmp_lt_u64_e32 vcc, s[46:47], v[2:3]
	v_add_u32_e32 v5, 7, v20
	v_cndmask_b32_e64 v6, 0, 1, vcc
	v_cndmask_b32_e32 v5, v16, v5, vcc
	v_lshrrev_b64 v[2:3], v6, v[2:3]
; %bb.5285:                             ;   in Loop: Header=BB6_4900 Depth=2
	s_andn2_saveexec_b64 s[20:21], s[20:21]
; %bb.5286:                             ;   in Loop: Header=BB6_4900 Depth=2
	v_bfe_u32 v5, v2, 23, 1
; %bb.5287:                             ;   in Loop: Header=BB6_4900 Depth=2
	s_or_b64 exec, exec, s[20:21]
	v_lshrrev_b64 v[2:3], 20, v[2:3]
	v_cmp_gt_i32_e32 vcc, 16, v5
	v_cndmask_b32_e32 v3, 0, v3, vcc
	v_cndmask_b32_e32 v2, 7, v2, vcc
	v_cmp_ne_u32_e32 vcc, 0, v5
	v_cmp_ne_u64_e64 s[20:21], 0, v[2:3]
	s_or_b64 s[20:21], vcc, s[20:21]
                                        ; implicit-def: $vgpr47
	s_and_saveexec_b64 vcc, s[20:21]
	s_xor_b64 s[20:21], exec, vcc
; %bb.5288:                             ;   in Loop: Header=BB6_4900 Depth=2
	v_min_i32_e32 v3, 15, v5
	v_lshl_or_b32 v3, v3, 3, v4
	v_and_or_b32 v47, v2, 7, v3
                                        ; implicit-def: $vgpr4
; %bb.5289:                             ;   in Loop: Header=BB6_4900 Depth=2
	s_andn2_saveexec_b64 s[20:21], s[20:21]
; %bb.5290:                             ;   in Loop: Header=BB6_4900 Depth=2
	v_mov_b32_e32 v47, v4
; %bb.5291:                             ;   in Loop: Header=BB6_4900 Depth=2
	s_or_b64 exec, exec, s[20:21]
.LBB6_5292:                             ;   in Loop: Header=BB6_4900 Depth=2
	s_or_b64 exec, exec, s[62:63]
.LBB6_5293:                             ;   in Loop: Header=BB6_4900 Depth=2
	s_andn2_saveexec_b64 s[20:21], s[60:61]
	s_or_b64 exec, exec, s[20:21]
                                        ; implicit-def: $vgpr3
.LBB6_5294:                             ;   in Loop: Header=BB6_4900 Depth=2
	s_andn2_saveexec_b64 s[20:21], s[58:59]
; %bb.5295:                             ;   in Loop: Header=BB6_4900 Depth=2
	v_or_b32_sdwa v2, v3, s71 dst_sel:DWORD dst_unused:UNUSED_PAD src0_sel:BYTE_3 src1_sel:DWORD
	v_cmp_eq_u64_e32 vcc, 0, v[52:53]
	v_cndmask_b32_e32 v47, v2, v47, vcc
; %bb.5296:                             ;   in Loop: Header=BB6_4900 Depth=2
	s_or_b64 exec, exec, s[20:21]
	v_and_b32_e32 v2, 0xff, v45
	s_and_b64 vcc, exec, s[18:19]
	v_cmp_ne_u16_e64 s[20:21], 0, v2
	s_cbranch_vccnz .LBB6_5310
; %bb.5297:                             ;   in Loop: Header=BB6_4900 Depth=2
	v_mov_b32_e32 v4, 0
	v_mov_b32_e32 v3, 0
	s_and_saveexec_b64 s[58:59], s[20:21]
	s_cbranch_execz .LBB6_5303
; %bb.5298:                             ;   in Loop: Header=BB6_4900 Depth=2
	v_cmp_ne_u16_e32 vcc, s69, v2
	v_bfrev_b32_e32 v3, 1
	s_and_saveexec_b64 s[60:61], vcc
	s_cbranch_execz .LBB6_5302
; %bb.5299:                             ;   in Loop: Header=BB6_4900 Depth=2
	v_and_b32_e32 v5, 0x7f, v45
	v_cmp_ne_u32_e32 vcc, s71, v5
	v_mov_b32_e32 v3, 0x7f800001
	s_and_saveexec_b64 s[62:63], vcc
	s_cbranch_execz .LBB6_5301
; %bb.5300:                             ;   in Loop: Header=BB6_4900 Depth=2
	v_and_b32_e32 v3, 7, v2
	v_ffbh_u32_e32 v6, v3
	v_min_u32_e32 v9, 32, v6
	v_subrev_u32_e32 v6, 28, v9
	v_lshlrev_b64 v[6:7], v6, v[2:3]
	v_lshrrev_b32_e32 v8, 3, v5
	v_sub_u32_e32 v7, 29, v9
	v_and_b32_e32 v6, 7, v6
	v_cmp_gt_u32_e32 vcc, 8, v5
	v_cndmask_b32_e32 v5, v8, v7, vcc
	v_cndmask_b32_e32 v3, v3, v6, vcc
	v_lshlrev_b32_e32 v6, 24, v45
	v_lshlrev_b32_e32 v3, 20, v3
	v_and_b32_e32 v6, 0x80000000, v6
	v_lshl_add_u32 v5, v5, 23, v61
	v_or3_b32 v3, v6, v5, v3
.LBB6_5301:                             ;   in Loop: Header=BB6_4900 Depth=2
	s_or_b64 exec, exec, s[62:63]
.LBB6_5302:                             ;   in Loop: Header=BB6_4900 Depth=2
	s_or_b64 exec, exec, s[60:61]
.LBB6_5303:                             ;   in Loop: Header=BB6_4900 Depth=2
	s_or_b64 exec, exec, s[58:59]
	v_and_b32_e32 v16, 0xff, v51
	v_cmp_ne_u16_e32 vcc, 0, v16
	s_and_saveexec_b64 s[58:59], vcc
	s_cbranch_execz .LBB6_5309
; %bb.5304:                             ;   in Loop: Header=BB6_4900 Depth=2
	v_cmp_ne_u16_e32 vcc, s69, v16
	v_bfrev_b32_e32 v4, 1
	s_and_saveexec_b64 s[60:61], vcc
	s_cbranch_execz .LBB6_5308
; %bb.5305:                             ;   in Loop: Header=BB6_4900 Depth=2
	v_and_b32_e32 v5, 0x7f, v51
	v_cmp_ne_u32_e32 vcc, s71, v5
	v_mov_b32_e32 v4, 0x7f800001
	s_and_saveexec_b64 s[62:63], vcc
	s_cbranch_execz .LBB6_5307
; %bb.5306:                             ;   in Loop: Header=BB6_4900 Depth=2
	v_and_b32_e32 v4, 7, v16
	v_ffbh_u32_e32 v6, v4
	v_min_u32_e32 v9, 32, v6
	v_subrev_u32_e32 v6, 28, v9
	v_lshlrev_b64 v[6:7], v6, v[16:17]
	v_lshrrev_b32_e32 v8, 3, v5
	v_sub_u32_e32 v7, 29, v9
	v_and_b32_e32 v6, 7, v6
	v_cmp_gt_u32_e32 vcc, 8, v5
	v_cndmask_b32_e32 v5, v8, v7, vcc
	v_cndmask_b32_e32 v4, v4, v6, vcc
	v_lshlrev_b32_e32 v6, 24, v51
	v_lshlrev_b32_e32 v4, 20, v4
	v_and_b32_e32 v6, 0x80000000, v6
	v_lshl_add_u32 v5, v5, 23, v61
	v_or3_b32 v4, v6, v5, v4
.LBB6_5307:                             ;   in Loop: Header=BB6_4900 Depth=2
	s_or_b64 exec, exec, s[62:63]
.LBB6_5308:                             ;   in Loop: Header=BB6_4900 Depth=2
	s_or_b64 exec, exec, s[60:61]
.LBB6_5309:                             ;   in Loop: Header=BB6_4900 Depth=2
	s_or_b64 exec, exec, s[58:59]
	v_max_f32_e32 v4, v4, v4
	v_max_f32_e32 v3, v3, v3
	;; [unrolled: 1-line block ×3, first 2 shown]
	s_branch .LBB6_5324
.LBB6_5310:                             ;   in Loop: Header=BB6_4900 Depth=2
                                        ; implicit-def: $vgpr3
	s_cbranch_execz .LBB6_5324
; %bb.5311:                             ;   in Loop: Header=BB6_4900 Depth=2
	v_mov_b32_e32 v4, 0
	v_mov_b32_e32 v3, 0
	s_and_saveexec_b64 s[58:59], s[20:21]
	s_cbranch_execz .LBB6_5317
; %bb.5312:                             ;   in Loop: Header=BB6_4900 Depth=2
	v_cmp_ne_u16_e32 vcc, s69, v2
	v_bfrev_b32_e32 v3, 1
	s_and_saveexec_b64 s[20:21], vcc
	s_cbranch_execz .LBB6_5316
; %bb.5313:                             ;   in Loop: Header=BB6_4900 Depth=2
	v_and_b32_e32 v5, 0x7f, v45
	v_cmp_ne_u32_e32 vcc, s71, v5
	v_mov_b32_e32 v3, 0x7f800001
	s_and_saveexec_b64 s[60:61], vcc
	s_cbranch_execz .LBB6_5315
; %bb.5314:                             ;   in Loop: Header=BB6_4900 Depth=2
	v_and_b32_e32 v6, 7, v2
	v_ffbh_u32_e32 v3, v6
	v_min_u32_e32 v8, 32, v3
	v_subrev_u32_e32 v3, 28, v8
	v_lshlrev_b64 v[2:3], v3, v[2:3]
	v_lshrrev_b32_e32 v7, 3, v5
	v_sub_u32_e32 v3, 29, v8
	v_and_b32_e32 v2, 7, v2
	v_cmp_gt_u32_e32 vcc, 8, v5
	v_cndmask_b32_e32 v3, v7, v3, vcc
	v_cndmask_b32_e32 v2, v6, v2, vcc
	v_lshlrev_b32_e32 v5, 24, v45
	v_lshlrev_b32_e32 v2, 20, v2
	v_and_b32_e32 v5, 0x80000000, v5
	v_lshl_add_u32 v3, v3, 23, v61
	v_or3_b32 v3, v5, v3, v2
.LBB6_5315:                             ;   in Loop: Header=BB6_4900 Depth=2
	s_or_b64 exec, exec, s[60:61]
.LBB6_5316:                             ;   in Loop: Header=BB6_4900 Depth=2
	s_or_b64 exec, exec, s[20:21]
.LBB6_5317:                             ;   in Loop: Header=BB6_4900 Depth=2
	s_or_b64 exec, exec, s[58:59]
	v_and_b32_e32 v2, 0xff, v51
	v_cmp_ne_u16_e32 vcc, 0, v2
	s_and_saveexec_b64 s[20:21], vcc
	s_cbranch_execz .LBB6_5323
; %bb.5318:                             ;   in Loop: Header=BB6_4900 Depth=2
	v_cmp_ne_u16_e32 vcc, s69, v2
	v_bfrev_b32_e32 v4, 1
	s_and_saveexec_b64 s[58:59], vcc
	s_cbranch_execz .LBB6_5322
; %bb.5319:                             ;   in Loop: Header=BB6_4900 Depth=2
	v_and_b32_e32 v5, 0x7f, v51
	v_cmp_ne_u32_e32 vcc, s71, v5
	v_mov_b32_e32 v4, 0x7f800001
	s_and_saveexec_b64 s[60:61], vcc
	s_cbranch_execz .LBB6_5321
; %bb.5320:                             ;   in Loop: Header=BB6_4900 Depth=2
	v_and_b32_e32 v4, 7, v2
	v_ffbh_u32_e32 v6, v4
	v_min_u32_e32 v9, 32, v6
	v_subrev_u32_e32 v6, 28, v9
	v_lshlrev_b64 v[6:7], v6, v[2:3]
	v_lshrrev_b32_e32 v8, 3, v5
	v_sub_u32_e32 v2, 29, v9
	v_and_b32_e32 v6, 7, v6
	v_cmp_gt_u32_e32 vcc, 8, v5
	v_cndmask_b32_e32 v2, v8, v2, vcc
	v_cndmask_b32_e32 v4, v4, v6, vcc
	v_lshlrev_b32_e32 v5, 24, v51
	v_lshlrev_b32_e32 v4, 20, v4
	v_and_b32_e32 v5, 0x80000000, v5
	v_lshl_add_u32 v2, v2, 23, v61
	v_or3_b32 v4, v5, v2, v4
.LBB6_5321:                             ;   in Loop: Header=BB6_4900 Depth=2
	s_or_b64 exec, exec, s[60:61]
.LBB6_5322:                             ;   in Loop: Header=BB6_4900 Depth=2
	s_or_b64 exec, exec, s[58:59]
.LBB6_5323:                             ;   in Loop: Header=BB6_4900 Depth=2
	s_or_b64 exec, exec, s[20:21]
	v_max_f32_e32 v2, v4, v4
	v_max_f32_e32 v3, v3, v3
	v_min_f32_e32 v3, v3, v2
.LBB6_5324:                             ;   in Loop: Header=BB6_4900 Depth=2
	v_and_b32_sdwa v4, v3, s69 dst_sel:DWORD dst_unused:UNUSED_PAD src0_sel:BYTE_3 src1_sel:DWORD
	v_and_b32_e32 v6, 0x7f800000, v3
	v_mov_b32_e32 v7, v53
	v_and_b32_e32 v52, 0x7fffff, v3
	v_or_b32_e32 v51, 0x7e, v4
	v_cmp_ne_u64_e32 vcc, s[40:41], v[6:7]
	s_and_saveexec_b64 s[20:21], vcc
	s_xor_b64 s[58:59], exec, s[20:21]
	s_cbranch_execz .LBB6_5338
; %bb.5325:                             ;   in Loop: Header=BB6_4900 Depth=2
	v_and_b32_e32 v6, 0x7fffffff, v3
	v_mov_b32_e32 v7, v53
	v_cmp_gt_u64_e32 vcc, s[42:43], v[6:7]
	s_and_saveexec_b64 s[20:21], vcc
	s_xor_b64 s[60:61], exec, s[20:21]
	s_cbranch_execz .LBB6_5337
; %bb.5326:                             ;   in Loop: Header=BB6_4900 Depth=2
	v_cmp_ne_u32_e32 vcc, 0, v3
	v_mov_b32_e32 v51, 0
	s_and_saveexec_b64 s[62:63], vcc
	s_cbranch_execz .LBB6_5336
; %bb.5327:                             ;   in Loop: Header=BB6_4900 Depth=2
	v_bfe_u32 v2, v3, 23, 8
	v_sub_u32_e32 v5, 0x79, v2
	v_cmp_gt_u32_e32 vcc, s73, v2
	v_cndmask_b32_e32 v5, 0, v5, vcc
	v_cmp_eq_u32_e32 vcc, 0, v2
	v_or_b32_e32 v6, 0x800000, v52
	v_cndmask_b32_e32 v5, v5, v32, vcc
	v_add_u32_e32 v3, 0xffffff81, v2
	v_cndmask_b32_e32 v52, v6, v52, vcc
	v_add_u32_e32 v2, 20, v5
	v_cndmask_b32_e32 v16, v3, v33, vcc
	v_lshlrev_b64 v[2:3], v2, -1
	v_lshrrev_b64 v[8:9], v5, v[52:53]
	v_not_b32_e32 v3, v3
	v_not_b32_e32 v2, v2
	v_add_u32_e32 v6, 19, v5
	v_lshrrev_b32_e32 v20, 23, v8
	v_and_b32_e32 v3, 0, v3
	v_and_b32_e32 v2, v52, v2
	v_lshlrev_b64 v[6:7], v6, 1
	v_add3_u32 v20, v5, v16, v20
	v_bfe_u32 v5, v8, 20, 1
	v_add_u32_e32 v5, -1, v5
	v_cmp_eq_u64_e32 vcc, v[2:3], v[6:7]
	v_cndmask_b32_e32 v2, 0, v5, vcc
	v_add_u32_e32 v2, v2, v8
	v_and_b32_e32 v2, 0xfffff, v2
	v_add_co_u32_e32 v2, vcc, v2, v8
	v_add_u32_e32 v16, 6, v20
	v_addc_co_u32_e32 v3, vcc, 0, v9, vcc
	v_cmp_ne_u32_e32 vcc, 0, v16
                                        ; implicit-def: $vgpr5
	s_and_saveexec_b64 s[20:21], vcc
	s_xor_b64 s[20:21], exec, s[20:21]
; %bb.5328:                             ;   in Loop: Header=BB6_4900 Depth=2
	v_cmp_lt_u64_e32 vcc, s[46:47], v[2:3]
	v_add_u32_e32 v5, 7, v20
	v_cndmask_b32_e64 v6, 0, 1, vcc
	v_cndmask_b32_e32 v5, v16, v5, vcc
	v_lshrrev_b64 v[2:3], v6, v[2:3]
; %bb.5329:                             ;   in Loop: Header=BB6_4900 Depth=2
	s_andn2_saveexec_b64 s[20:21], s[20:21]
; %bb.5330:                             ;   in Loop: Header=BB6_4900 Depth=2
	v_bfe_u32 v5, v2, 23, 1
; %bb.5331:                             ;   in Loop: Header=BB6_4900 Depth=2
	s_or_b64 exec, exec, s[20:21]
	v_lshrrev_b64 v[2:3], 20, v[2:3]
	v_cmp_gt_i32_e32 vcc, 16, v5
	v_cndmask_b32_e32 v3, 0, v3, vcc
	v_cndmask_b32_e32 v2, 7, v2, vcc
	v_cmp_ne_u32_e32 vcc, 0, v5
	v_cmp_ne_u64_e64 s[20:21], 0, v[2:3]
	s_or_b64 s[20:21], vcc, s[20:21]
                                        ; implicit-def: $vgpr51
	s_and_saveexec_b64 vcc, s[20:21]
	s_xor_b64 s[20:21], exec, vcc
; %bb.5332:                             ;   in Loop: Header=BB6_4900 Depth=2
	v_min_i32_e32 v3, 15, v5
	v_lshl_or_b32 v3, v3, 3, v4
	v_and_or_b32 v51, v2, 7, v3
                                        ; implicit-def: $vgpr4
; %bb.5333:                             ;   in Loop: Header=BB6_4900 Depth=2
	s_andn2_saveexec_b64 s[20:21], s[20:21]
; %bb.5334:                             ;   in Loop: Header=BB6_4900 Depth=2
	v_mov_b32_e32 v51, v4
; %bb.5335:                             ;   in Loop: Header=BB6_4900 Depth=2
	s_or_b64 exec, exec, s[20:21]
.LBB6_5336:                             ;   in Loop: Header=BB6_4900 Depth=2
	s_or_b64 exec, exec, s[62:63]
.LBB6_5337:                             ;   in Loop: Header=BB6_4900 Depth=2
	s_andn2_saveexec_b64 s[20:21], s[60:61]
	s_or_b64 exec, exec, s[20:21]
                                        ; implicit-def: $vgpr3
.LBB6_5338:                             ;   in Loop: Header=BB6_4900 Depth=2
	s_andn2_saveexec_b64 s[20:21], s[58:59]
; %bb.5339:                             ;   in Loop: Header=BB6_4900 Depth=2
	v_or_b32_sdwa v2, v3, s71 dst_sel:DWORD dst_unused:UNUSED_PAD src0_sel:BYTE_3 src1_sel:DWORD
	v_cmp_eq_u64_e32 vcc, 0, v[52:53]
	v_cndmask_b32_e32 v51, v2, v51, vcc
; %bb.5340:                             ;   in Loop: Header=BB6_4900 Depth=2
	s_or_b64 exec, exec, s[20:21]
	v_and_b32_e32 v2, 0xff, v40
	s_and_b64 vcc, exec, s[18:19]
	v_cmp_ne_u16_e64 s[20:21], 0, v2
	s_cbranch_vccnz .LBB6_5354
; %bb.5341:                             ;   in Loop: Header=BB6_4900 Depth=2
	v_mov_b32_e32 v4, 0
	v_mov_b32_e32 v3, 0
	s_and_saveexec_b64 s[58:59], s[20:21]
	s_cbranch_execz .LBB6_5347
; %bb.5342:                             ;   in Loop: Header=BB6_4900 Depth=2
	v_cmp_ne_u16_e32 vcc, s69, v2
	v_bfrev_b32_e32 v3, 1
	s_and_saveexec_b64 s[60:61], vcc
	s_cbranch_execz .LBB6_5346
; %bb.5343:                             ;   in Loop: Header=BB6_4900 Depth=2
	v_and_b32_e32 v5, 0x7f, v40
	v_cmp_ne_u32_e32 vcc, s71, v5
	v_mov_b32_e32 v3, 0x7f800001
	s_and_saveexec_b64 s[62:63], vcc
	s_cbranch_execz .LBB6_5345
; %bb.5344:                             ;   in Loop: Header=BB6_4900 Depth=2
	v_and_b32_e32 v3, 7, v2
	v_ffbh_u32_e32 v6, v3
	v_min_u32_e32 v9, 32, v6
	v_subrev_u32_e32 v6, 28, v9
	v_lshlrev_b64 v[6:7], v6, v[2:3]
	v_lshrrev_b32_e32 v8, 3, v5
	v_sub_u32_e32 v7, 29, v9
	v_and_b32_e32 v6, 7, v6
	v_cmp_gt_u32_e32 vcc, 8, v5
	v_cndmask_b32_e32 v5, v8, v7, vcc
	v_cndmask_b32_e32 v3, v3, v6, vcc
	v_lshlrev_b32_e32 v6, 24, v40
	v_lshlrev_b32_e32 v3, 20, v3
	v_and_b32_e32 v6, 0x80000000, v6
	v_lshl_add_u32 v5, v5, 23, v61
	v_or3_b32 v3, v6, v5, v3
.LBB6_5345:                             ;   in Loop: Header=BB6_4900 Depth=2
	s_or_b64 exec, exec, s[62:63]
.LBB6_5346:                             ;   in Loop: Header=BB6_4900 Depth=2
	s_or_b64 exec, exec, s[60:61]
.LBB6_5347:                             ;   in Loop: Header=BB6_4900 Depth=2
	s_or_b64 exec, exec, s[58:59]
	v_and_b32_e32 v16, 0xff, v1
	v_cmp_ne_u16_e32 vcc, 0, v16
	s_and_saveexec_b64 s[58:59], vcc
	s_cbranch_execz .LBB6_5353
; %bb.5348:                             ;   in Loop: Header=BB6_4900 Depth=2
	v_cmp_ne_u16_e32 vcc, s69, v16
	v_bfrev_b32_e32 v4, 1
	s_and_saveexec_b64 s[60:61], vcc
	s_cbranch_execz .LBB6_5352
; %bb.5349:                             ;   in Loop: Header=BB6_4900 Depth=2
	v_and_b32_e32 v5, 0x7f, v1
	v_cmp_ne_u32_e32 vcc, s71, v5
	v_mov_b32_e32 v4, 0x7f800001
	s_and_saveexec_b64 s[62:63], vcc
	s_cbranch_execz .LBB6_5351
; %bb.5350:                             ;   in Loop: Header=BB6_4900 Depth=2
	v_and_b32_e32 v4, 7, v16
	v_ffbh_u32_e32 v6, v4
	v_min_u32_e32 v9, 32, v6
	v_subrev_u32_e32 v6, 28, v9
	v_lshlrev_b64 v[6:7], v6, v[16:17]
	v_lshrrev_b32_e32 v8, 3, v5
	v_sub_u32_e32 v7, 29, v9
	v_and_b32_e32 v6, 7, v6
	v_cmp_gt_u32_e32 vcc, 8, v5
	v_cndmask_b32_e32 v5, v8, v7, vcc
	v_cndmask_b32_e32 v4, v4, v6, vcc
	v_lshlrev_b32_e32 v6, 24, v1
	v_lshlrev_b32_e32 v4, 20, v4
	v_and_b32_e32 v6, 0x80000000, v6
	v_lshl_add_u32 v5, v5, 23, v61
	v_or3_b32 v4, v6, v5, v4
.LBB6_5351:                             ;   in Loop: Header=BB6_4900 Depth=2
	s_or_b64 exec, exec, s[62:63]
.LBB6_5352:                             ;   in Loop: Header=BB6_4900 Depth=2
	s_or_b64 exec, exec, s[60:61]
.LBB6_5353:                             ;   in Loop: Header=BB6_4900 Depth=2
	s_or_b64 exec, exec, s[58:59]
	v_max_f32_e32 v4, v4, v4
	v_max_f32_e32 v3, v3, v3
	;; [unrolled: 1-line block ×3, first 2 shown]
	s_branch .LBB6_5368
.LBB6_5354:                             ;   in Loop: Header=BB6_4900 Depth=2
                                        ; implicit-def: $vgpr3
	s_cbranch_execz .LBB6_5368
; %bb.5355:                             ;   in Loop: Header=BB6_4900 Depth=2
	v_mov_b32_e32 v4, 0
	v_mov_b32_e32 v3, 0
	s_and_saveexec_b64 s[58:59], s[20:21]
	s_cbranch_execz .LBB6_5361
; %bb.5356:                             ;   in Loop: Header=BB6_4900 Depth=2
	v_cmp_ne_u16_e32 vcc, s69, v2
	v_bfrev_b32_e32 v3, 1
	s_and_saveexec_b64 s[20:21], vcc
	s_cbranch_execz .LBB6_5360
; %bb.5357:                             ;   in Loop: Header=BB6_4900 Depth=2
	v_and_b32_e32 v5, 0x7f, v40
	v_cmp_ne_u32_e32 vcc, s71, v5
	v_mov_b32_e32 v3, 0x7f800001
	s_and_saveexec_b64 s[60:61], vcc
	s_cbranch_execz .LBB6_5359
; %bb.5358:                             ;   in Loop: Header=BB6_4900 Depth=2
	v_and_b32_e32 v6, 7, v2
	v_ffbh_u32_e32 v3, v6
	v_min_u32_e32 v8, 32, v3
	v_subrev_u32_e32 v3, 28, v8
	v_lshlrev_b64 v[2:3], v3, v[2:3]
	v_lshrrev_b32_e32 v7, 3, v5
	v_sub_u32_e32 v3, 29, v8
	v_and_b32_e32 v2, 7, v2
	v_cmp_gt_u32_e32 vcc, 8, v5
	v_cndmask_b32_e32 v3, v7, v3, vcc
	v_cndmask_b32_e32 v2, v6, v2, vcc
	v_lshlrev_b32_e32 v5, 24, v40
	v_lshlrev_b32_e32 v2, 20, v2
	v_and_b32_e32 v5, 0x80000000, v5
	v_lshl_add_u32 v3, v3, 23, v61
	v_or3_b32 v3, v5, v3, v2
.LBB6_5359:                             ;   in Loop: Header=BB6_4900 Depth=2
	s_or_b64 exec, exec, s[60:61]
.LBB6_5360:                             ;   in Loop: Header=BB6_4900 Depth=2
	s_or_b64 exec, exec, s[20:21]
.LBB6_5361:                             ;   in Loop: Header=BB6_4900 Depth=2
	s_or_b64 exec, exec, s[58:59]
	v_and_b32_e32 v2, 0xff, v1
	v_cmp_ne_u16_e32 vcc, 0, v2
	s_and_saveexec_b64 s[20:21], vcc
	s_cbranch_execz .LBB6_5367
; %bb.5362:                             ;   in Loop: Header=BB6_4900 Depth=2
	v_cmp_ne_u16_e32 vcc, s69, v2
	v_bfrev_b32_e32 v4, 1
	s_and_saveexec_b64 s[58:59], vcc
	s_cbranch_execz .LBB6_5366
; %bb.5363:                             ;   in Loop: Header=BB6_4900 Depth=2
	v_and_b32_e32 v5, 0x7f, v1
	v_cmp_ne_u32_e32 vcc, s71, v5
	v_mov_b32_e32 v4, 0x7f800001
	s_and_saveexec_b64 s[60:61], vcc
	s_cbranch_execz .LBB6_5365
; %bb.5364:                             ;   in Loop: Header=BB6_4900 Depth=2
	v_and_b32_e32 v4, 7, v2
	v_ffbh_u32_e32 v6, v4
	v_min_u32_e32 v9, 32, v6
	v_subrev_u32_e32 v6, 28, v9
	v_lshlrev_b64 v[6:7], v6, v[2:3]
	v_lshrrev_b32_e32 v8, 3, v5
	v_sub_u32_e32 v2, 29, v9
	v_and_b32_e32 v6, 7, v6
	v_cmp_gt_u32_e32 vcc, 8, v5
	v_cndmask_b32_e32 v2, v8, v2, vcc
	v_cndmask_b32_e32 v4, v4, v6, vcc
	v_lshlrev_b32_e32 v1, 24, v1
	v_lshlrev_b32_e32 v4, 20, v4
	v_and_b32_e32 v1, 0x80000000, v1
	v_lshl_add_u32 v2, v2, 23, v61
	v_or3_b32 v4, v1, v2, v4
.LBB6_5365:                             ;   in Loop: Header=BB6_4900 Depth=2
	s_or_b64 exec, exec, s[60:61]
.LBB6_5366:                             ;   in Loop: Header=BB6_4900 Depth=2
	s_or_b64 exec, exec, s[58:59]
.LBB6_5367:                             ;   in Loop: Header=BB6_4900 Depth=2
	s_or_b64 exec, exec, s[20:21]
	v_max_f32_e32 v1, v4, v4
	v_max_f32_e32 v2, v3, v3
	v_min_f32_e32 v3, v2, v1
.LBB6_5368:                             ;   in Loop: Header=BB6_4900 Depth=2
	v_and_b32_sdwa v4, v3, s69 dst_sel:DWORD dst_unused:UNUSED_PAD src0_sel:BYTE_3 src1_sel:DWORD
	v_and_b32_e32 v6, 0x7f800000, v3
	v_mov_b32_e32 v7, v53
	v_and_b32_e32 v52, 0x7fffff, v3
	v_or_b32_e32 v1, 0x7e, v4
	v_cmp_ne_u64_e32 vcc, s[40:41], v[6:7]
	s_and_saveexec_b64 s[20:21], vcc
	s_xor_b64 s[58:59], exec, s[20:21]
	s_cbranch_execz .LBB6_5382
; %bb.5369:                             ;   in Loop: Header=BB6_4900 Depth=2
	v_and_b32_e32 v6, 0x7fffffff, v3
	v_mov_b32_e32 v7, v53
	v_cmp_gt_u64_e32 vcc, s[42:43], v[6:7]
	s_and_saveexec_b64 s[20:21], vcc
	s_xor_b64 s[60:61], exec, s[20:21]
	s_cbranch_execz .LBB6_5381
; %bb.5370:                             ;   in Loop: Header=BB6_4900 Depth=2
	v_cmp_ne_u32_e32 vcc, 0, v3
	v_mov_b32_e32 v1, 0
	s_and_saveexec_b64 s[62:63], vcc
	s_cbranch_execz .LBB6_5380
; %bb.5371:                             ;   in Loop: Header=BB6_4900 Depth=2
	v_bfe_u32 v1, v3, 23, 8
	v_sub_u32_e32 v3, 0x79, v1
	v_cmp_gt_u32_e32 vcc, s73, v1
	v_cndmask_b32_e32 v3, 0, v3, vcc
	v_cmp_eq_u32_e32 vcc, 0, v1
	v_add_u32_e32 v2, 0xffffff81, v1
	v_or_b32_e32 v5, 0x800000, v52
	v_cndmask_b32_e32 v16, v3, v32, vcc
	v_cndmask_b32_e32 v1, v2, v33, vcc
	;; [unrolled: 1-line block ×3, first 2 shown]
	v_add_u32_e32 v2, 20, v16
	v_lshlrev_b64 v[2:3], v2, -1
	v_add_u32_e32 v5, 19, v16
	v_lshrrev_b64 v[8:9], v16, v[52:53]
	v_not_b32_e32 v3, v3
	v_not_b32_e32 v2, v2
	v_lshlrev_b64 v[6:7], v5, 1
	v_lshrrev_b32_e32 v5, 23, v8
	v_and_b32_e32 v3, 0, v3
	v_and_b32_e32 v2, v52, v2
	v_add3_u32 v16, v16, v1, v5
	v_bfe_u32 v5, v8, 20, 1
	v_add_u32_e32 v5, -1, v5
	v_cmp_eq_u64_e32 vcc, v[2:3], v[6:7]
	v_cndmask_b32_e32 v2, 0, v5, vcc
	v_add_u32_e32 v2, v2, v8
	v_and_b32_e32 v2, 0xfffff, v2
	v_add_co_u32_e32 v2, vcc, v2, v8
	v_add_u32_e32 v1, 6, v16
	v_addc_co_u32_e32 v3, vcc, 0, v9, vcc
	v_cmp_ne_u32_e32 vcc, 0, v1
                                        ; implicit-def: $vgpr5
	s_and_saveexec_b64 s[20:21], vcc
	s_xor_b64 s[20:21], exec, s[20:21]
; %bb.5372:                             ;   in Loop: Header=BB6_4900 Depth=2
	v_add_u32_e32 v5, 7, v16
	v_cmp_lt_u64_e32 vcc, s[46:47], v[2:3]
	v_cndmask_b32_e32 v5, v1, v5, vcc
	v_cndmask_b32_e64 v1, 0, 1, vcc
	v_lshrrev_b64 v[2:3], v1, v[2:3]
; %bb.5373:                             ;   in Loop: Header=BB6_4900 Depth=2
	s_andn2_saveexec_b64 s[20:21], s[20:21]
; %bb.5374:                             ;   in Loop: Header=BB6_4900 Depth=2
	v_bfe_u32 v5, v2, 23, 1
; %bb.5375:                             ;   in Loop: Header=BB6_4900 Depth=2
	s_or_b64 exec, exec, s[20:21]
	v_lshrrev_b64 v[2:3], 20, v[2:3]
	v_cmp_gt_i32_e32 vcc, 16, v5
	v_cndmask_b32_e32 v3, 0, v3, vcc
	v_cndmask_b32_e32 v2, 7, v2, vcc
	v_cmp_ne_u32_e32 vcc, 0, v5
	v_cmp_ne_u64_e64 s[20:21], 0, v[2:3]
	s_or_b64 s[20:21], vcc, s[20:21]
                                        ; implicit-def: $vgpr1
	s_and_saveexec_b64 vcc, s[20:21]
	s_xor_b64 s[20:21], exec, vcc
; %bb.5376:                             ;   in Loop: Header=BB6_4900 Depth=2
	v_min_i32_e32 v1, 15, v5
	v_lshl_or_b32 v1, v1, 3, v4
	v_and_or_b32 v1, v2, 7, v1
                                        ; implicit-def: $vgpr4
; %bb.5377:                             ;   in Loop: Header=BB6_4900 Depth=2
	s_andn2_saveexec_b64 s[20:21], s[20:21]
; %bb.5378:                             ;   in Loop: Header=BB6_4900 Depth=2
	v_mov_b32_e32 v1, v4
; %bb.5379:                             ;   in Loop: Header=BB6_4900 Depth=2
	s_or_b64 exec, exec, s[20:21]
.LBB6_5380:                             ;   in Loop: Header=BB6_4900 Depth=2
	s_or_b64 exec, exec, s[62:63]
.LBB6_5381:                             ;   in Loop: Header=BB6_4900 Depth=2
	s_andn2_saveexec_b64 s[20:21], s[60:61]
	s_or_b64 exec, exec, s[20:21]
                                        ; implicit-def: $vgpr3
.LBB6_5382:                             ;   in Loop: Header=BB6_4900 Depth=2
	s_andn2_saveexec_b64 s[20:21], s[58:59]
; %bb.5383:                             ;   in Loop: Header=BB6_4900 Depth=2
	v_or_b32_sdwa v2, v3, s71 dst_sel:DWORD dst_unused:UNUSED_PAD src0_sel:BYTE_3 src1_sel:DWORD
	v_cmp_eq_u64_e32 vcc, 0, v[52:53]
	v_cndmask_b32_e32 v1, v2, v1, vcc
; %bb.5384:                             ;   in Loop: Header=BB6_4900 Depth=2
	s_or_b64 exec, exec, s[20:21]
	v_and_b32_e32 v2, 0xff, v54
	s_and_b64 vcc, exec, s[18:19]
	v_cmp_ne_u16_e64 s[20:21], 0, v2
	s_cbranch_vccnz .LBB6_5398
; %bb.5385:                             ;   in Loop: Header=BB6_4900 Depth=2
	v_mov_b32_e32 v4, 0
	v_mov_b32_e32 v3, 0
	s_and_saveexec_b64 s[58:59], s[20:21]
	s_cbranch_execz .LBB6_5391
; %bb.5386:                             ;   in Loop: Header=BB6_4900 Depth=2
	v_cmp_ne_u16_e32 vcc, s69, v2
	v_bfrev_b32_e32 v3, 1
	s_and_saveexec_b64 s[60:61], vcc
	s_cbranch_execz .LBB6_5390
; %bb.5387:                             ;   in Loop: Header=BB6_4900 Depth=2
	v_and_b32_e32 v5, 0x7f, v54
	v_cmp_ne_u32_e32 vcc, s71, v5
	v_mov_b32_e32 v3, 0x7f800001
	s_and_saveexec_b64 s[62:63], vcc
	s_cbranch_execz .LBB6_5389
; %bb.5388:                             ;   in Loop: Header=BB6_4900 Depth=2
	v_and_b32_e32 v3, 7, v2
	v_ffbh_u32_e32 v6, v3
	v_min_u32_e32 v9, 32, v6
	v_subrev_u32_e32 v6, 28, v9
	v_lshlrev_b64 v[6:7], v6, v[2:3]
	v_lshrrev_b32_e32 v8, 3, v5
	v_sub_u32_e32 v7, 29, v9
	v_and_b32_e32 v6, 7, v6
	v_cmp_gt_u32_e32 vcc, 8, v5
	v_cndmask_b32_e32 v5, v8, v7, vcc
	v_cndmask_b32_e32 v3, v3, v6, vcc
	v_lshlrev_b32_e32 v6, 24, v54
	v_lshlrev_b32_e32 v3, 20, v3
	v_and_b32_e32 v6, 0x80000000, v6
	v_lshl_add_u32 v5, v5, 23, v61
	v_or3_b32 v3, v6, v5, v3
.LBB6_5389:                             ;   in Loop: Header=BB6_4900 Depth=2
	s_or_b64 exec, exec, s[62:63]
.LBB6_5390:                             ;   in Loop: Header=BB6_4900 Depth=2
	s_or_b64 exec, exec, s[60:61]
.LBB6_5391:                             ;   in Loop: Header=BB6_4900 Depth=2
	s_or_b64 exec, exec, s[58:59]
	v_and_b32_e32 v16, 0xff, v27
	v_cmp_ne_u16_e32 vcc, 0, v16
	s_and_saveexec_b64 s[58:59], vcc
	s_cbranch_execz .LBB6_5397
; %bb.5392:                             ;   in Loop: Header=BB6_4900 Depth=2
	v_cmp_ne_u16_e32 vcc, s69, v16
	v_bfrev_b32_e32 v4, 1
	s_and_saveexec_b64 s[60:61], vcc
	s_cbranch_execz .LBB6_5396
; %bb.5393:                             ;   in Loop: Header=BB6_4900 Depth=2
	v_and_b32_e32 v5, 0x7f, v27
	v_cmp_ne_u32_e32 vcc, s71, v5
	v_mov_b32_e32 v4, 0x7f800001
	s_and_saveexec_b64 s[62:63], vcc
	s_cbranch_execz .LBB6_5395
; %bb.5394:                             ;   in Loop: Header=BB6_4900 Depth=2
	v_and_b32_e32 v4, 7, v16
	v_ffbh_u32_e32 v6, v4
	v_min_u32_e32 v9, 32, v6
	v_subrev_u32_e32 v6, 28, v9
	v_lshlrev_b64 v[6:7], v6, v[16:17]
	v_lshrrev_b32_e32 v8, 3, v5
	v_sub_u32_e32 v7, 29, v9
	v_and_b32_e32 v6, 7, v6
	v_cmp_gt_u32_e32 vcc, 8, v5
	v_cndmask_b32_e32 v5, v8, v7, vcc
	v_cndmask_b32_e32 v4, v4, v6, vcc
	v_lshlrev_b32_e32 v6, 24, v27
	v_lshlrev_b32_e32 v4, 20, v4
	v_and_b32_e32 v6, 0x80000000, v6
	v_lshl_add_u32 v5, v5, 23, v61
	v_or3_b32 v4, v6, v5, v4
.LBB6_5395:                             ;   in Loop: Header=BB6_4900 Depth=2
	s_or_b64 exec, exec, s[62:63]
.LBB6_5396:                             ;   in Loop: Header=BB6_4900 Depth=2
	s_or_b64 exec, exec, s[60:61]
.LBB6_5397:                             ;   in Loop: Header=BB6_4900 Depth=2
	s_or_b64 exec, exec, s[58:59]
	v_max_f32_e32 v4, v4, v4
	v_max_f32_e32 v3, v3, v3
	;; [unrolled: 1-line block ×3, first 2 shown]
	s_branch .LBB6_5412
.LBB6_5398:                             ;   in Loop: Header=BB6_4900 Depth=2
                                        ; implicit-def: $vgpr3
	s_cbranch_execz .LBB6_5412
; %bb.5399:                             ;   in Loop: Header=BB6_4900 Depth=2
	v_mov_b32_e32 v4, 0
	v_mov_b32_e32 v3, 0
	s_and_saveexec_b64 s[58:59], s[20:21]
	s_cbranch_execz .LBB6_5405
; %bb.5400:                             ;   in Loop: Header=BB6_4900 Depth=2
	v_cmp_ne_u16_e32 vcc, s69, v2
	v_bfrev_b32_e32 v3, 1
	s_and_saveexec_b64 s[20:21], vcc
	s_cbranch_execz .LBB6_5404
; %bb.5401:                             ;   in Loop: Header=BB6_4900 Depth=2
	v_and_b32_e32 v5, 0x7f, v54
	v_cmp_ne_u32_e32 vcc, s71, v5
	v_mov_b32_e32 v3, 0x7f800001
	s_and_saveexec_b64 s[60:61], vcc
	s_cbranch_execz .LBB6_5403
; %bb.5402:                             ;   in Loop: Header=BB6_4900 Depth=2
	v_and_b32_e32 v6, 7, v2
	v_ffbh_u32_e32 v3, v6
	v_min_u32_e32 v8, 32, v3
	v_subrev_u32_e32 v3, 28, v8
	v_lshlrev_b64 v[2:3], v3, v[2:3]
	v_lshrrev_b32_e32 v7, 3, v5
	v_sub_u32_e32 v3, 29, v8
	v_and_b32_e32 v2, 7, v2
	v_cmp_gt_u32_e32 vcc, 8, v5
	v_cndmask_b32_e32 v3, v7, v3, vcc
	v_cndmask_b32_e32 v2, v6, v2, vcc
	v_lshlrev_b32_e32 v5, 24, v54
	v_lshlrev_b32_e32 v2, 20, v2
	v_and_b32_e32 v5, 0x80000000, v5
	v_lshl_add_u32 v3, v3, 23, v61
	v_or3_b32 v3, v5, v3, v2
.LBB6_5403:                             ;   in Loop: Header=BB6_4900 Depth=2
	s_or_b64 exec, exec, s[60:61]
.LBB6_5404:                             ;   in Loop: Header=BB6_4900 Depth=2
	s_or_b64 exec, exec, s[20:21]
.LBB6_5405:                             ;   in Loop: Header=BB6_4900 Depth=2
	s_or_b64 exec, exec, s[58:59]
	v_and_b32_e32 v2, 0xff, v27
	v_cmp_ne_u16_e32 vcc, 0, v2
	s_and_saveexec_b64 s[20:21], vcc
	s_cbranch_execz .LBB6_5411
; %bb.5406:                             ;   in Loop: Header=BB6_4900 Depth=2
	v_cmp_ne_u16_e32 vcc, s69, v2
	v_bfrev_b32_e32 v4, 1
	s_and_saveexec_b64 s[58:59], vcc
	s_cbranch_execz .LBB6_5410
; %bb.5407:                             ;   in Loop: Header=BB6_4900 Depth=2
	v_and_b32_e32 v5, 0x7f, v27
	v_cmp_ne_u32_e32 vcc, s71, v5
	v_mov_b32_e32 v4, 0x7f800001
	s_and_saveexec_b64 s[60:61], vcc
	s_cbranch_execz .LBB6_5409
; %bb.5408:                             ;   in Loop: Header=BB6_4900 Depth=2
	v_and_b32_e32 v4, 7, v2
	v_ffbh_u32_e32 v6, v4
	v_min_u32_e32 v9, 32, v6
	v_subrev_u32_e32 v6, 28, v9
	v_lshlrev_b64 v[6:7], v6, v[2:3]
	v_lshrrev_b32_e32 v8, 3, v5
	v_sub_u32_e32 v2, 29, v9
	v_and_b32_e32 v6, 7, v6
	v_cmp_gt_u32_e32 vcc, 8, v5
	v_cndmask_b32_e32 v2, v8, v2, vcc
	v_cndmask_b32_e32 v4, v4, v6, vcc
	v_lshlrev_b32_e32 v5, 24, v27
	v_lshlrev_b32_e32 v4, 20, v4
	v_and_b32_e32 v5, 0x80000000, v5
	v_lshl_add_u32 v2, v2, 23, v61
	v_or3_b32 v4, v5, v2, v4
.LBB6_5409:                             ;   in Loop: Header=BB6_4900 Depth=2
	s_or_b64 exec, exec, s[60:61]
.LBB6_5410:                             ;   in Loop: Header=BB6_4900 Depth=2
	s_or_b64 exec, exec, s[58:59]
.LBB6_5411:                             ;   in Loop: Header=BB6_4900 Depth=2
	s_or_b64 exec, exec, s[20:21]
	v_max_f32_e32 v2, v4, v4
	v_max_f32_e32 v3, v3, v3
	v_min_f32_e32 v3, v3, v2
.LBB6_5412:                             ;   in Loop: Header=BB6_4900 Depth=2
	v_and_b32_sdwa v4, v3, s69 dst_sel:DWORD dst_unused:UNUSED_PAD src0_sel:BYTE_3 src1_sel:DWORD
	v_and_b32_e32 v6, 0x7f800000, v3
	v_mov_b32_e32 v7, v53
	v_and_b32_e32 v52, 0x7fffff, v3
	v_or_b32_e32 v27, 0x7e, v4
	v_cmp_ne_u64_e32 vcc, s[40:41], v[6:7]
	s_and_saveexec_b64 s[20:21], vcc
	s_xor_b64 s[58:59], exec, s[20:21]
	s_cbranch_execz .LBB6_5426
; %bb.5413:                             ;   in Loop: Header=BB6_4900 Depth=2
	v_and_b32_e32 v6, 0x7fffffff, v3
	v_mov_b32_e32 v7, v53
	v_cmp_gt_u64_e32 vcc, s[42:43], v[6:7]
	s_and_saveexec_b64 s[20:21], vcc
	s_xor_b64 s[60:61], exec, s[20:21]
	s_cbranch_execz .LBB6_5425
; %bb.5414:                             ;   in Loop: Header=BB6_4900 Depth=2
	v_cmp_ne_u32_e32 vcc, 0, v3
	v_mov_b32_e32 v27, 0
	s_and_saveexec_b64 s[62:63], vcc
	s_cbranch_execz .LBB6_5424
; %bb.5415:                             ;   in Loop: Header=BB6_4900 Depth=2
	v_bfe_u32 v2, v3, 23, 8
	v_sub_u32_e32 v5, 0x79, v2
	v_cmp_gt_u32_e32 vcc, s73, v2
	v_cndmask_b32_e32 v5, 0, v5, vcc
	v_cmp_eq_u32_e32 vcc, 0, v2
	v_or_b32_e32 v6, 0x800000, v52
	v_cndmask_b32_e32 v5, v5, v32, vcc
	v_add_u32_e32 v3, 0xffffff81, v2
	v_cndmask_b32_e32 v52, v6, v52, vcc
	v_add_u32_e32 v2, 20, v5
	v_cndmask_b32_e32 v16, v3, v33, vcc
	v_lshlrev_b64 v[2:3], v2, -1
	v_lshrrev_b64 v[8:9], v5, v[52:53]
	v_not_b32_e32 v3, v3
	v_not_b32_e32 v2, v2
	v_add_u32_e32 v6, 19, v5
	v_lshrrev_b32_e32 v20, 23, v8
	v_and_b32_e32 v3, 0, v3
	v_and_b32_e32 v2, v52, v2
	v_lshlrev_b64 v[6:7], v6, 1
	v_add3_u32 v20, v5, v16, v20
	v_bfe_u32 v5, v8, 20, 1
	v_add_u32_e32 v5, -1, v5
	v_cmp_eq_u64_e32 vcc, v[2:3], v[6:7]
	v_cndmask_b32_e32 v2, 0, v5, vcc
	v_add_u32_e32 v2, v2, v8
	v_and_b32_e32 v2, 0xfffff, v2
	v_add_co_u32_e32 v2, vcc, v2, v8
	v_add_u32_e32 v16, 6, v20
	v_addc_co_u32_e32 v3, vcc, 0, v9, vcc
	v_cmp_ne_u32_e32 vcc, 0, v16
                                        ; implicit-def: $vgpr5
	s_and_saveexec_b64 s[20:21], vcc
	s_xor_b64 s[20:21], exec, s[20:21]
; %bb.5416:                             ;   in Loop: Header=BB6_4900 Depth=2
	v_cmp_lt_u64_e32 vcc, s[46:47], v[2:3]
	v_add_u32_e32 v5, 7, v20
	v_cndmask_b32_e64 v6, 0, 1, vcc
	v_cndmask_b32_e32 v5, v16, v5, vcc
	v_lshrrev_b64 v[2:3], v6, v[2:3]
; %bb.5417:                             ;   in Loop: Header=BB6_4900 Depth=2
	s_andn2_saveexec_b64 s[20:21], s[20:21]
; %bb.5418:                             ;   in Loop: Header=BB6_4900 Depth=2
	v_bfe_u32 v5, v2, 23, 1
; %bb.5419:                             ;   in Loop: Header=BB6_4900 Depth=2
	s_or_b64 exec, exec, s[20:21]
	v_lshrrev_b64 v[2:3], 20, v[2:3]
	v_cmp_gt_i32_e32 vcc, 16, v5
	v_cndmask_b32_e32 v3, 0, v3, vcc
	v_cndmask_b32_e32 v2, 7, v2, vcc
	v_cmp_ne_u32_e32 vcc, 0, v5
	v_cmp_ne_u64_e64 s[20:21], 0, v[2:3]
	s_or_b64 s[20:21], vcc, s[20:21]
                                        ; implicit-def: $vgpr27
	s_and_saveexec_b64 vcc, s[20:21]
	s_xor_b64 s[20:21], exec, vcc
; %bb.5420:                             ;   in Loop: Header=BB6_4900 Depth=2
	v_min_i32_e32 v3, 15, v5
	v_lshl_or_b32 v3, v3, 3, v4
	v_and_or_b32 v27, v2, 7, v3
                                        ; implicit-def: $vgpr4
; %bb.5421:                             ;   in Loop: Header=BB6_4900 Depth=2
	s_andn2_saveexec_b64 s[20:21], s[20:21]
; %bb.5422:                             ;   in Loop: Header=BB6_4900 Depth=2
	v_mov_b32_e32 v27, v4
; %bb.5423:                             ;   in Loop: Header=BB6_4900 Depth=2
	s_or_b64 exec, exec, s[20:21]
.LBB6_5424:                             ;   in Loop: Header=BB6_4900 Depth=2
	s_or_b64 exec, exec, s[62:63]
.LBB6_5425:                             ;   in Loop: Header=BB6_4900 Depth=2
	s_andn2_saveexec_b64 s[20:21], s[60:61]
	s_or_b64 exec, exec, s[20:21]
                                        ; implicit-def: $vgpr3
.LBB6_5426:                             ;   in Loop: Header=BB6_4900 Depth=2
	s_andn2_saveexec_b64 s[20:21], s[58:59]
; %bb.5427:                             ;   in Loop: Header=BB6_4900 Depth=2
	v_or_b32_sdwa v2, v3, s71 dst_sel:DWORD dst_unused:UNUSED_PAD src0_sel:BYTE_3 src1_sel:DWORD
	v_cmp_eq_u64_e32 vcc, 0, v[52:53]
	v_cndmask_b32_e32 v27, v2, v27, vcc
; %bb.5428:                             ;   in Loop: Header=BB6_4900 Depth=2
	s_or_b64 exec, exec, s[20:21]
	v_and_b32_e32 v2, 0xff, v35
	s_and_b64 vcc, exec, s[18:19]
	v_cmp_ne_u16_e64 s[20:21], 0, v2
	s_cbranch_vccnz .LBB6_5442
; %bb.5429:                             ;   in Loop: Header=BB6_4900 Depth=2
	v_mov_b32_e32 v4, 0
	v_mov_b32_e32 v3, 0
	s_and_saveexec_b64 s[58:59], s[20:21]
	s_cbranch_execz .LBB6_5435
; %bb.5430:                             ;   in Loop: Header=BB6_4900 Depth=2
	v_cmp_ne_u16_e32 vcc, s69, v2
	v_bfrev_b32_e32 v3, 1
	s_and_saveexec_b64 s[60:61], vcc
	s_cbranch_execz .LBB6_5434
; %bb.5431:                             ;   in Loop: Header=BB6_4900 Depth=2
	v_and_b32_e32 v5, 0x7f, v35
	v_cmp_ne_u32_e32 vcc, s71, v5
	v_mov_b32_e32 v3, 0x7f800001
	s_and_saveexec_b64 s[62:63], vcc
	s_cbranch_execz .LBB6_5433
; %bb.5432:                             ;   in Loop: Header=BB6_4900 Depth=2
	v_and_b32_e32 v3, 7, v2
	v_ffbh_u32_e32 v6, v3
	v_min_u32_e32 v9, 32, v6
	v_subrev_u32_e32 v6, 28, v9
	v_lshlrev_b64 v[6:7], v6, v[2:3]
	v_lshrrev_b32_e32 v8, 3, v5
	v_sub_u32_e32 v7, 29, v9
	v_and_b32_e32 v6, 7, v6
	v_cmp_gt_u32_e32 vcc, 8, v5
	v_cndmask_b32_e32 v5, v8, v7, vcc
	v_cndmask_b32_e32 v3, v3, v6, vcc
	v_lshlrev_b32_e32 v6, 24, v35
	v_lshlrev_b32_e32 v3, 20, v3
	v_and_b32_e32 v6, 0x80000000, v6
	v_lshl_add_u32 v5, v5, 23, v61
	v_or3_b32 v3, v6, v5, v3
.LBB6_5433:                             ;   in Loop: Header=BB6_4900 Depth=2
	s_or_b64 exec, exec, s[62:63]
.LBB6_5434:                             ;   in Loop: Header=BB6_4900 Depth=2
	s_or_b64 exec, exec, s[60:61]
.LBB6_5435:                             ;   in Loop: Header=BB6_4900 Depth=2
	s_or_b64 exec, exec, s[58:59]
	v_and_b32_e32 v16, 0xff, v34
	v_cmp_ne_u16_e32 vcc, 0, v16
	s_and_saveexec_b64 s[58:59], vcc
	s_cbranch_execz .LBB6_5441
; %bb.5436:                             ;   in Loop: Header=BB6_4900 Depth=2
	v_cmp_ne_u16_e32 vcc, s69, v16
	v_bfrev_b32_e32 v4, 1
	s_and_saveexec_b64 s[60:61], vcc
	s_cbranch_execz .LBB6_5440
; %bb.5437:                             ;   in Loop: Header=BB6_4900 Depth=2
	v_and_b32_e32 v5, 0x7f, v34
	v_cmp_ne_u32_e32 vcc, s71, v5
	v_mov_b32_e32 v4, 0x7f800001
	s_and_saveexec_b64 s[62:63], vcc
	s_cbranch_execz .LBB6_5439
; %bb.5438:                             ;   in Loop: Header=BB6_4900 Depth=2
	v_and_b32_e32 v4, 7, v16
	v_ffbh_u32_e32 v6, v4
	v_min_u32_e32 v9, 32, v6
	v_subrev_u32_e32 v6, 28, v9
	v_lshlrev_b64 v[6:7], v6, v[16:17]
	v_lshrrev_b32_e32 v8, 3, v5
	v_sub_u32_e32 v7, 29, v9
	v_and_b32_e32 v6, 7, v6
	v_cmp_gt_u32_e32 vcc, 8, v5
	v_cndmask_b32_e32 v5, v8, v7, vcc
	v_cndmask_b32_e32 v4, v4, v6, vcc
	v_lshlrev_b32_e32 v6, 24, v34
	v_lshlrev_b32_e32 v4, 20, v4
	v_and_b32_e32 v6, 0x80000000, v6
	v_lshl_add_u32 v5, v5, 23, v61
	v_or3_b32 v4, v6, v5, v4
.LBB6_5439:                             ;   in Loop: Header=BB6_4900 Depth=2
	s_or_b64 exec, exec, s[62:63]
.LBB6_5440:                             ;   in Loop: Header=BB6_4900 Depth=2
	s_or_b64 exec, exec, s[60:61]
.LBB6_5441:                             ;   in Loop: Header=BB6_4900 Depth=2
	s_or_b64 exec, exec, s[58:59]
	v_max_f32_e32 v4, v4, v4
	v_max_f32_e32 v3, v3, v3
	;; [unrolled: 1-line block ×3, first 2 shown]
	s_branch .LBB6_5456
.LBB6_5442:                             ;   in Loop: Header=BB6_4900 Depth=2
                                        ; implicit-def: $vgpr3
	s_cbranch_execz .LBB6_5456
; %bb.5443:                             ;   in Loop: Header=BB6_4900 Depth=2
	v_mov_b32_e32 v4, 0
	v_mov_b32_e32 v3, 0
	s_and_saveexec_b64 s[58:59], s[20:21]
	s_cbranch_execz .LBB6_5449
; %bb.5444:                             ;   in Loop: Header=BB6_4900 Depth=2
	v_cmp_ne_u16_e32 vcc, s69, v2
	v_bfrev_b32_e32 v3, 1
	s_and_saveexec_b64 s[20:21], vcc
	s_cbranch_execz .LBB6_5448
; %bb.5445:                             ;   in Loop: Header=BB6_4900 Depth=2
	v_and_b32_e32 v5, 0x7f, v35
	v_cmp_ne_u32_e32 vcc, s71, v5
	v_mov_b32_e32 v3, 0x7f800001
	s_and_saveexec_b64 s[60:61], vcc
	s_cbranch_execz .LBB6_5447
; %bb.5446:                             ;   in Loop: Header=BB6_4900 Depth=2
	v_and_b32_e32 v6, 7, v2
	v_ffbh_u32_e32 v3, v6
	v_min_u32_e32 v8, 32, v3
	v_subrev_u32_e32 v3, 28, v8
	v_lshlrev_b64 v[2:3], v3, v[2:3]
	v_lshrrev_b32_e32 v7, 3, v5
	v_sub_u32_e32 v3, 29, v8
	v_and_b32_e32 v2, 7, v2
	v_cmp_gt_u32_e32 vcc, 8, v5
	v_cndmask_b32_e32 v3, v7, v3, vcc
	v_cndmask_b32_e32 v2, v6, v2, vcc
	v_lshlrev_b32_e32 v5, 24, v35
	v_lshlrev_b32_e32 v2, 20, v2
	v_and_b32_e32 v5, 0x80000000, v5
	v_lshl_add_u32 v3, v3, 23, v61
	v_or3_b32 v3, v5, v3, v2
.LBB6_5447:                             ;   in Loop: Header=BB6_4900 Depth=2
	s_or_b64 exec, exec, s[60:61]
.LBB6_5448:                             ;   in Loop: Header=BB6_4900 Depth=2
	s_or_b64 exec, exec, s[20:21]
.LBB6_5449:                             ;   in Loop: Header=BB6_4900 Depth=2
	s_or_b64 exec, exec, s[58:59]
	v_and_b32_e32 v2, 0xff, v34
	v_cmp_ne_u16_e32 vcc, 0, v2
	s_and_saveexec_b64 s[20:21], vcc
	s_cbranch_execz .LBB6_5455
; %bb.5450:                             ;   in Loop: Header=BB6_4900 Depth=2
	v_cmp_ne_u16_e32 vcc, s69, v2
	v_bfrev_b32_e32 v4, 1
	s_and_saveexec_b64 s[58:59], vcc
	s_cbranch_execz .LBB6_5454
; %bb.5451:                             ;   in Loop: Header=BB6_4900 Depth=2
	v_and_b32_e32 v5, 0x7f, v34
	v_cmp_ne_u32_e32 vcc, s71, v5
	v_mov_b32_e32 v4, 0x7f800001
	s_and_saveexec_b64 s[60:61], vcc
	s_cbranch_execz .LBB6_5453
; %bb.5452:                             ;   in Loop: Header=BB6_4900 Depth=2
	v_and_b32_e32 v4, 7, v2
	v_ffbh_u32_e32 v6, v4
	v_min_u32_e32 v9, 32, v6
	v_subrev_u32_e32 v6, 28, v9
	v_lshlrev_b64 v[6:7], v6, v[2:3]
	v_lshrrev_b32_e32 v8, 3, v5
	v_sub_u32_e32 v2, 29, v9
	v_and_b32_e32 v6, 7, v6
	v_cmp_gt_u32_e32 vcc, 8, v5
	v_cndmask_b32_e32 v2, v8, v2, vcc
	v_cndmask_b32_e32 v4, v4, v6, vcc
	v_lshlrev_b32_e32 v5, 24, v34
	v_lshlrev_b32_e32 v4, 20, v4
	v_and_b32_e32 v5, 0x80000000, v5
	v_lshl_add_u32 v2, v2, 23, v61
	v_or3_b32 v4, v5, v2, v4
.LBB6_5453:                             ;   in Loop: Header=BB6_4900 Depth=2
	s_or_b64 exec, exec, s[60:61]
.LBB6_5454:                             ;   in Loop: Header=BB6_4900 Depth=2
	s_or_b64 exec, exec, s[58:59]
.LBB6_5455:                             ;   in Loop: Header=BB6_4900 Depth=2
	s_or_b64 exec, exec, s[20:21]
	v_max_f32_e32 v2, v4, v4
	v_max_f32_e32 v3, v3, v3
	v_min_f32_e32 v3, v3, v2
.LBB6_5456:                             ;   in Loop: Header=BB6_4900 Depth=2
	v_and_b32_sdwa v5, v3, s69 dst_sel:DWORD dst_unused:UNUSED_PAD src0_sel:BYTE_3 src1_sel:DWORD
	v_and_b32_e32 v6, 0x7f800000, v3
	v_mov_b32_e32 v7, v53
	v_and_b32_e32 v52, 0x7fffff, v3
	v_or_b32_e32 v4, 0x7e, v5
	v_cmp_ne_u64_e32 vcc, s[40:41], v[6:7]
	s_and_saveexec_b64 s[20:21], vcc
	s_xor_b64 s[58:59], exec, s[20:21]
	s_cbranch_execz .LBB6_5470
; %bb.5457:                             ;   in Loop: Header=BB6_4900 Depth=2
	v_and_b32_e32 v6, 0x7fffffff, v3
	v_mov_b32_e32 v7, v53
	v_cmp_gt_u64_e32 vcc, s[42:43], v[6:7]
	s_and_saveexec_b64 s[20:21], vcc
	s_xor_b64 s[60:61], exec, s[20:21]
	s_cbranch_execz .LBB6_5469
; %bb.5458:                             ;   in Loop: Header=BB6_4900 Depth=2
	v_cmp_ne_u32_e32 vcc, 0, v3
	v_mov_b32_e32 v4, 0
	s_and_saveexec_b64 s[62:63], vcc
	s_cbranch_execz .LBB6_5468
; %bb.5459:                             ;   in Loop: Header=BB6_4900 Depth=2
	v_bfe_u32 v2, v3, 23, 8
	v_sub_u32_e32 v4, 0x79, v2
	v_cmp_gt_u32_e32 vcc, s73, v2
	v_cndmask_b32_e32 v4, 0, v4, vcc
	v_cmp_eq_u32_e32 vcc, 0, v2
	v_or_b32_e32 v6, 0x800000, v52
	v_cndmask_b32_e32 v4, v4, v32, vcc
	v_add_u32_e32 v3, 0xffffff81, v2
	v_cndmask_b32_e32 v52, v6, v52, vcc
	v_add_u32_e32 v2, 20, v4
	v_cndmask_b32_e32 v16, v3, v33, vcc
	v_lshlrev_b64 v[2:3], v2, -1
	v_lshrrev_b64 v[8:9], v4, v[52:53]
	v_not_b32_e32 v3, v3
	v_not_b32_e32 v2, v2
	v_add_u32_e32 v6, 19, v4
	v_lshrrev_b32_e32 v20, 23, v8
	v_and_b32_e32 v3, 0, v3
	v_and_b32_e32 v2, v52, v2
	v_lshlrev_b64 v[6:7], v6, 1
	v_add3_u32 v20, v4, v16, v20
	v_bfe_u32 v16, v8, 20, 1
	v_add_u32_e32 v16, -1, v16
	v_cmp_eq_u64_e32 vcc, v[2:3], v[6:7]
	v_cndmask_b32_e32 v2, 0, v16, vcc
	v_add_u32_e32 v2, v2, v8
	v_and_b32_e32 v2, 0xfffff, v2
	v_add_co_u32_e32 v2, vcc, v2, v8
	v_add_u32_e32 v4, 6, v20
	v_addc_co_u32_e32 v3, vcc, 0, v9, vcc
	v_cmp_ne_u32_e32 vcc, 0, v4
                                        ; implicit-def: $vgpr16
	s_and_saveexec_b64 s[20:21], vcc
	s_xor_b64 s[20:21], exec, s[20:21]
; %bb.5460:                             ;   in Loop: Header=BB6_4900 Depth=2
	v_add_u32_e32 v6, 7, v20
	v_cmp_lt_u64_e32 vcc, s[46:47], v[2:3]
	v_cndmask_b32_e32 v16, v4, v6, vcc
	v_cndmask_b32_e64 v4, 0, 1, vcc
	v_lshrrev_b64 v[2:3], v4, v[2:3]
; %bb.5461:                             ;   in Loop: Header=BB6_4900 Depth=2
	s_andn2_saveexec_b64 s[20:21], s[20:21]
; %bb.5462:                             ;   in Loop: Header=BB6_4900 Depth=2
	v_bfe_u32 v16, v2, 23, 1
; %bb.5463:                             ;   in Loop: Header=BB6_4900 Depth=2
	s_or_b64 exec, exec, s[20:21]
	v_lshrrev_b64 v[2:3], 20, v[2:3]
	v_cmp_gt_i32_e32 vcc, 16, v16
	v_cndmask_b32_e32 v3, 0, v3, vcc
	v_cndmask_b32_e32 v2, 7, v2, vcc
	v_cmp_ne_u32_e32 vcc, 0, v16
	v_cmp_ne_u64_e64 s[20:21], 0, v[2:3]
	s_or_b64 s[20:21], vcc, s[20:21]
                                        ; implicit-def: $vgpr4
	s_and_saveexec_b64 vcc, s[20:21]
	s_xor_b64 s[20:21], exec, vcc
; %bb.5464:                             ;   in Loop: Header=BB6_4900 Depth=2
	v_min_i32_e32 v3, 15, v16
	v_lshl_or_b32 v3, v3, 3, v5
	v_and_or_b32 v4, v2, 7, v3
                                        ; implicit-def: $vgpr5
; %bb.5465:                             ;   in Loop: Header=BB6_4900 Depth=2
	s_andn2_saveexec_b64 s[20:21], s[20:21]
; %bb.5466:                             ;   in Loop: Header=BB6_4900 Depth=2
	v_mov_b32_e32 v4, v5
; %bb.5467:                             ;   in Loop: Header=BB6_4900 Depth=2
	s_or_b64 exec, exec, s[20:21]
.LBB6_5468:                             ;   in Loop: Header=BB6_4900 Depth=2
	s_or_b64 exec, exec, s[62:63]
.LBB6_5469:                             ;   in Loop: Header=BB6_4900 Depth=2
	s_andn2_saveexec_b64 s[20:21], s[60:61]
	s_or_b64 exec, exec, s[20:21]
                                        ; implicit-def: $vgpr3
.LBB6_5470:                             ;   in Loop: Header=BB6_4900 Depth=2
	s_andn2_saveexec_b64 s[20:21], s[58:59]
; %bb.5471:                             ;   in Loop: Header=BB6_4900 Depth=2
	v_or_b32_sdwa v2, v3, s71 dst_sel:DWORD dst_unused:UNUSED_PAD src0_sel:BYTE_3 src1_sel:DWORD
	v_cmp_eq_u64_e32 vcc, 0, v[52:53]
	v_cndmask_b32_e32 v4, v2, v4, vcc
; %bb.5472:                             ;   in Loop: Header=BB6_4900 Depth=2
	s_or_b64 exec, exec, s[20:21]
	v_and_b32_e32 v2, 0xff, v30
	s_and_b64 vcc, exec, s[18:19]
	v_cmp_ne_u16_e64 s[20:21], 0, v2
	s_cbranch_vccnz .LBB6_5486
; %bb.5473:                             ;   in Loop: Header=BB6_4900 Depth=2
	v_mov_b32_e32 v5, 0
	v_mov_b32_e32 v3, 0
	s_and_saveexec_b64 s[58:59], s[20:21]
	s_cbranch_execz .LBB6_5479
; %bb.5474:                             ;   in Loop: Header=BB6_4900 Depth=2
	v_cmp_ne_u16_e32 vcc, s69, v2
	v_bfrev_b32_e32 v3, 1
	s_and_saveexec_b64 s[60:61], vcc
	s_cbranch_execz .LBB6_5478
; %bb.5475:                             ;   in Loop: Header=BB6_4900 Depth=2
	v_and_b32_e32 v16, 0x7f, v30
	v_cmp_ne_u32_e32 vcc, s71, v16
	v_mov_b32_e32 v3, 0x7f800001
	s_and_saveexec_b64 s[62:63], vcc
	s_cbranch_execz .LBB6_5477
; %bb.5476:                             ;   in Loop: Header=BB6_4900 Depth=2
	v_and_b32_e32 v3, 7, v2
	v_ffbh_u32_e32 v6, v3
	v_min_u32_e32 v9, 32, v6
	v_subrev_u32_e32 v6, 28, v9
	v_lshlrev_b64 v[6:7], v6, v[2:3]
	v_lshrrev_b32_e32 v8, 3, v16
	v_sub_u32_e32 v7, 29, v9
	v_and_b32_e32 v6, 7, v6
	v_cmp_gt_u32_e32 vcc, 8, v16
	v_cndmask_b32_e32 v7, v8, v7, vcc
	v_cndmask_b32_e32 v3, v3, v6, vcc
	v_lshlrev_b32_e32 v6, 24, v30
	v_lshlrev_b32_e32 v3, 20, v3
	v_and_b32_e32 v6, 0x80000000, v6
	v_lshl_add_u32 v7, v7, 23, v61
	v_or3_b32 v3, v6, v7, v3
.LBB6_5477:                             ;   in Loop: Header=BB6_4900 Depth=2
	s_or_b64 exec, exec, s[62:63]
.LBB6_5478:                             ;   in Loop: Header=BB6_4900 Depth=2
	s_or_b64 exec, exec, s[60:61]
.LBB6_5479:                             ;   in Loop: Header=BB6_4900 Depth=2
	s_or_b64 exec, exec, s[58:59]
	v_and_b32_e32 v16, 0xff, v29
	v_cmp_ne_u16_e32 vcc, 0, v16
	s_and_saveexec_b64 s[58:59], vcc
	s_cbranch_execz .LBB6_5485
; %bb.5480:                             ;   in Loop: Header=BB6_4900 Depth=2
	v_cmp_ne_u16_e32 vcc, s69, v16
	v_bfrev_b32_e32 v5, 1
	s_and_saveexec_b64 s[60:61], vcc
	s_cbranch_execz .LBB6_5484
; %bb.5481:                             ;   in Loop: Header=BB6_4900 Depth=2
	v_and_b32_e32 v20, 0x7f, v29
	v_cmp_ne_u32_e32 vcc, s71, v20
	v_mov_b32_e32 v5, 0x7f800001
	s_and_saveexec_b64 s[62:63], vcc
	s_cbranch_execz .LBB6_5483
; %bb.5482:                             ;   in Loop: Header=BB6_4900 Depth=2
	v_and_b32_e32 v5, 7, v16
	v_ffbh_u32_e32 v6, v5
	v_min_u32_e32 v9, 32, v6
	v_subrev_u32_e32 v6, 28, v9
	v_lshlrev_b64 v[6:7], v6, v[16:17]
	v_lshrrev_b32_e32 v8, 3, v20
	v_sub_u32_e32 v7, 29, v9
	v_and_b32_e32 v6, 7, v6
	v_cmp_gt_u32_e32 vcc, 8, v20
	v_cndmask_b32_e32 v7, v8, v7, vcc
	v_cndmask_b32_e32 v5, v5, v6, vcc
	v_lshlrev_b32_e32 v6, 24, v29
	v_lshlrev_b32_e32 v5, 20, v5
	v_and_b32_e32 v6, 0x80000000, v6
	v_lshl_add_u32 v7, v7, 23, v61
	v_or3_b32 v5, v6, v7, v5
.LBB6_5483:                             ;   in Loop: Header=BB6_4900 Depth=2
	s_or_b64 exec, exec, s[62:63]
.LBB6_5484:                             ;   in Loop: Header=BB6_4900 Depth=2
	s_or_b64 exec, exec, s[60:61]
.LBB6_5485:                             ;   in Loop: Header=BB6_4900 Depth=2
	s_or_b64 exec, exec, s[58:59]
	v_max_f32_e32 v5, v5, v5
	v_max_f32_e32 v3, v3, v3
	;; [unrolled: 1-line block ×3, first 2 shown]
	s_branch .LBB6_5500
.LBB6_5486:                             ;   in Loop: Header=BB6_4900 Depth=2
                                        ; implicit-def: $vgpr3
	s_cbranch_execz .LBB6_5500
; %bb.5487:                             ;   in Loop: Header=BB6_4900 Depth=2
	v_mov_b32_e32 v5, 0
	v_mov_b32_e32 v3, 0
	s_and_saveexec_b64 s[58:59], s[20:21]
	s_cbranch_execz .LBB6_5493
; %bb.5488:                             ;   in Loop: Header=BB6_4900 Depth=2
	v_cmp_ne_u16_e32 vcc, s69, v2
	v_bfrev_b32_e32 v3, 1
	s_and_saveexec_b64 s[20:21], vcc
	s_cbranch_execz .LBB6_5492
; %bb.5489:                             ;   in Loop: Header=BB6_4900 Depth=2
	v_and_b32_e32 v16, 0x7f, v30
	v_cmp_ne_u32_e32 vcc, s71, v16
	v_mov_b32_e32 v3, 0x7f800001
	s_and_saveexec_b64 s[60:61], vcc
	s_cbranch_execz .LBB6_5491
; %bb.5490:                             ;   in Loop: Header=BB6_4900 Depth=2
	v_and_b32_e32 v6, 7, v2
	v_ffbh_u32_e32 v3, v6
	v_min_u32_e32 v8, 32, v3
	v_subrev_u32_e32 v3, 28, v8
	v_lshlrev_b64 v[2:3], v3, v[2:3]
	v_lshrrev_b32_e32 v7, 3, v16
	v_sub_u32_e32 v3, 29, v8
	v_and_b32_e32 v2, 7, v2
	v_cmp_gt_u32_e32 vcc, 8, v16
	v_cndmask_b32_e32 v3, v7, v3, vcc
	v_cndmask_b32_e32 v2, v6, v2, vcc
	v_lshlrev_b32_e32 v6, 24, v30
	v_lshlrev_b32_e32 v2, 20, v2
	v_and_b32_e32 v6, 0x80000000, v6
	v_lshl_add_u32 v3, v3, 23, v61
	v_or3_b32 v3, v6, v3, v2
.LBB6_5491:                             ;   in Loop: Header=BB6_4900 Depth=2
	s_or_b64 exec, exec, s[60:61]
.LBB6_5492:                             ;   in Loop: Header=BB6_4900 Depth=2
	s_or_b64 exec, exec, s[20:21]
.LBB6_5493:                             ;   in Loop: Header=BB6_4900 Depth=2
	s_or_b64 exec, exec, s[58:59]
	v_and_b32_e32 v2, 0xff, v29
	v_cmp_ne_u16_e32 vcc, 0, v2
	s_and_saveexec_b64 s[20:21], vcc
	s_cbranch_execz .LBB6_5499
; %bb.5494:                             ;   in Loop: Header=BB6_4900 Depth=2
	v_cmp_ne_u16_e32 vcc, s69, v2
	v_bfrev_b32_e32 v5, 1
	s_and_saveexec_b64 s[58:59], vcc
	s_cbranch_execz .LBB6_5498
; %bb.5495:                             ;   in Loop: Header=BB6_4900 Depth=2
	v_and_b32_e32 v16, 0x7f, v29
	v_cmp_ne_u32_e32 vcc, s71, v16
	v_mov_b32_e32 v5, 0x7f800001
	s_and_saveexec_b64 s[60:61], vcc
	s_cbranch_execz .LBB6_5497
; %bb.5496:                             ;   in Loop: Header=BB6_4900 Depth=2
	v_and_b32_e32 v5, 7, v2
	v_ffbh_u32_e32 v6, v5
	v_min_u32_e32 v9, 32, v6
	v_subrev_u32_e32 v6, 28, v9
	v_lshlrev_b64 v[6:7], v6, v[2:3]
	v_lshrrev_b32_e32 v8, 3, v16
	v_sub_u32_e32 v2, 29, v9
	v_and_b32_e32 v6, 7, v6
	v_cmp_gt_u32_e32 vcc, 8, v16
	v_cndmask_b32_e32 v2, v8, v2, vcc
	v_cndmask_b32_e32 v5, v5, v6, vcc
	v_lshlrev_b32_e32 v6, 24, v29
	v_lshlrev_b32_e32 v5, 20, v5
	v_and_b32_e32 v6, 0x80000000, v6
	v_lshl_add_u32 v2, v2, 23, v61
	v_or3_b32 v5, v6, v2, v5
.LBB6_5497:                             ;   in Loop: Header=BB6_4900 Depth=2
	s_or_b64 exec, exec, s[60:61]
.LBB6_5498:                             ;   in Loop: Header=BB6_4900 Depth=2
	s_or_b64 exec, exec, s[58:59]
.LBB6_5499:                             ;   in Loop: Header=BB6_4900 Depth=2
	s_or_b64 exec, exec, s[20:21]
	v_max_f32_e32 v2, v5, v5
	v_max_f32_e32 v3, v3, v3
	v_min_f32_e32 v3, v3, v2
.LBB6_5500:                             ;   in Loop: Header=BB6_4900 Depth=2
	v_and_b32_sdwa v16, v3, s69 dst_sel:DWORD dst_unused:UNUSED_PAD src0_sel:BYTE_3 src1_sel:DWORD
	v_and_b32_e32 v6, 0x7f800000, v3
	v_mov_b32_e32 v7, v53
	v_and_b32_e32 v52, 0x7fffff, v3
	v_or_b32_e32 v5, 0x7e, v16
	v_cmp_ne_u64_e32 vcc, s[40:41], v[6:7]
	s_and_saveexec_b64 s[20:21], vcc
	s_xor_b64 s[58:59], exec, s[20:21]
	s_cbranch_execz .LBB6_5514
; %bb.5501:                             ;   in Loop: Header=BB6_4900 Depth=2
	v_and_b32_e32 v6, 0x7fffffff, v3
	v_mov_b32_e32 v7, v53
	v_cmp_gt_u64_e32 vcc, s[42:43], v[6:7]
	s_and_saveexec_b64 s[20:21], vcc
	s_xor_b64 s[60:61], exec, s[20:21]
	s_cbranch_execz .LBB6_5513
; %bb.5502:                             ;   in Loop: Header=BB6_4900 Depth=2
	v_cmp_ne_u32_e32 vcc, 0, v3
	v_mov_b32_e32 v5, 0
	s_and_saveexec_b64 s[62:63], vcc
	s_cbranch_execz .LBB6_5512
; %bb.5503:                             ;   in Loop: Header=BB6_4900 Depth=2
	v_bfe_u32 v2, v3, 23, 8
	v_sub_u32_e32 v5, 0x79, v2
	v_cmp_gt_u32_e32 vcc, s73, v2
	v_cndmask_b32_e32 v5, 0, v5, vcc
	v_cmp_eq_u32_e32 vcc, 0, v2
	v_or_b32_e32 v6, 0x800000, v52
	v_cndmask_b32_e32 v5, v5, v32, vcc
	v_add_u32_e32 v3, 0xffffff81, v2
	v_cndmask_b32_e32 v52, v6, v52, vcc
	v_add_u32_e32 v2, 20, v5
	v_cndmask_b32_e32 v20, v3, v33, vcc
	v_lshlrev_b64 v[2:3], v2, -1
	v_lshrrev_b64 v[8:9], v5, v[52:53]
	v_not_b32_e32 v3, v3
	v_not_b32_e32 v2, v2
	v_add_u32_e32 v6, 19, v5
	v_lshrrev_b32_e32 v29, 23, v8
	v_and_b32_e32 v3, 0, v3
	v_and_b32_e32 v2, v52, v2
	v_lshlrev_b64 v[6:7], v6, 1
	v_add3_u32 v29, v5, v20, v29
	v_bfe_u32 v20, v8, 20, 1
	v_add_u32_e32 v20, -1, v20
	v_cmp_eq_u64_e32 vcc, v[2:3], v[6:7]
	v_cndmask_b32_e32 v2, 0, v20, vcc
	v_add_u32_e32 v2, v2, v8
	v_and_b32_e32 v2, 0xfffff, v2
	v_add_co_u32_e32 v2, vcc, v2, v8
	v_add_u32_e32 v5, 6, v29
	v_addc_co_u32_e32 v3, vcc, 0, v9, vcc
	v_cmp_ne_u32_e32 vcc, 0, v5
                                        ; implicit-def: $vgpr20
	s_and_saveexec_b64 s[20:21], vcc
	s_xor_b64 s[20:21], exec, s[20:21]
; %bb.5504:                             ;   in Loop: Header=BB6_4900 Depth=2
	v_add_u32_e32 v6, 7, v29
	v_cmp_lt_u64_e32 vcc, s[46:47], v[2:3]
	v_cndmask_b32_e32 v20, v5, v6, vcc
	v_cndmask_b32_e64 v5, 0, 1, vcc
	v_lshrrev_b64 v[2:3], v5, v[2:3]
; %bb.5505:                             ;   in Loop: Header=BB6_4900 Depth=2
	s_andn2_saveexec_b64 s[20:21], s[20:21]
; %bb.5506:                             ;   in Loop: Header=BB6_4900 Depth=2
	v_bfe_u32 v20, v2, 23, 1
; %bb.5507:                             ;   in Loop: Header=BB6_4900 Depth=2
	s_or_b64 exec, exec, s[20:21]
	v_lshrrev_b64 v[2:3], 20, v[2:3]
	v_cmp_gt_i32_e32 vcc, 16, v20
	v_cndmask_b32_e32 v3, 0, v3, vcc
	v_cndmask_b32_e32 v2, 7, v2, vcc
	v_cmp_ne_u32_e32 vcc, 0, v20
	v_cmp_ne_u64_e64 s[20:21], 0, v[2:3]
	s_or_b64 s[20:21], vcc, s[20:21]
                                        ; implicit-def: $vgpr5
	s_and_saveexec_b64 vcc, s[20:21]
	s_xor_b64 s[20:21], exec, vcc
; %bb.5508:                             ;   in Loop: Header=BB6_4900 Depth=2
	v_min_i32_e32 v3, 15, v20
	v_lshl_or_b32 v3, v3, 3, v16
	v_and_or_b32 v5, v2, 7, v3
                                        ; implicit-def: $vgpr16
; %bb.5509:                             ;   in Loop: Header=BB6_4900 Depth=2
	s_andn2_saveexec_b64 s[20:21], s[20:21]
; %bb.5510:                             ;   in Loop: Header=BB6_4900 Depth=2
	v_mov_b32_e32 v5, v16
; %bb.5511:                             ;   in Loop: Header=BB6_4900 Depth=2
	s_or_b64 exec, exec, s[20:21]
.LBB6_5512:                             ;   in Loop: Header=BB6_4900 Depth=2
	s_or_b64 exec, exec, s[62:63]
.LBB6_5513:                             ;   in Loop: Header=BB6_4900 Depth=2
	s_andn2_saveexec_b64 s[20:21], s[60:61]
	s_or_b64 exec, exec, s[20:21]
                                        ; implicit-def: $vgpr3
.LBB6_5514:                             ;   in Loop: Header=BB6_4900 Depth=2
	s_andn2_saveexec_b64 s[20:21], s[58:59]
; %bb.5515:                             ;   in Loop: Header=BB6_4900 Depth=2
	v_or_b32_sdwa v2, v3, s71 dst_sel:DWORD dst_unused:UNUSED_PAD src0_sel:BYTE_3 src1_sel:DWORD
	v_cmp_eq_u64_e32 vcc, 0, v[52:53]
	v_cndmask_b32_e32 v5, v2, v5, vcc
; %bb.5516:                             ;   in Loop: Header=BB6_4900 Depth=2
	s_or_b64 exec, exec, s[20:21]
	v_and_b32_e32 v2, 0xff, v26
	s_and_b64 vcc, exec, s[18:19]
	v_cmp_ne_u16_e64 s[20:21], 0, v2
	s_cbranch_vccnz .LBB6_5530
; %bb.5517:                             ;   in Loop: Header=BB6_4900 Depth=2
	v_mov_b32_e32 v20, 0
	v_mov_b32_e32 v3, 0
	s_and_saveexec_b64 s[58:59], s[20:21]
	s_cbranch_execz .LBB6_5523
; %bb.5518:                             ;   in Loop: Header=BB6_4900 Depth=2
	v_cmp_ne_u16_e32 vcc, s69, v2
	v_bfrev_b32_e32 v3, 1
	s_and_saveexec_b64 s[60:61], vcc
	s_cbranch_execz .LBB6_5522
; %bb.5519:                             ;   in Loop: Header=BB6_4900 Depth=2
	v_and_b32_e32 v16, 0x7f, v26
	v_cmp_ne_u32_e32 vcc, s71, v16
	v_mov_b32_e32 v3, 0x7f800001
	s_and_saveexec_b64 s[62:63], vcc
	s_cbranch_execz .LBB6_5521
; %bb.5520:                             ;   in Loop: Header=BB6_4900 Depth=2
	v_and_b32_e32 v3, 7, v2
	v_ffbh_u32_e32 v6, v3
	v_min_u32_e32 v9, 32, v6
	v_subrev_u32_e32 v6, 28, v9
	v_lshlrev_b64 v[6:7], v6, v[2:3]
	v_lshrrev_b32_e32 v8, 3, v16
	v_sub_u32_e32 v7, 29, v9
	v_and_b32_e32 v6, 7, v6
	v_cmp_gt_u32_e32 vcc, 8, v16
	v_cndmask_b32_e32 v7, v8, v7, vcc
	v_cndmask_b32_e32 v3, v3, v6, vcc
	v_lshlrev_b32_e32 v6, 24, v26
	v_lshlrev_b32_e32 v3, 20, v3
	v_and_b32_e32 v6, 0x80000000, v6
	v_lshl_add_u32 v7, v7, 23, v61
	v_or3_b32 v3, v6, v7, v3
.LBB6_5521:                             ;   in Loop: Header=BB6_4900 Depth=2
	s_or_b64 exec, exec, s[62:63]
.LBB6_5522:                             ;   in Loop: Header=BB6_4900 Depth=2
	s_or_b64 exec, exec, s[60:61]
.LBB6_5523:                             ;   in Loop: Header=BB6_4900 Depth=2
	s_or_b64 exec, exec, s[58:59]
	v_and_b32_e32 v16, 0xff, v25
	v_cmp_ne_u16_e32 vcc, 0, v16
	s_and_saveexec_b64 s[58:59], vcc
	s_cbranch_execz .LBB6_5529
; %bb.5524:                             ;   in Loop: Header=BB6_4900 Depth=2
	v_cmp_ne_u16_e32 vcc, s69, v16
	v_bfrev_b32_e32 v20, 1
	s_and_saveexec_b64 s[60:61], vcc
	s_cbranch_execz .LBB6_5528
; %bb.5525:                             ;   in Loop: Header=BB6_4900 Depth=2
	v_and_b32_e32 v29, 0x7f, v25
	v_cmp_ne_u32_e32 vcc, s71, v29
	v_mov_b32_e32 v20, 0x7f800001
	s_and_saveexec_b64 s[62:63], vcc
	s_cbranch_execz .LBB6_5527
; %bb.5526:                             ;   in Loop: Header=BB6_4900 Depth=2
	v_and_b32_e32 v8, 7, v16
	v_ffbh_u32_e32 v6, v8
	v_min_u32_e32 v20, 32, v6
	v_subrev_u32_e32 v6, 28, v20
	v_lshlrev_b64 v[6:7], v6, v[16:17]
	v_lshrrev_b32_e32 v9, 3, v29
	v_sub_u32_e32 v7, 29, v20
	v_and_b32_e32 v6, 7, v6
	v_cmp_gt_u32_e32 vcc, 8, v29
	v_cndmask_b32_e32 v7, v9, v7, vcc
	v_cndmask_b32_e32 v6, v8, v6, vcc
	v_lshlrev_b32_e32 v8, 24, v25
	v_lshlrev_b32_e32 v6, 20, v6
	v_and_b32_e32 v8, 0x80000000, v8
	v_lshl_add_u32 v7, v7, 23, v61
	v_or3_b32 v20, v8, v7, v6
.LBB6_5527:                             ;   in Loop: Header=BB6_4900 Depth=2
	s_or_b64 exec, exec, s[62:63]
.LBB6_5528:                             ;   in Loop: Header=BB6_4900 Depth=2
	s_or_b64 exec, exec, s[60:61]
.LBB6_5529:                             ;   in Loop: Header=BB6_4900 Depth=2
	s_or_b64 exec, exec, s[58:59]
	v_max_f32_e32 v6, v20, v20
	v_max_f32_e32 v3, v3, v3
	;; [unrolled: 1-line block ×3, first 2 shown]
	s_branch .LBB6_5544
.LBB6_5530:                             ;   in Loop: Header=BB6_4900 Depth=2
                                        ; implicit-def: $vgpr3
	s_cbranch_execz .LBB6_5544
; %bb.5531:                             ;   in Loop: Header=BB6_4900 Depth=2
	v_mov_b32_e32 v16, 0
	v_mov_b32_e32 v3, 0
	s_and_saveexec_b64 s[58:59], s[20:21]
	s_cbranch_execz .LBB6_5537
; %bb.5532:                             ;   in Loop: Header=BB6_4900 Depth=2
	v_cmp_ne_u16_e32 vcc, s69, v2
	v_bfrev_b32_e32 v3, 1
	s_and_saveexec_b64 s[20:21], vcc
	s_cbranch_execz .LBB6_5536
; %bb.5533:                             ;   in Loop: Header=BB6_4900 Depth=2
	v_and_b32_e32 v20, 0x7f, v26
	v_cmp_ne_u32_e32 vcc, s71, v20
	v_mov_b32_e32 v3, 0x7f800001
	s_and_saveexec_b64 s[60:61], vcc
	s_cbranch_execz .LBB6_5535
; %bb.5534:                             ;   in Loop: Header=BB6_4900 Depth=2
	v_and_b32_e32 v6, 7, v2
	v_ffbh_u32_e32 v3, v6
	v_min_u32_e32 v8, 32, v3
	v_subrev_u32_e32 v3, 28, v8
	v_lshlrev_b64 v[2:3], v3, v[2:3]
	v_lshrrev_b32_e32 v7, 3, v20
	v_sub_u32_e32 v3, 29, v8
	v_and_b32_e32 v2, 7, v2
	v_cmp_gt_u32_e32 vcc, 8, v20
	v_cndmask_b32_e32 v3, v7, v3, vcc
	v_cndmask_b32_e32 v2, v6, v2, vcc
	v_lshlrev_b32_e32 v6, 24, v26
	v_lshlrev_b32_e32 v2, 20, v2
	v_and_b32_e32 v6, 0x80000000, v6
	v_lshl_add_u32 v3, v3, 23, v61
	v_or3_b32 v3, v6, v3, v2
.LBB6_5535:                             ;   in Loop: Header=BB6_4900 Depth=2
	s_or_b64 exec, exec, s[60:61]
.LBB6_5536:                             ;   in Loop: Header=BB6_4900 Depth=2
	s_or_b64 exec, exec, s[20:21]
.LBB6_5537:                             ;   in Loop: Header=BB6_4900 Depth=2
	s_or_b64 exec, exec, s[58:59]
	v_and_b32_e32 v2, 0xff, v25
	v_cmp_ne_u16_e32 vcc, 0, v2
	s_and_saveexec_b64 s[20:21], vcc
	s_cbranch_execz .LBB6_5543
; %bb.5538:                             ;   in Loop: Header=BB6_4900 Depth=2
	v_cmp_ne_u16_e32 vcc, s69, v2
	v_bfrev_b32_e32 v16, 1
	s_and_saveexec_b64 s[58:59], vcc
	s_cbranch_execz .LBB6_5542
; %bb.5539:                             ;   in Loop: Header=BB6_4900 Depth=2
	v_and_b32_e32 v20, 0x7f, v25
	v_cmp_ne_u32_e32 vcc, s71, v20
	v_mov_b32_e32 v16, 0x7f800001
	s_and_saveexec_b64 s[60:61], vcc
	s_cbranch_execz .LBB6_5541
; %bb.5540:                             ;   in Loop: Header=BB6_4900 Depth=2
	v_and_b32_e32 v8, 7, v2
	v_ffbh_u32_e32 v6, v8
	v_min_u32_e32 v16, 32, v6
	v_subrev_u32_e32 v6, 28, v16
	v_lshlrev_b64 v[6:7], v6, v[2:3]
	v_lshrrev_b32_e32 v9, 3, v20
	v_sub_u32_e32 v2, 29, v16
	v_and_b32_e32 v6, 7, v6
	v_cmp_gt_u32_e32 vcc, 8, v20
	v_cndmask_b32_e32 v2, v9, v2, vcc
	v_cndmask_b32_e32 v6, v8, v6, vcc
	v_lshlrev_b32_e32 v7, 24, v25
	v_lshlrev_b32_e32 v6, 20, v6
	v_and_b32_e32 v7, 0x80000000, v7
	v_lshl_add_u32 v2, v2, 23, v61
	v_or3_b32 v16, v7, v2, v6
.LBB6_5541:                             ;   in Loop: Header=BB6_4900 Depth=2
	s_or_b64 exec, exec, s[60:61]
.LBB6_5542:                             ;   in Loop: Header=BB6_4900 Depth=2
	s_or_b64 exec, exec, s[58:59]
.LBB6_5543:                             ;   in Loop: Header=BB6_4900 Depth=2
	s_or_b64 exec, exec, s[20:21]
	v_max_f32_e32 v2, v16, v16
	v_max_f32_e32 v3, v3, v3
	v_min_f32_e32 v3, v3, v2
.LBB6_5544:                             ;   in Loop: Header=BB6_4900 Depth=2
	v_and_b32_sdwa v16, v3, s69 dst_sel:DWORD dst_unused:UNUSED_PAD src0_sel:BYTE_3 src1_sel:DWORD
	v_and_b32_e32 v6, 0x7f800000, v3
	v_mov_b32_e32 v7, v53
	v_and_b32_e32 v52, 0x7fffff, v3
	v_or_b32_e32 v20, 0x7e, v16
	v_cmp_ne_u64_e32 vcc, s[40:41], v[6:7]
	s_and_saveexec_b64 s[20:21], vcc
	s_xor_b64 s[58:59], exec, s[20:21]
	s_cbranch_execz .LBB6_5558
; %bb.5545:                             ;   in Loop: Header=BB6_4900 Depth=2
	v_and_b32_e32 v6, 0x7fffffff, v3
	v_mov_b32_e32 v7, v53
	v_cmp_gt_u64_e32 vcc, s[42:43], v[6:7]
	s_and_saveexec_b64 s[20:21], vcc
	s_xor_b64 s[60:61], exec, s[20:21]
	s_cbranch_execz .LBB6_5557
; %bb.5546:                             ;   in Loop: Header=BB6_4900 Depth=2
	v_cmp_ne_u32_e32 vcc, 0, v3
	v_mov_b32_e32 v20, 0
	s_and_saveexec_b64 s[62:63], vcc
	s_cbranch_execz .LBB6_5556
; %bb.5547:                             ;   in Loop: Header=BB6_4900 Depth=2
	v_bfe_u32 v2, v3, 23, 8
	v_sub_u32_e32 v6, 0x79, v2
	v_cmp_gt_u32_e32 vcc, s73, v2
	v_cndmask_b32_e32 v6, 0, v6, vcc
	v_cmp_eq_u32_e32 vcc, 0, v2
	v_or_b32_e32 v7, 0x800000, v52
	v_cndmask_b32_e32 v25, v6, v32, vcc
	v_add_u32_e32 v3, 0xffffff81, v2
	v_cndmask_b32_e32 v52, v7, v52, vcc
	v_add_u32_e32 v2, 20, v25
	v_cndmask_b32_e32 v20, v3, v33, vcc
	v_lshlrev_b64 v[2:3], v2, -1
	v_lshrrev_b64 v[8:9], v25, v[52:53]
	v_not_b32_e32 v3, v3
	v_not_b32_e32 v2, v2
	v_add_u32_e32 v6, 19, v25
	v_lshrrev_b32_e32 v26, 23, v8
	v_and_b32_e32 v3, 0, v3
	v_and_b32_e32 v2, v52, v2
	v_lshlrev_b64 v[6:7], v6, 1
	v_add3_u32 v26, v25, v20, v26
	v_bfe_u32 v25, v8, 20, 1
	v_add_u32_e32 v25, -1, v25
	v_cmp_eq_u64_e32 vcc, v[2:3], v[6:7]
	v_cndmask_b32_e32 v2, 0, v25, vcc
	v_add_u32_e32 v2, v2, v8
	v_and_b32_e32 v2, 0xfffff, v2
	v_add_co_u32_e32 v2, vcc, v2, v8
	v_add_u32_e32 v20, 6, v26
	v_addc_co_u32_e32 v3, vcc, 0, v9, vcc
	v_cmp_ne_u32_e32 vcc, 0, v20
                                        ; implicit-def: $vgpr25
	s_and_saveexec_b64 s[20:21], vcc
	s_xor_b64 s[20:21], exec, s[20:21]
; %bb.5548:                             ;   in Loop: Header=BB6_4900 Depth=2
	v_add_u32_e32 v6, 7, v26
	v_cmp_lt_u64_e32 vcc, s[46:47], v[2:3]
	v_cndmask_b32_e32 v25, v20, v6, vcc
	v_cndmask_b32_e64 v6, 0, 1, vcc
	v_lshrrev_b64 v[2:3], v6, v[2:3]
; %bb.5549:                             ;   in Loop: Header=BB6_4900 Depth=2
	s_andn2_saveexec_b64 s[20:21], s[20:21]
; %bb.5550:                             ;   in Loop: Header=BB6_4900 Depth=2
	v_bfe_u32 v25, v2, 23, 1
; %bb.5551:                             ;   in Loop: Header=BB6_4900 Depth=2
	s_or_b64 exec, exec, s[20:21]
	v_lshrrev_b64 v[2:3], 20, v[2:3]
	v_cmp_gt_i32_e32 vcc, 16, v25
	v_cndmask_b32_e32 v3, 0, v3, vcc
	v_cndmask_b32_e32 v2, 7, v2, vcc
	v_cmp_ne_u32_e32 vcc, 0, v25
	v_cmp_ne_u64_e64 s[20:21], 0, v[2:3]
	s_or_b64 s[20:21], vcc, s[20:21]
                                        ; implicit-def: $vgpr20
	s_and_saveexec_b64 vcc, s[20:21]
	s_xor_b64 s[20:21], exec, vcc
; %bb.5552:                             ;   in Loop: Header=BB6_4900 Depth=2
	v_min_i32_e32 v3, 15, v25
	v_lshl_or_b32 v3, v3, 3, v16
	v_and_or_b32 v20, v2, 7, v3
                                        ; implicit-def: $vgpr16
; %bb.5553:                             ;   in Loop: Header=BB6_4900 Depth=2
	s_andn2_saveexec_b64 s[20:21], s[20:21]
; %bb.5554:                             ;   in Loop: Header=BB6_4900 Depth=2
	v_mov_b32_e32 v20, v16
; %bb.5555:                             ;   in Loop: Header=BB6_4900 Depth=2
	s_or_b64 exec, exec, s[20:21]
.LBB6_5556:                             ;   in Loop: Header=BB6_4900 Depth=2
	s_or_b64 exec, exec, s[62:63]
.LBB6_5557:                             ;   in Loop: Header=BB6_4900 Depth=2
	s_andn2_saveexec_b64 s[20:21], s[60:61]
	s_or_b64 exec, exec, s[20:21]
                                        ; implicit-def: $vgpr3
.LBB6_5558:                             ;   in Loop: Header=BB6_4900 Depth=2
	s_andn2_saveexec_b64 s[20:21], s[58:59]
; %bb.5559:                             ;   in Loop: Header=BB6_4900 Depth=2
	v_or_b32_sdwa v2, v3, s71 dst_sel:DWORD dst_unused:UNUSED_PAD src0_sel:BYTE_3 src1_sel:DWORD
	v_cmp_eq_u64_e32 vcc, 0, v[52:53]
	v_cndmask_b32_e32 v20, v2, v20, vcc
; %bb.5560:                             ;   in Loop: Header=BB6_4900 Depth=2
	s_or_b64 exec, exec, s[20:21]
	v_and_b32_e32 v2, 0xff, v23
	s_and_b64 vcc, exec, s[18:19]
	v_cmp_ne_u16_e64 s[18:19], 0, v2
	s_cbranch_vccnz .LBB6_5574
; %bb.5561:                             ;   in Loop: Header=BB6_4900 Depth=2
	v_mov_b32_e32 v25, 0
	v_mov_b32_e32 v3, 0
	s_and_saveexec_b64 s[20:21], s[18:19]
	s_cbranch_execz .LBB6_5567
; %bb.5562:                             ;   in Loop: Header=BB6_4900 Depth=2
	v_cmp_ne_u16_e32 vcc, s69, v2
	v_bfrev_b32_e32 v3, 1
	s_and_saveexec_b64 s[58:59], vcc
	s_cbranch_execz .LBB6_5566
; %bb.5563:                             ;   in Loop: Header=BB6_4900 Depth=2
	v_and_b32_e32 v16, 0x7f, v23
	v_cmp_ne_u32_e32 vcc, s71, v16
	v_mov_b32_e32 v3, 0x7f800001
	s_and_saveexec_b64 s[60:61], vcc
	s_cbranch_execz .LBB6_5565
; %bb.5564:                             ;   in Loop: Header=BB6_4900 Depth=2
	v_and_b32_e32 v3, 7, v2
	v_ffbh_u32_e32 v6, v3
	v_min_u32_e32 v9, 32, v6
	v_subrev_u32_e32 v6, 28, v9
	v_lshlrev_b64 v[6:7], v6, v[2:3]
	v_lshrrev_b32_e32 v8, 3, v16
	v_sub_u32_e32 v7, 29, v9
	v_and_b32_e32 v6, 7, v6
	v_cmp_gt_u32_e32 vcc, 8, v16
	v_cndmask_b32_e32 v7, v8, v7, vcc
	v_cndmask_b32_e32 v3, v3, v6, vcc
	v_lshlrev_b32_e32 v6, 24, v23
	v_lshlrev_b32_e32 v3, 20, v3
	v_and_b32_e32 v6, 0x80000000, v6
	v_lshl_add_u32 v7, v7, 23, v61
	v_or3_b32 v3, v6, v7, v3
.LBB6_5565:                             ;   in Loop: Header=BB6_4900 Depth=2
	s_or_b64 exec, exec, s[60:61]
.LBB6_5566:                             ;   in Loop: Header=BB6_4900 Depth=2
	s_or_b64 exec, exec, s[58:59]
.LBB6_5567:                             ;   in Loop: Header=BB6_4900 Depth=2
	s_or_b64 exec, exec, s[20:21]
	v_and_b32_e32 v16, 0xff, v22
	v_cmp_ne_u16_e32 vcc, 0, v16
	s_and_saveexec_b64 s[20:21], vcc
	s_cbranch_execz .LBB6_5573
; %bb.5568:                             ;   in Loop: Header=BB6_4900 Depth=2
	v_cmp_ne_u16_e32 vcc, s69, v16
	v_bfrev_b32_e32 v25, 1
	s_and_saveexec_b64 s[58:59], vcc
	s_cbranch_execz .LBB6_5572
; %bb.5569:                             ;   in Loop: Header=BB6_4900 Depth=2
	v_and_b32_e32 v26, 0x7f, v22
	v_cmp_ne_u32_e32 vcc, s71, v26
	v_mov_b32_e32 v25, 0x7f800001
	s_and_saveexec_b64 s[60:61], vcc
	s_cbranch_execz .LBB6_5571
; %bb.5570:                             ;   in Loop: Header=BB6_4900 Depth=2
	v_and_b32_e32 v8, 7, v16
	v_ffbh_u32_e32 v6, v8
	v_min_u32_e32 v25, 32, v6
	v_subrev_u32_e32 v6, 28, v25
	v_lshlrev_b64 v[6:7], v6, v[16:17]
	v_lshrrev_b32_e32 v9, 3, v26
	v_sub_u32_e32 v7, 29, v25
	v_and_b32_e32 v6, 7, v6
	v_cmp_gt_u32_e32 vcc, 8, v26
	v_cndmask_b32_e32 v7, v9, v7, vcc
	v_cndmask_b32_e32 v6, v8, v6, vcc
	v_lshlrev_b32_e32 v8, 24, v22
	v_lshlrev_b32_e32 v6, 20, v6
	v_and_b32_e32 v8, 0x80000000, v8
	v_lshl_add_u32 v7, v7, 23, v61
	v_or3_b32 v25, v8, v7, v6
.LBB6_5571:                             ;   in Loop: Header=BB6_4900 Depth=2
	s_or_b64 exec, exec, s[60:61]
.LBB6_5572:                             ;   in Loop: Header=BB6_4900 Depth=2
	s_or_b64 exec, exec, s[58:59]
.LBB6_5573:                             ;   in Loop: Header=BB6_4900 Depth=2
	s_or_b64 exec, exec, s[20:21]
	v_max_f32_e32 v6, v25, v25
	v_max_f32_e32 v3, v3, v3
	;; [unrolled: 1-line block ×3, first 2 shown]
	s_branch .LBB6_5588
.LBB6_5574:                             ;   in Loop: Header=BB6_4900 Depth=2
                                        ; implicit-def: $vgpr25
	s_cbranch_execz .LBB6_5588
; %bb.5575:                             ;   in Loop: Header=BB6_4900 Depth=2
	v_mov_b32_e32 v16, 0
	v_mov_b32_e32 v3, 0
	s_and_saveexec_b64 s[20:21], s[18:19]
	s_cbranch_execz .LBB6_5581
; %bb.5576:                             ;   in Loop: Header=BB6_4900 Depth=2
	v_cmp_ne_u16_e32 vcc, s69, v2
	v_bfrev_b32_e32 v3, 1
	s_and_saveexec_b64 s[18:19], vcc
	s_cbranch_execz .LBB6_5580
; %bb.5577:                             ;   in Loop: Header=BB6_4900 Depth=2
	v_and_b32_e32 v25, 0x7f, v23
	v_cmp_ne_u32_e32 vcc, s71, v25
	v_mov_b32_e32 v3, 0x7f800001
	s_and_saveexec_b64 s[58:59], vcc
	s_cbranch_execz .LBB6_5579
; %bb.5578:                             ;   in Loop: Header=BB6_4900 Depth=2
	v_and_b32_e32 v6, 7, v2
	v_ffbh_u32_e32 v3, v6
	v_min_u32_e32 v8, 32, v3
	v_subrev_u32_e32 v3, 28, v8
	v_lshlrev_b64 v[2:3], v3, v[2:3]
	v_lshrrev_b32_e32 v7, 3, v25
	v_sub_u32_e32 v3, 29, v8
	v_and_b32_e32 v2, 7, v2
	v_cmp_gt_u32_e32 vcc, 8, v25
	v_cndmask_b32_e32 v3, v7, v3, vcc
	v_cndmask_b32_e32 v2, v6, v2, vcc
	v_lshlrev_b32_e32 v6, 24, v23
	v_lshlrev_b32_e32 v2, 20, v2
	v_and_b32_e32 v6, 0x80000000, v6
	v_lshl_add_u32 v3, v3, 23, v61
	v_or3_b32 v3, v6, v3, v2
.LBB6_5579:                             ;   in Loop: Header=BB6_4900 Depth=2
	s_or_b64 exec, exec, s[58:59]
.LBB6_5580:                             ;   in Loop: Header=BB6_4900 Depth=2
	s_or_b64 exec, exec, s[18:19]
.LBB6_5581:                             ;   in Loop: Header=BB6_4900 Depth=2
	s_or_b64 exec, exec, s[20:21]
	v_and_b32_e32 v2, 0xff, v22
	v_cmp_ne_u16_e32 vcc, 0, v2
	s_and_saveexec_b64 s[18:19], vcc
	s_cbranch_execz .LBB6_5587
; %bb.5582:                             ;   in Loop: Header=BB6_4900 Depth=2
	v_cmp_ne_u16_e32 vcc, s69, v2
	v_bfrev_b32_e32 v16, 1
	s_and_saveexec_b64 s[20:21], vcc
	s_cbranch_execz .LBB6_5586
; %bb.5583:                             ;   in Loop: Header=BB6_4900 Depth=2
	v_and_b32_e32 v23, 0x7f, v22
	v_cmp_ne_u32_e32 vcc, s71, v23
	v_mov_b32_e32 v16, 0x7f800001
	s_and_saveexec_b64 s[58:59], vcc
	s_cbranch_execz .LBB6_5585
; %bb.5584:                             ;   in Loop: Header=BB6_4900 Depth=2
	v_and_b32_e32 v8, 7, v2
	v_ffbh_u32_e32 v6, v8
	v_min_u32_e32 v16, 32, v6
	v_subrev_u32_e32 v6, 28, v16
	v_lshlrev_b64 v[6:7], v6, v[2:3]
	v_lshrrev_b32_e32 v9, 3, v23
	v_sub_u32_e32 v2, 29, v16
	v_and_b32_e32 v6, 7, v6
	v_cmp_gt_u32_e32 vcc, 8, v23
	v_cndmask_b32_e32 v2, v9, v2, vcc
	v_cndmask_b32_e32 v6, v8, v6, vcc
	v_lshlrev_b32_e32 v7, 24, v22
	v_lshlrev_b32_e32 v6, 20, v6
	v_and_b32_e32 v7, 0x80000000, v7
	v_lshl_add_u32 v2, v2, 23, v61
	v_or3_b32 v16, v7, v2, v6
.LBB6_5585:                             ;   in Loop: Header=BB6_4900 Depth=2
	s_or_b64 exec, exec, s[58:59]
.LBB6_5586:                             ;   in Loop: Header=BB6_4900 Depth=2
	s_or_b64 exec, exec, s[20:21]
.LBB6_5587:                             ;   in Loop: Header=BB6_4900 Depth=2
	s_or_b64 exec, exec, s[18:19]
	v_max_f32_e32 v2, v16, v16
	v_max_f32_e32 v3, v3, v3
	v_min_f32_e32 v25, v3, v2
.LBB6_5588:                             ;   in Loop: Header=BB6_4900 Depth=2
	v_and_b32_sdwa v16, v25, s69 dst_sel:DWORD dst_unused:UNUSED_PAD src0_sel:BYTE_3 src1_sel:DWORD
	v_and_b32_e32 v6, 0x7f800000, v25
	v_mov_b32_e32 v7, v53
	v_and_b32_e32 v52, 0x7fffff, v25
	v_or_b32_e32 v3, 0x7e, v16
	v_cmp_ne_u64_e32 vcc, s[40:41], v[6:7]
	s_and_saveexec_b64 s[18:19], vcc
	s_xor_b64 s[20:21], exec, s[18:19]
	s_cbranch_execz .LBB6_5602
; %bb.5589:                             ;   in Loop: Header=BB6_4900 Depth=2
	v_and_b32_e32 v6, 0x7fffffff, v25
	v_mov_b32_e32 v7, v53
	v_cmp_gt_u64_e32 vcc, s[42:43], v[6:7]
	s_and_saveexec_b64 s[18:19], vcc
	s_xor_b64 s[58:59], exec, s[18:19]
	s_cbranch_execz .LBB6_5601
; %bb.5590:                             ;   in Loop: Header=BB6_4900 Depth=2
	v_cmp_ne_u32_e32 vcc, 0, v25
	v_mov_b32_e32 v3, 0
	s_and_saveexec_b64 s[60:61], vcc
	s_cbranch_execz .LBB6_5600
; %bb.5591:                             ;   in Loop: Header=BB6_4900 Depth=2
	v_bfe_u32 v2, v25, 23, 8
	v_sub_u32_e32 v6, 0x79, v2
	v_cmp_gt_u32_e32 vcc, s73, v2
	v_cndmask_b32_e32 v6, 0, v6, vcc
	v_cmp_eq_u32_e32 vcc, 0, v2
	v_or_b32_e32 v7, 0x800000, v52
	v_cndmask_b32_e32 v23, v6, v32, vcc
	v_add_u32_e32 v3, 0xffffff81, v2
	v_cndmask_b32_e32 v52, v7, v52, vcc
	v_add_u32_e32 v2, 20, v23
	v_cndmask_b32_e32 v22, v3, v33, vcc
	v_lshlrev_b64 v[2:3], v2, -1
	v_lshrrev_b64 v[8:9], v23, v[52:53]
	v_not_b32_e32 v3, v3
	v_not_b32_e32 v2, v2
	v_add_u32_e32 v6, 19, v23
	v_lshrrev_b32_e32 v25, 23, v8
	v_and_b32_e32 v3, 0, v3
	v_and_b32_e32 v2, v52, v2
	v_lshlrev_b64 v[6:7], v6, 1
	v_add3_u32 v25, v23, v22, v25
	v_bfe_u32 v22, v8, 20, 1
	v_add_u32_e32 v22, -1, v22
	v_cmp_eq_u64_e32 vcc, v[2:3], v[6:7]
	v_cndmask_b32_e32 v2, 0, v22, vcc
	v_add_u32_e32 v2, v2, v8
	v_and_b32_e32 v2, 0xfffff, v2
	v_add_co_u32_e32 v2, vcc, v2, v8
	v_add_u32_e32 v23, 6, v25
	v_addc_co_u32_e32 v3, vcc, 0, v9, vcc
	v_cmp_ne_u32_e32 vcc, 0, v23
                                        ; implicit-def: $vgpr22
	s_and_saveexec_b64 s[18:19], vcc
	s_xor_b64 s[18:19], exec, s[18:19]
; %bb.5592:                             ;   in Loop: Header=BB6_4900 Depth=2
	v_add_u32_e32 v6, 7, v25
	v_cmp_lt_u64_e32 vcc, s[46:47], v[2:3]
	v_cndmask_b32_e32 v22, v23, v6, vcc
	v_cndmask_b32_e64 v6, 0, 1, vcc
	v_lshrrev_b64 v[2:3], v6, v[2:3]
; %bb.5593:                             ;   in Loop: Header=BB6_4900 Depth=2
	s_andn2_saveexec_b64 s[18:19], s[18:19]
; %bb.5594:                             ;   in Loop: Header=BB6_4900 Depth=2
	v_bfe_u32 v22, v2, 23, 1
; %bb.5595:                             ;   in Loop: Header=BB6_4900 Depth=2
	s_or_b64 exec, exec, s[18:19]
	v_lshrrev_b64 v[2:3], 20, v[2:3]
	v_cmp_gt_i32_e32 vcc, 16, v22
	v_cndmask_b32_e32 v3, 0, v3, vcc
	v_cndmask_b32_e32 v2, 7, v2, vcc
	v_cmp_ne_u32_e32 vcc, 0, v22
	v_cmp_ne_u64_e64 s[18:19], 0, v[2:3]
	s_or_b64 s[18:19], vcc, s[18:19]
                                        ; implicit-def: $vgpr3
	s_and_saveexec_b64 vcc, s[18:19]
	s_xor_b64 s[18:19], exec, vcc
; %bb.5596:                             ;   in Loop: Header=BB6_4900 Depth=2
	v_min_i32_e32 v3, 15, v22
	v_lshl_or_b32 v3, v3, 3, v16
	v_and_or_b32 v3, v2, 7, v3
                                        ; implicit-def: $vgpr16
; %bb.5597:                             ;   in Loop: Header=BB6_4900 Depth=2
	s_andn2_saveexec_b64 s[18:19], s[18:19]
; %bb.5598:                             ;   in Loop: Header=BB6_4900 Depth=2
	v_mov_b32_e32 v3, v16
; %bb.5599:                             ;   in Loop: Header=BB6_4900 Depth=2
	s_or_b64 exec, exec, s[18:19]
.LBB6_5600:                             ;   in Loop: Header=BB6_4900 Depth=2
	s_or_b64 exec, exec, s[60:61]
.LBB6_5601:                             ;   in Loop: Header=BB6_4900 Depth=2
	s_andn2_saveexec_b64 s[18:19], s[58:59]
	s_or_b64 exec, exec, s[18:19]
                                        ; implicit-def: $vgpr25
.LBB6_5602:                             ;   in Loop: Header=BB6_4900 Depth=2
	s_andn2_saveexec_b64 s[18:19], s[20:21]
	s_cbranch_execz .LBB6_4899
; %bb.5603:                             ;   in Loop: Header=BB6_4900 Depth=2
	v_or_b32_sdwa v2, v25, s71 dst_sel:DWORD dst_unused:UNUSED_PAD src0_sel:BYTE_3 src1_sel:DWORD
	v_cmp_eq_u64_e32 vcc, 0, v[52:53]
	v_cndmask_b32_e32 v3, v2, v3, vcc
	s_branch .LBB6_4899
.LBB6_5604:                             ;   in Loop: Header=BB6_2894 Depth=1
	s_or_b64 exec, exec, s[56:57]
	v_accvgpr_read_b32 v58, a1
	v_accvgpr_read_b32 v51, a31
	;; [unrolled: 1-line block ×6, first 2 shown]
.LBB6_5605:                             ;   in Loop: Header=BB6_2894 Depth=1
	s_or_b64 exec, exec, s[22:23]
	v_lshlrev_b32_e32 v1, 10, v21
	v_cmp_ne_u32_e32 vcc, v18, v1
	s_and_b64 exec, exec, vcc
	s_cbranch_execz .LBB6_5653
; %bb.5606:                             ;   in Loop: Header=BB6_2894 Depth=1
	v_add_u32_e32 v2, v19, v2
	v_and_b32_e32 v2, 0xffffffc0, v2
	v_sub_u32_e32 v2, v19, v2
	v_lshlrev_b32_e32 v0, 6, v0
	v_sub_u32_e32 v0, v2, v0
	v_add_u32_e32 v1, v1, v0
	v_sub_u32_e32 v0, v18, v1
	v_cmp_lt_i32_e32 vcc, 0, v0
	s_and_b64 exec, exec, vcc
	s_cbranch_execz .LBB6_5653
; %bb.5607:                             ;   in Loop: Header=BB6_2894 Depth=1
	s_trap 2
	ds_read_b128 v[2:5], v0
	ds_read_b64 v[6:7], v0
	v_add_u32_e32 v1, v1, v17
	v_ashrrev_i32_e32 v8, 31, v1
	s_bitcmp1_b32 s64, 0
	s_waitcnt lgkmcnt(0)
	v_add_co_u32_e32 v2, vcc, v2, v1
	v_addc_co_u32_e32 v3, vcc, v3, v8, vcc
	v_add_co_u32_e32 v10, vcc, v4, v1
	v_addc_co_u32_e32 v11, vcc, v5, v8, vcc
	;; [unrolled: 2-line block ×3, first 2 shown]
	v_accvgpr_read_b32 v8, a34
	s_mov_b64 s[54:55], 0
	s_cselect_b64 s[56:57], -1, 0
	s_branch .LBB6_5609
.LBB6_5608:                             ;   in Loop: Header=BB6_5609 Depth=2
	s_or_b64 exec, exec, s[18:19]
	flat_store_byte v[12:13], v4 glc slc
	v_accvgpr_read_b32 v4, a32
	v_add_co_u32_e32 v2, vcc, v2, v4
	v_accvgpr_read_b32 v1, a33
	v_addc_co_u32_e32 v3, vcc, v3, v1, vcc
	v_add_co_u32_e32 v10, vcc, v10, v4
	v_addc_co_u32_e32 v11, vcc, v11, v1, vcc
	v_sub_u32_e32 v0, v0, v4
	v_cmp_gt_i32_e32 vcc, 1, v0
	s_or_b64 s[54:55], vcc, s[54:55]
	v_add_co_u32_e32 v12, vcc, v12, v4
	v_addc_co_u32_e32 v13, vcc, v13, v1, vcc
	s_andn2_b64 exec, exec, s[54:55]
	s_cbranch_execz .LBB6_5653
.LBB6_5609:                             ;   Parent Loop BB6_2894 Depth=1
                                        ; =>  This Inner Loop Header: Depth=2
	flat_load_ubyte v4, v[10:11] glc slc
	flat_load_ubyte v5, v[2:3] glc slc
	s_and_b64 vcc, exec, s[56:57]
	s_waitcnt vmcnt(0) lgkmcnt(0)
	v_cmp_ne_u16_e64 s[20:21], 0, v4
	v_cmp_ne_u16_e64 s[18:19], s69, v4
	v_and_b32_sdwa v1, sext(v4), s72 dst_sel:DWORD dst_unused:UNUSED_PAD src0_sel:BYTE_0 src1_sel:DWORD
	v_cmp_ne_u16_e64 s[22:23], 0, v5
	s_cbranch_vccz .LBB6_5623
; %bb.5610:                             ;   in Loop: Header=BB6_5609 Depth=2
	v_mov_b32_e32 v15, 0
	v_mov_b32_e32 v16, 0
	s_and_saveexec_b64 s[58:59], s[22:23]
	s_cbranch_execz .LBB6_5616
; %bb.5611:                             ;   in Loop: Header=BB6_5609 Depth=2
	v_cmp_ne_u16_e32 vcc, s69, v5
	v_bfrev_b32_e32 v16, 1
	s_and_saveexec_b64 s[60:61], vcc
	s_cbranch_execz .LBB6_5615
; %bb.5612:                             ;   in Loop: Header=BB6_5609 Depth=2
	v_and_b32_e32 v14, 0xffff, v5
	v_and_b32_e32 v17, 0x7f, v14
	v_cmp_ne_u32_e32 vcc, s71, v17
	v_mov_b32_e32 v16, 0x7f800001
	s_and_saveexec_b64 s[62:63], vcc
	s_cbranch_execz .LBB6_5614
; %bb.5613:                             ;   in Loop: Header=BB6_5609 Depth=2
	v_and_b32_e32 v8, 7, v14
	v_ffbh_u32_e32 v6, v8
	v_min_u32_e32 v16, 32, v6
	v_subrev_u32_e32 v6, 28, v16
	v_lshlrev_b64 v[6:7], v6, v[14:15]
	v_lshrrev_b32_e32 v9, 3, v17
	v_sub_u32_e32 v7, 29, v16
	v_and_b32_e32 v6, 7, v6
	v_cmp_gt_u32_e32 vcc, 8, v17
	v_cndmask_b32_e32 v7, v9, v7, vcc
	v_cndmask_b32_e32 v6, v8, v6, vcc
	v_lshlrev_b32_e32 v8, 24, v5
	v_lshlrev_b32_e32 v6, 20, v6
	v_and_b32_e32 v8, 0x80000000, v8
	v_lshl_add_u32 v7, v7, 23, v61
	v_or3_b32 v16, v8, v7, v6
	v_accvgpr_read_b32 v8, a34
.LBB6_5614:                             ;   in Loop: Header=BB6_5609 Depth=2
	s_or_b64 exec, exec, s[62:63]
.LBB6_5615:                             ;   in Loop: Header=BB6_5609 Depth=2
	s_or_b64 exec, exec, s[60:61]
.LBB6_5616:                             ;   in Loop: Header=BB6_5609 Depth=2
	s_or_b64 exec, exec, s[58:59]
	s_and_saveexec_b64 s[58:59], s[20:21]
	s_cbranch_execz .LBB6_5622
; %bb.5617:                             ;   in Loop: Header=BB6_5609 Depth=2
	v_bfrev_b32_e32 v15, 1
	s_and_saveexec_b64 s[60:61], s[18:19]
	s_cbranch_execz .LBB6_5621
; %bb.5618:                             ;   in Loop: Header=BB6_5609 Depth=2
	v_and_b32_e32 v14, 0xffff, v4
	v_and_b32_e32 v17, 0x7f, v14
	v_cmp_ne_u32_e32 vcc, s71, v17
	v_mov_b32_e32 v15, 0x7f800001
	s_and_saveexec_b64 s[62:63], vcc
	s_cbranch_execz .LBB6_5620
; %bb.5619:                             ;   in Loop: Header=BB6_5609 Depth=2
	v_and_b32_e32 v8, 7, v14
	v_ffbh_u32_e32 v6, v8
	v_min_u32_e32 v15, 32, v6
	v_subrev_u32_e32 v6, 28, v15
	v_lshlrev_b64 v[6:7], v6, v[14:15]
	v_and_b32_e32 v6, 7, v6
	v_cmp_gt_u32_e32 vcc, 8, v17
	v_lshrrev_b32_e32 v9, 3, v17
	v_sub_u32_e32 v7, 29, v15
	v_cndmask_b32_e32 v6, v8, v6, vcc
	v_cndmask_b32_e32 v7, v9, v7, vcc
	v_lshlrev_b32_e32 v6, 20, v6
	v_lshl_or_b32 v6, v7, 23, v6
	v_add_u32_e32 v6, 0x3c000000, v6
	v_accvgpr_read_b32 v8, a34
	v_or_b32_e32 v15, v6, v1
.LBB6_5620:                             ;   in Loop: Header=BB6_5609 Depth=2
	s_or_b64 exec, exec, s[62:63]
.LBB6_5621:                             ;   in Loop: Header=BB6_5609 Depth=2
	s_or_b64 exec, exec, s[60:61]
.LBB6_5622:                             ;   in Loop: Header=BB6_5609 Depth=2
	s_or_b64 exec, exec, s[58:59]
	v_max_f32_e32 v6, v15, v15
	v_max_f32_e32 v7, v16, v16
	;; [unrolled: 1-line block ×3, first 2 shown]
	s_branch .LBB6_5637
.LBB6_5623:                             ;   in Loop: Header=BB6_5609 Depth=2
                                        ; implicit-def: $vgpr14
	s_cbranch_execz .LBB6_5637
; %bb.5624:                             ;   in Loop: Header=BB6_5609 Depth=2
	v_mov_b32_e32 v15, 0
	v_mov_b32_e32 v16, 0
	s_and_saveexec_b64 s[58:59], s[22:23]
	s_cbranch_execz .LBB6_5630
; %bb.5625:                             ;   in Loop: Header=BB6_5609 Depth=2
	v_cmp_ne_u16_e32 vcc, s69, v5
	v_bfrev_b32_e32 v16, 1
	s_and_saveexec_b64 s[22:23], vcc
	s_cbranch_execz .LBB6_5629
; %bb.5626:                             ;   in Loop: Header=BB6_5609 Depth=2
	v_and_b32_e32 v14, 0xffff, v5
	v_and_b32_e32 v17, 0x7f, v14
	v_cmp_ne_u32_e32 vcc, s71, v17
	v_mov_b32_e32 v16, 0x7f800001
	s_and_saveexec_b64 s[60:61], vcc
	s_cbranch_execz .LBB6_5628
; %bb.5627:                             ;   in Loop: Header=BB6_5609 Depth=2
	v_and_b32_e32 v8, 7, v14
	v_ffbh_u32_e32 v6, v8
	v_min_u32_e32 v16, 32, v6
	v_subrev_u32_e32 v6, 28, v16
	v_lshlrev_b64 v[6:7], v6, v[14:15]
	v_lshrrev_b32_e32 v9, 3, v17
	v_sub_u32_e32 v7, 29, v16
	v_and_b32_e32 v6, 7, v6
	v_cmp_gt_u32_e32 vcc, 8, v17
	v_cndmask_b32_e32 v7, v9, v7, vcc
	v_cndmask_b32_e32 v6, v8, v6, vcc
	v_lshlrev_b32_e32 v5, 24, v5
	v_lshlrev_b32_e32 v6, 20, v6
	v_and_b32_e32 v5, 0x80000000, v5
	v_lshl_add_u32 v7, v7, 23, v61
	v_accvgpr_read_b32 v8, a34
	v_or3_b32 v16, v5, v7, v6
.LBB6_5628:                             ;   in Loop: Header=BB6_5609 Depth=2
	s_or_b64 exec, exec, s[60:61]
.LBB6_5629:                             ;   in Loop: Header=BB6_5609 Depth=2
	s_or_b64 exec, exec, s[22:23]
.LBB6_5630:                             ;   in Loop: Header=BB6_5609 Depth=2
	s_or_b64 exec, exec, s[58:59]
	s_and_saveexec_b64 s[22:23], s[20:21]
	s_cbranch_execz .LBB6_5636
; %bb.5631:                             ;   in Loop: Header=BB6_5609 Depth=2
	v_bfrev_b32_e32 v15, 1
	s_and_saveexec_b64 s[20:21], s[18:19]
	s_cbranch_execz .LBB6_5635
; %bb.5632:                             ;   in Loop: Header=BB6_5609 Depth=2
	v_and_b32_e32 v14, 0xffff, v4
	v_and_b32_e32 v4, 0x7f, v14
	v_cmp_ne_u32_e32 vcc, s71, v4
	v_mov_b32_e32 v15, 0x7f800001
	s_and_saveexec_b64 s[18:19], vcc
	s_cbranch_execz .LBB6_5634
; %bb.5633:                             ;   in Loop: Header=BB6_5609 Depth=2
	v_and_b32_e32 v5, 7, v14
	v_ffbh_u32_e32 v6, v5
	v_min_u32_e32 v9, 32, v6
	v_subrev_u32_e32 v6, 28, v9
	v_lshlrev_b64 v[6:7], v6, v[14:15]
	v_and_b32_e32 v6, 7, v6
	v_cmp_gt_u32_e32 vcc, 8, v4
	v_lshrrev_b32_e32 v8, 3, v4
	v_sub_u32_e32 v7, 29, v9
	v_cndmask_b32_e32 v5, v5, v6, vcc
	v_cndmask_b32_e32 v4, v8, v7, vcc
	v_lshlrev_b32_e32 v5, 20, v5
	v_lshl_or_b32 v4, v4, 23, v5
	v_add_u32_e32 v4, 0x3c000000, v4
	v_accvgpr_read_b32 v8, a34
	v_or_b32_e32 v15, v4, v1
.LBB6_5634:                             ;   in Loop: Header=BB6_5609 Depth=2
	s_or_b64 exec, exec, s[18:19]
.LBB6_5635:                             ;   in Loop: Header=BB6_5609 Depth=2
	s_or_b64 exec, exec, s[20:21]
.LBB6_5636:                             ;   in Loop: Header=BB6_5609 Depth=2
	s_or_b64 exec, exec, s[22:23]
	v_max_f32_e32 v1, v15, v15
	v_max_f32_e32 v4, v16, v16
	v_min_f32_e32 v14, v4, v1
.LBB6_5637:                             ;   in Loop: Header=BB6_5609 Depth=2
	v_and_b32_sdwa v1, v14, s69 dst_sel:DWORD dst_unused:UNUSED_PAD src0_sel:BYTE_3 src1_sel:DWORD
	v_and_b32_e32 v6, 0x7f800000, v14
	v_mov_b32_e32 v7, v53
	v_and_b32_e32 v52, 0x7fffff, v14
	v_or_b32_e32 v4, 0x7e, v1
	v_cmp_ne_u64_e32 vcc, s[40:41], v[6:7]
	s_and_saveexec_b64 s[18:19], vcc
	s_xor_b64 s[20:21], exec, s[18:19]
	s_cbranch_execz .LBB6_5651
; %bb.5638:                             ;   in Loop: Header=BB6_5609 Depth=2
	v_and_b32_e32 v6, 0x7fffffff, v14
	v_mov_b32_e32 v7, v53
	v_cmp_gt_u64_e32 vcc, s[42:43], v[6:7]
	s_and_saveexec_b64 s[18:19], vcc
	s_xor_b64 s[22:23], exec, s[18:19]
	s_cbranch_execz .LBB6_5650
; %bb.5639:                             ;   in Loop: Header=BB6_5609 Depth=2
	v_cmp_ne_u32_e32 vcc, 0, v14
	v_mov_b32_e32 v4, 0
	s_and_saveexec_b64 s[58:59], vcc
	s_cbranch_execz .LBB6_5649
; %bb.5640:                             ;   in Loop: Header=BB6_5609 Depth=2
	v_bfe_u32 v4, v14, 23, 8
	v_sub_u32_e32 v6, 0x79, v4
	v_cmp_gt_u32_e32 vcc, s73, v4
	v_cndmask_b32_e32 v6, 0, v6, vcc
	v_cmp_eq_u32_e32 vcc, 0, v4
	v_cndmask_b32_e32 v17, v6, v32, vcc
	v_add_u32_e32 v5, 0xffffff81, v4
	v_add_u32_e32 v4, 20, v17
	v_or_b32_e32 v7, 0x800000, v52
	v_cndmask_b32_e32 v16, v5, v33, vcc
	v_lshlrev_b64 v[4:5], v4, -1
	v_cndmask_b32_e32 v52, v7, v52, vcc
	v_not_b32_e32 v4, v4
	v_not_b32_e32 v5, v5
	v_and_b32_e32 v6, v52, v4
	v_add_u32_e32 v4, 19, v17
	v_lshrrev_b64 v[14:15], v17, v[52:53]
	v_and_b32_e32 v7, 0, v5
	v_lshlrev_b64 v[8:9], v4, 1
	v_bfe_u32 v5, v14, 20, 1
	v_add_u32_e32 v5, -1, v5
	v_cmp_eq_u64_e32 vcc, v[6:7], v[8:9]
	v_cndmask_b32_e32 v5, 0, v5, vcc
	v_add_u32_e32 v5, v5, v14
	v_lshrrev_b32_e32 v4, 23, v14
	v_and_b32_e32 v5, 0xfffff, v5
	v_add3_u32 v16, v17, v16, v4
	v_add_co_u32_e32 v14, vcc, v5, v14
	v_add_u32_e32 v4, 6, v16
	v_addc_co_u32_e32 v15, vcc, 0, v15, vcc
	v_cmp_ne_u32_e32 vcc, 0, v4
                                        ; implicit-def: $vgpr5
	s_and_saveexec_b64 s[18:19], vcc
	s_xor_b64 s[18:19], exec, s[18:19]
; %bb.5641:                             ;   in Loop: Header=BB6_5609 Depth=2
	v_add_u32_e32 v5, 7, v16
	v_cmp_lt_u64_e32 vcc, s[46:47], v[14:15]
	v_cndmask_b32_e32 v5, v4, v5, vcc
	v_cndmask_b32_e64 v4, 0, 1, vcc
	v_lshrrev_b64 v[14:15], v4, v[14:15]
; %bb.5642:                             ;   in Loop: Header=BB6_5609 Depth=2
	s_andn2_saveexec_b64 s[18:19], s[18:19]
; %bb.5643:                             ;   in Loop: Header=BB6_5609 Depth=2
	v_bfe_u32 v5, v14, 23, 1
; %bb.5644:                             ;   in Loop: Header=BB6_5609 Depth=2
	s_or_b64 exec, exec, s[18:19]
	v_lshrrev_b64 v[6:7], 20, v[14:15]
	v_cmp_gt_i32_e32 vcc, 16, v5
	v_cndmask_b32_e32 v15, 0, v7, vcc
	v_cndmask_b32_e32 v14, 7, v6, vcc
	v_cmp_ne_u32_e32 vcc, 0, v5
	v_cmp_ne_u64_e64 s[18:19], 0, v[14:15]
	s_or_b64 s[18:19], vcc, s[18:19]
                                        ; implicit-def: $vgpr4
	s_mov_b64 vcc, exec
	s_and_b64 s[60:61], vcc, s[18:19]
	s_xor_b64 s[18:19], s[60:61], vcc
	v_accvgpr_read_b32 v8, a34
	s_mov_b64 exec, s[60:61]
; %bb.5645:                             ;   in Loop: Header=BB6_5609 Depth=2
	v_min_i32_e32 v4, 15, v5
	v_lshl_or_b32 v1, v4, 3, v1
	v_and_or_b32 v4, v14, 7, v1
                                        ; implicit-def: $vgpr1
; %bb.5646:                             ;   in Loop: Header=BB6_5609 Depth=2
	s_andn2_saveexec_b64 s[18:19], s[18:19]
; %bb.5647:                             ;   in Loop: Header=BB6_5609 Depth=2
	v_mov_b32_e32 v4, v1
; %bb.5648:                             ;   in Loop: Header=BB6_5609 Depth=2
	s_or_b64 exec, exec, s[18:19]
.LBB6_5649:                             ;   in Loop: Header=BB6_5609 Depth=2
	s_or_b64 exec, exec, s[58:59]
.LBB6_5650:                             ;   in Loop: Header=BB6_5609 Depth=2
	s_andn2_saveexec_b64 s[18:19], s[22:23]
	s_or_b64 exec, exec, s[18:19]
                                        ; implicit-def: $vgpr14
.LBB6_5651:                             ;   in Loop: Header=BB6_5609 Depth=2
	s_andn2_saveexec_b64 s[18:19], s[20:21]
	s_cbranch_execz .LBB6_5608
; %bb.5652:                             ;   in Loop: Header=BB6_5609 Depth=2
	v_or_b32_sdwa v1, v14, s71 dst_sel:DWORD dst_unused:UNUSED_PAD src0_sel:BYTE_3 src1_sel:DWORD
	v_cmp_eq_u64_e32 vcc, 0, v[52:53]
	v_cndmask_b32_e32 v4, v1, v4, vcc
	s_branch .LBB6_5608
.LBB6_5653:                             ;   in Loop: Header=BB6_2894 Depth=1
	s_or_b64 exec, exec, s[52:53]
	v_cmp_ne_u32_e64 s[18:19], 0, v55
.LBB6_5654:                             ;   in Loop: Header=BB6_2894 Depth=1
	s_and_saveexec_b64 s[20:21], s[10:11]
	s_cbranch_execz .LBB6_5673
; %bb.5655:                             ;   in Loop: Header=BB6_2894 Depth=1
	s_and_saveexec_b64 s[22:23], s[34:35]
	s_xor_b64 s[22:23], exec, s[22:23]
	s_cbranch_execz .LBB6_5670
; %bb.5656:                             ;   in Loop: Header=BB6_2894 Depth=1
	s_and_saveexec_b64 s[52:53], s[12:13]
	s_cbranch_execz .LBB6_5669
; %bb.5657:                             ;   in Loop: Header=BB6_2894 Depth=1
	s_mov_b64 s[56:57], exec
	v_mbcnt_lo_u32_b32 v0, s56, 0
	v_mbcnt_hi_u32_b32 v0, s57, v0
	v_cmp_eq_u32_e32 vcc, 0, v0
	s_waitcnt vmcnt(0) lgkmcnt(0)
	buffer_wbinvl1_vol
	s_and_saveexec_b64 s[54:55], vcc
	s_cbranch_execz .LBB6_5659
; %bb.5658:                             ;   in Loop: Header=BB6_2894 Depth=1
	s_bcnt1_i32_b64 vcc_lo, s[56:57]
	v_mov_b32_e32 v52, vcc_lo
	ds_add_u64 v0, v[52:53]
	s_trap 2
.LBB6_5659:                             ;   in Loop: Header=BB6_2894 Depth=1
	s_or_b64 exec, exec, s[54:55]
	s_trap 2
	ds_read_b64 v[0:1], v0
	v_accvgpr_read_b32 v2, a24
	v_accvgpr_read_b32 v4, a8
	;; [unrolled: 1-line block ×3, first 2 shown]
	v_add_co_u32_e32 v2, vcc, v2, v4
	v_addc_co_u32_e32 v3, vcc, 0, v3, vcc
	v_accvgpr_write_b32 a25, v3
	v_accvgpr_write_b32 a24, v2
	s_waitcnt lgkmcnt(0)
	v_cmp_lt_u64_e32 vcc, v[0:1], v[2:3]
	s_and_saveexec_b64 s[54:55], vcc
	s_cbranch_execz .LBB6_5668
; %bb.5660:                             ;   in Loop: Header=BB6_2894 Depth=1
	s_mov_b32 s75, 0
	s_mov_b64 s[56:57], 0
                                        ; implicit-def: $sgpr58_sgpr59
                                        ; implicit-def: $sgpr60_sgpr61
	s_branch .LBB6_5662
.LBB6_5661:                             ;   in Loop: Header=BB6_5662 Depth=2
	s_or_b64 exec, exec, s[64:65]
	s_and_b64 vcc, exec, vcc
	s_or_b64 s[56:57], vcc, s[56:57]
	s_andn2_b64 vcc, s[58:59], exec
	s_and_b64 s[58:59], s[60:61], exec
	s_or_b64 s[58:59], vcc, s[58:59]
	s_andn2_b64 exec, exec, s[56:57]
	s_cbranch_execz .LBB6_5666
.LBB6_5662:                             ;   Parent Loop BB6_2894 Depth=1
                                        ; =>  This Inner Loop Header: Depth=2
	s_add_i32 s75, s75, 1
	s_cmpk_lg_i32 s75, 0x2710
	s_cselect_b64 s[62:63], -1, 0
	s_and_b64 vcc, exec, s[62:63]
                                        ; implicit-def: $sgpr64_sgpr65
	s_cbranch_vccnz .LBB6_5664
; %bb.5663:                             ;   in Loop: Header=BB6_5662 Depth=2
	s_trap 2
	ds_read_b64 v[0:1], v0
	s_andn2_b64 s[62:63], s[62:63], exec
	s_mov_b32 s75, 0
	s_mov_b64 s[64:65], -1
	s_waitcnt lgkmcnt(0)
	flat_load_dword v0, v[0:1] glc
	s_waitcnt vmcnt(0) lgkmcnt(0)
	buffer_invl2
	buffer_wbinvl1_vol
	v_cmp_eq_u32_e32 vcc, 0, v0
	s_and_b64 vcc, vcc, exec
	s_or_b64 s[62:63], s[62:63], vcc
.LBB6_5664:                             ;   in Loop: Header=BB6_5662 Depth=2
	s_andn2_b64 s[60:61], s[60:61], exec
	s_and_b64 s[64:65], s[64:65], exec
	s_mov_b64 vcc, -1
	s_or_b64 s[60:61], s[60:61], s[64:65]
	s_and_saveexec_b64 s[64:65], s[62:63]
	s_cbranch_execz .LBB6_5661
; %bb.5665:                             ;   in Loop: Header=BB6_5662 Depth=2
	s_sleep 1
	s_trap 2
	ds_read_b64 v[0:1], v0
	v_accvgpr_read_b32 v2, a24
	v_accvgpr_read_b32 v3, a25
	s_andn2_b64 s[60:61], s[60:61], exec
	s_waitcnt lgkmcnt(0)
	v_cmp_ge_u64_e32 vcc, v[0:1], v[2:3]
	s_orn2_b64 vcc, vcc, exec
	s_branch .LBB6_5661
.LBB6_5666:                             ;   in Loop: Header=BB6_2894 Depth=1
	s_or_b64 exec, exec, s[56:57]
	s_and_saveexec_b64 vcc, s[58:59]
	s_xor_b64 vcc, exec, vcc
	s_cbranch_execz .LBB6_5668
; %bb.5667:                             ;   in Loop: Header=BB6_2894 Depth=1
	v_mov_b32_e32 v0, 1
	ds_write_b32 v0, v0
	s_trap 2
.LBB6_5668:                             ;   in Loop: Header=BB6_2894 Depth=1
	s_or_b64 exec, exec, s[54:55]
	;;#ASMSTART
	s_wakeup
	;;#ASMEND
.LBB6_5669:                             ;   in Loop: Header=BB6_2894 Depth=1
	s_or_b64 exec, exec, s[52:53]
.LBB6_5670:                             ;   in Loop: Header=BB6_2894 Depth=1
	s_andn2_saveexec_b64 s[22:23], s[22:23]
	s_cbranch_execz .LBB6_5672
; %bb.5671:                             ;   in Loop: Header=BB6_2894 Depth=1
	s_waitcnt vmcnt(0) lgkmcnt(0)
	buffer_wbinvl1_vol
	s_barrier
.LBB6_5672:                             ;   in Loop: Header=BB6_2894 Depth=1
	s_or_b64 exec, exec, s[22:23]
.LBB6_5673:                             ;   in Loop: Header=BB6_2894 Depth=1
	s_or_b64 exec, exec, s[20:21]
	v_accvgpr_read_b32 v0, a3
	v_and_b32_e32 v0, 16, v0
	v_cmp_ne_u32_e32 vcc, 0, v0
	s_and_b64 s[20:21], vcc, s[18:19]
	s_and_saveexec_b64 s[18:19], s[20:21]
	s_cbranch_execz .LBB6_5675
; %bb.5674:                             ;   in Loop: Header=BB6_2894 Depth=1
	s_waitcnt vmcnt(0) lgkmcnt(0)
	buffer_wbinvl1_vol
.LBB6_5675:                             ;   in Loop: Header=BB6_2894 Depth=1
	s_or_b64 exec, exec, s[18:19]
	v_accvgpr_read_b32 v0, a3
	v_and_b32_e32 v0, 32, v0
	v_cmp_ne_u32_e32 vcc, 0, v0
	s_and_saveexec_b64 s[18:19], vcc
	s_cbranch_execz .LBB6_5677
; %bb.5676:                             ;   in Loop: Header=BB6_2894 Depth=1
	v_accvgpr_read_b32 v0, a14
	v_accvgpr_read_b32 v2, a16
	;; [unrolled: 1-line block ×3, first 2 shown]
	v_add_co_u32_e32 v2, vcc, 1, v2
	v_addc_co_u32_e32 v3, vcc, 0, v3, vcc
	v_accvgpr_read_b32 v1, a15
	v_accvgpr_write_b32 a17, v3
	v_accvgpr_write_b32 a16, v2
	v_accvgpr_write_b32 a15, v1
	v_accvgpr_write_b32 a14, v0
	v_accvgpr_read_b32 v0, a18
	v_accvgpr_read_b32 v1, a19
	flat_store_dwordx2 v[0:1], v[2:3]
.LBB6_5677:                             ;   in Loop: Header=BB6_2894 Depth=1
	s_or_b64 exec, exec, s[18:19]
	v_mov_b32_e32 v0, v54
.LBB6_5678:                             ;   in Loop: Header=BB6_2894 Depth=1
	s_or_b64 exec, exec, s[50:51]
	s_and_saveexec_b64 s[20:21], s[48:49]
	s_cbranch_execz .LBB6_2893
; %bb.5679:                             ;   in Loop: Header=BB6_2894 Depth=1
	v_accvgpr_read_b32 v1, a3
	v_and_b32_e32 v1, 4, v1
	v_cmp_ne_u32_e32 vcc, 0, v1
	s_mov_b64 s[22:23], -1
	s_and_saveexec_b64 s[18:19], vcc
	s_cbranch_execnz .LBB6_5682
; %bb.5680:                             ;   in Loop: Header=BB6_2894 Depth=1
	s_or_b64 exec, exec, s[18:19]
	s_xor_b64 s[18:19], s[22:23], -1
	s_and_saveexec_b64 s[22:23], s[18:19]
	s_cbranch_execnz .LBB6_5693
.LBB6_5681:                             ;   in Loop: Header=BB6_2894 Depth=1
	s_or_b64 exec, exec, s[22:23]
	s_and_saveexec_b64 s[18:19], s[10:11]
	s_cbranch_execnz .LBB6_5702
	s_branch .LBB6_5720
.LBB6_5682:                             ;   in Loop: Header=BB6_2894 Depth=1
	v_accvgpr_read_b32 v2, a14
	v_accvgpr_read_b32 v4, a16
	;; [unrolled: 1-line block ×4, first 2 shown]
	v_add_co_u32_e32 v2, vcc, 1, v4
	v_addc_co_u32_e32 v3, vcc, 0, v5, vcc
	v_cmp_lt_u64_e32 vcc, v[36:37], v[2:3]
	v_mov_b32_e32 v1, 1
	s_and_saveexec_b64 s[22:23], vcc
	s_cbranch_execz .LBB6_5692
; %bb.5683:                             ;   in Loop: Header=BB6_2894 Depth=1
	s_mov_b64 s[48:49], 0
	v_mov_b32_e32 v1, 0
                                        ; implicit-def: $sgpr50_sgpr51
	s_branch .LBB6_5687
.LBB6_5684:                             ;   in Loop: Header=BB6_5687 Depth=2
	s_or_b64 exec, exec, s[58:59]
	v_mov_b32_e32 v4, 0
	s_orn2_b64 s[56:57], s[56:57], exec
.LBB6_5685:                             ;   in Loop: Header=BB6_5687 Depth=2
	s_or_b64 exec, exec, s[54:55]
	s_andn2_b64 vcc, s[50:51], exec
	s_and_b64 s[50:51], s[56:57], exec
	s_or_b64 s[50:51], vcc, s[50:51]
	v_mov_b32_e32 v1, v4
.LBB6_5686:                             ;   in Loop: Header=BB6_5687 Depth=2
	s_or_b64 exec, exec, s[52:53]
	s_waitcnt vmcnt(0) lgkmcnt(0)
	v_cmp_ge_u64_e32 vcc, v[36:37], v[2:3]
	s_xor_b64 s[52:53], s[50:51], -1
	s_or_b64 vcc, s[52:53], vcc
	s_and_b64 vcc, exec, vcc
	s_or_b64 s[48:49], vcc, s[48:49]
	s_andn2_b64 exec, exec, s[48:49]
	s_cbranch_execz .LBB6_5691
.LBB6_5687:                             ;   Parent Loop BB6_2894 Depth=1
                                        ; =>  This Inner Loop Header: Depth=2
	v_accvgpr_read_b32 v4, a18
	v_accvgpr_read_b32 v5, a19
	s_sleep 1
	flat_load_dwordx2 v[36:37], v[4:5] glc
	v_accvgpr_read_b32 v4, a3
	v_and_b32_e32 v4, 64, v4
	v_cmp_eq_u32_e32 vcc, 0, v4
	s_andn2_b64 s[50:51], s[50:51], exec
	s_and_saveexec_b64 s[52:53], vcc
	s_cbranch_execz .LBB6_5686
; %bb.5688:                             ;   in Loop: Header=BB6_5687 Depth=2
	v_add_u32_e32 v4, 1, v1
	v_cmp_lt_i32_e32 vcc, s68, v1
	s_mov_b64 s[56:57], -1
	s_and_saveexec_b64 s[54:55], vcc
	s_cbranch_execz .LBB6_5685
; %bb.5689:                             ;   in Loop: Header=BB6_5687 Depth=2
	s_trap 2
	ds_read_b64 v[4:5], v0
	s_waitcnt vmcnt(0) lgkmcnt(0)
	flat_load_dword v1, v[4:5] glc
	s_waitcnt vmcnt(0) lgkmcnt(0)
	buffer_invl2
	buffer_wbinvl1_vol
	v_cmp_ne_u32_e32 vcc, 0, v1
	s_and_saveexec_b64 s[58:59], vcc
	s_cbranch_execz .LBB6_5684
; %bb.5690:                             ;   in Loop: Header=BB6_5687 Depth=2
	v_accvgpr_read_b32 v4, a3
	v_or_b32_e32 v4, 64, v4
	v_accvgpr_write_b32 a3, v4
	s_xor_b64 s[56:57], exec, -1
	ds_write_b32 v0, v1
	s_trap 2
	s_branch .LBB6_5684
.LBB6_5691:                             ;   in Loop: Header=BB6_2894 Depth=1
	s_or_b64 exec, exec, s[48:49]
	v_accvgpr_read_b32 v1, a3
	v_and_b32_e32 v1, 4, v1
.LBB6_5692:                             ;   in Loop: Header=BB6_2894 Depth=1
	s_or_b64 exec, exec, s[22:23]
	v_cmp_eq_u32_e32 vcc, 0, v1
	s_orn2_b64 s[22:23], vcc, exec
	;;#ASMSTART
	s_wakeup
	;;#ASMEND
	s_or_b64 exec, exec, s[18:19]
	s_xor_b64 s[18:19], s[22:23], -1
	s_and_saveexec_b64 s[22:23], s[18:19]
	s_cbranch_execz .LBB6_5681
.LBB6_5693:                             ;   in Loop: Header=BB6_2894 Depth=1
	v_accvgpr_read_b32 v1, a3
	v_accvgpr_read_b32 v2, a14
	v_and_b32_e32 v1, 0x100, v1
	v_accvgpr_read_b32 v4, a16
	v_cmp_ne_u32_e32 vcc, 0, v1
	v_accvgpr_read_b32 v3, a15
	v_and_b32_e32 v1, 7, v4
	s_mov_b64 s[18:19], -1
	v_accvgpr_read_b32 v5, a17
                                        ; implicit-def: $vgpr2_vgpr3
	s_and_saveexec_b64 s[48:49], vcc
	s_cbranch_execz .LBB6_5697
; %bb.5694:                             ;   in Loop: Header=BB6_2894 Depth=1
	v_accvgpr_read_b32 v2, a14
	v_accvgpr_read_b32 v3, a15
	v_mad_u64_u32 v[10:11], s[18:19], v1, 24, v[2:3]
	flat_load_dword v2, v[10:11]
	v_accvgpr_read_b32 v4, a16
	v_accvgpr_read_b32 v5, a17
	s_waitcnt vmcnt(0) lgkmcnt(0)
	v_cmp_ne_u32_e32 vcc, 1, v2
	v_cmp_eq_u32_e64 s[18:19], 1, v2
                                        ; implicit-def: $vgpr2_vgpr3
	s_and_saveexec_b64 s[50:51], s[18:19]
	s_cbranch_execz .LBB6_5696
; %bb.5695:                             ;   in Loop: Header=BB6_2894 Depth=1
	flat_load_dword v2, v[10:11] offset:4 glc
	s_waitcnt vmcnt(0) lgkmcnt(0)
	v_ashrrev_i32_e32 v3, 31, v2
.LBB6_5696:                             ;   in Loop: Header=BB6_2894 Depth=1
	s_or_b64 exec, exec, s[50:51]
	s_orn2_b64 s[18:19], vcc, exec
.LBB6_5697:                             ;   in Loop: Header=BB6_2894 Depth=1
	s_or_b64 exec, exec, s[48:49]
	s_and_saveexec_b64 vcc, s[18:19]
; %bb.5698:                             ;   in Loop: Header=BB6_2894 Depth=1
	v_accvgpr_read_b32 v2, a20
	v_mad_i64_i32 v[2:3], s[18:19], v1, v2, 0
; %bb.5699:                             ;   in Loop: Header=BB6_2894 Depth=1
	s_or_b64 exec, exec, vcc
	v_accvgpr_read_b32 v4, a22
	v_accvgpr_read_b32 v5, a23
	v_add_co_u32_e32 v2, vcc, v4, v2
	v_accvgpr_read_b32 v1, a3
	v_addc_co_u32_e32 v3, vcc, v5, v3, vcc
	v_and_b32_e32 v1, 0x2000, v1
	v_cmp_ne_u32_e32 vcc, 0, v1
	ds_write_b64 v0, v[2:3] offset:728
	s_and_saveexec_b64 s[18:19], vcc
	s_cbranch_execz .LBB6_5701
; %bb.5700:                             ;   in Loop: Header=BB6_2894 Depth=1
	ds_read_b64 v[2:3], v0 offset:584
	s_waitcnt lgkmcnt(0)
	v_add_co_u32_e32 v2, vcc, 1, v2
	v_addc_co_u32_e32 v3, vcc, 0, v3, vcc
	ds_write_b64 v0, v[2:3] offset:584
.LBB6_5701:                             ;   in Loop: Header=BB6_2894 Depth=1
	s_or_b64 exec, exec, s[18:19]
	v_accvgpr_read_b32 v2, a14
	v_accvgpr_read_b32 v4, a16
	;; [unrolled: 1-line block ×3, first 2 shown]
	v_add_co_u32_e32 v4, vcc, 1, v4
	v_addc_co_u32_e32 v5, vcc, 0, v5, vcc
	v_accvgpr_read_b32 v3, a15
	v_accvgpr_write_b32 a17, v5
	v_accvgpr_write_b32 a16, v4
	;; [unrolled: 1-line block ×4, first 2 shown]
	s_or_b64 exec, exec, s[22:23]
	s_and_saveexec_b64 s[18:19], s[10:11]
	s_cbranch_execz .LBB6_5720
.LBB6_5702:                             ;   in Loop: Header=BB6_2894 Depth=1
	s_and_saveexec_b64 s[22:23], s[34:35]
	s_xor_b64 s[22:23], exec, s[22:23]
	s_cbranch_execz .LBB6_5717
; %bb.5703:                             ;   in Loop: Header=BB6_2894 Depth=1
	s_and_saveexec_b64 s[48:49], s[12:13]
	s_cbranch_execz .LBB6_5716
; %bb.5704:                             ;   in Loop: Header=BB6_2894 Depth=1
	s_mov_b64 s[52:53], exec
	v_mbcnt_lo_u32_b32 v1, s52, 0
	v_mbcnt_hi_u32_b32 v1, s53, v1
	v_cmp_eq_u32_e32 vcc, 0, v1
	s_waitcnt vmcnt(0) lgkmcnt(0)
	buffer_wbinvl1_vol
	s_and_saveexec_b64 s[50:51], vcc
	s_cbranch_execz .LBB6_5706
; %bb.5705:                             ;   in Loop: Header=BB6_2894 Depth=1
	s_bcnt1_i32_b64 vcc_lo, s[52:53]
	v_mov_b32_e32 v52, vcc_lo
	ds_add_u64 v0, v[52:53]
	s_trap 2
.LBB6_5706:                             ;   in Loop: Header=BB6_2894 Depth=1
	s_or_b64 exec, exec, s[50:51]
	s_trap 2
	ds_read_b64 v[2:3], v0
	v_accvgpr_read_b32 v4, a24
	v_accvgpr_read_b32 v6, a8
	;; [unrolled: 1-line block ×3, first 2 shown]
	v_add_co_u32_e32 v4, vcc, v4, v6
	v_addc_co_u32_e32 v5, vcc, 0, v5, vcc
	v_accvgpr_write_b32 a25, v5
	v_accvgpr_write_b32 a24, v4
	s_waitcnt lgkmcnt(0)
	v_cmp_lt_u64_e32 vcc, v[2:3], v[4:5]
	s_and_saveexec_b64 s[50:51], vcc
	s_cbranch_execz .LBB6_5715
; %bb.5707:                             ;   in Loop: Header=BB6_2894 Depth=1
	s_mov_b32 s62, 0
	s_mov_b64 s[52:53], 0
                                        ; implicit-def: $sgpr54_sgpr55
                                        ; implicit-def: $sgpr56_sgpr57
	s_branch .LBB6_5709
.LBB6_5708:                             ;   in Loop: Header=BB6_5709 Depth=2
	s_or_b64 exec, exec, s[60:61]
	s_and_b64 vcc, exec, vcc
	s_or_b64 s[52:53], vcc, s[52:53]
	s_andn2_b64 vcc, s[54:55], exec
	s_and_b64 s[54:55], s[56:57], exec
	s_or_b64 s[54:55], vcc, s[54:55]
	s_andn2_b64 exec, exec, s[52:53]
	s_cbranch_execz .LBB6_5713
.LBB6_5709:                             ;   Parent Loop BB6_2894 Depth=1
                                        ; =>  This Inner Loop Header: Depth=2
	s_add_i32 s62, s62, 1
	s_cmpk_lg_i32 s62, 0x2710
	s_cselect_b64 s[58:59], -1, 0
	s_and_b64 vcc, exec, s[58:59]
                                        ; implicit-def: $sgpr60_sgpr61
	s_cbranch_vccnz .LBB6_5711
; %bb.5710:                             ;   in Loop: Header=BB6_5709 Depth=2
	s_trap 2
	ds_read_b64 v[2:3], v0
	s_andn2_b64 s[58:59], s[58:59], exec
	s_mov_b32 s62, 0
	s_mov_b64 s[60:61], -1
	s_waitcnt lgkmcnt(0)
	flat_load_dword v1, v[2:3] glc
	s_waitcnt vmcnt(0) lgkmcnt(0)
	buffer_invl2
	buffer_wbinvl1_vol
	v_cmp_eq_u32_e32 vcc, 0, v1
	s_and_b64 vcc, vcc, exec
	s_or_b64 s[58:59], s[58:59], vcc
.LBB6_5711:                             ;   in Loop: Header=BB6_5709 Depth=2
	s_andn2_b64 s[56:57], s[56:57], exec
	s_and_b64 s[60:61], s[60:61], exec
	s_mov_b64 vcc, -1
	s_or_b64 s[56:57], s[56:57], s[60:61]
	s_and_saveexec_b64 s[60:61], s[58:59]
	s_cbranch_execz .LBB6_5708
; %bb.5712:                             ;   in Loop: Header=BB6_5709 Depth=2
	s_sleep 1
	s_trap 2
	ds_read_b64 v[2:3], v0
	v_accvgpr_read_b32 v4, a24
	v_accvgpr_read_b32 v5, a25
	s_andn2_b64 s[56:57], s[56:57], exec
	s_waitcnt lgkmcnt(0)
	v_cmp_ge_u64_e32 vcc, v[2:3], v[4:5]
	s_orn2_b64 vcc, vcc, exec
	s_branch .LBB6_5708
.LBB6_5713:                             ;   in Loop: Header=BB6_2894 Depth=1
	s_or_b64 exec, exec, s[52:53]
	s_and_saveexec_b64 vcc, s[54:55]
	s_xor_b64 vcc, exec, vcc
	s_cbranch_execz .LBB6_5715
; %bb.5714:                             ;   in Loop: Header=BB6_2894 Depth=1
	v_mov_b32_e32 v1, 1
	ds_write_b32 v0, v1
	s_trap 2
.LBB6_5715:                             ;   in Loop: Header=BB6_2894 Depth=1
	s_or_b64 exec, exec, s[50:51]
	;;#ASMSTART
	s_wakeup
	;;#ASMEND
.LBB6_5716:                             ;   in Loop: Header=BB6_2894 Depth=1
	s_or_b64 exec, exec, s[48:49]
.LBB6_5717:                             ;   in Loop: Header=BB6_2894 Depth=1
	s_andn2_saveexec_b64 s[22:23], s[22:23]
	s_cbranch_execz .LBB6_5719
; %bb.5718:                             ;   in Loop: Header=BB6_2894 Depth=1
	s_waitcnt vmcnt(0) lgkmcnt(0)
	buffer_wbinvl1_vol
	s_barrier
.LBB6_5719:                             ;   in Loop: Header=BB6_2894 Depth=1
	s_or_b64 exec, exec, s[22:23]
.LBB6_5720:                             ;   in Loop: Header=BB6_2894 Depth=1
	s_or_b64 exec, exec, s[18:19]
	s_trap 2
	ds_read_b32 v1, v0
	v_sub_u32_e32 v0, v8, v0
	v_min_i32_e32 v0, v54, v0
	v_cmp_lt_i32_e32 vcc, 0, v0
	v_accvgpr_read_b32 v0, a3
	s_waitcnt lgkmcnt(0)
	v_readfirstlane_b32 s18, v1
	s_cmp_eq_u32 s18, 0
	s_cselect_b64 s[18:19], -1, 0
	v_and_b32_e32 v0, 16, v0
	s_and_b64 s[18:19], vcc, s[18:19]
	v_cmp_ne_u32_e32 vcc, 0, v0
	s_and_b64 s[22:23], vcc, s[18:19]
	s_and_saveexec_b64 s[18:19], s[22:23]
	s_cbranch_execz .LBB6_5722
; %bb.5721:                             ;   in Loop: Header=BB6_2894 Depth=1
	s_waitcnt vmcnt(0)
	buffer_wbinvl1_vol
.LBB6_5722:                             ;   in Loop: Header=BB6_2894 Depth=1
	s_or_b64 exec, exec, s[18:19]
	v_accvgpr_read_b32 v0, a3
	v_and_b32_e32 v0, 32, v0
	v_cmp_ne_u32_e32 vcc, 0, v0
	s_and_saveexec_b64 s[18:19], vcc
	s_cbranch_execz .LBB6_2892
; %bb.5723:                             ;   in Loop: Header=BB6_2894 Depth=1
	v_accvgpr_read_b32 v0, a14
	v_accvgpr_read_b32 v2, a16
	;; [unrolled: 1-line block ×3, first 2 shown]
	v_add_co_u32_e32 v2, vcc, 1, v2
	v_addc_co_u32_e32 v3, vcc, 0, v3, vcc
	v_accvgpr_read_b32 v1, a15
	v_accvgpr_write_b32 a17, v3
	v_accvgpr_write_b32 a16, v2
	;; [unrolled: 1-line block ×4, first 2 shown]
	v_accvgpr_read_b32 v0, a18
	v_accvgpr_read_b32 v1, a19
	flat_store_dwordx2 v[0:1], v[2:3]
	s_branch .LBB6_2892
.LBB6_5724:
	s_or_b64 exec, exec, s[36:37]
	v_mov_b32_e32 v46, v39
	v_accvgpr_read_b32 v41, a17
	v_accvgpr_read_b32 v31, a0
	;; [unrolled: 1-line block ×6, first 2 shown]
.LBB6_5725:
	s_or_b64 exec, exec, s[26:27]
.LBB6_5726:
	s_or_b64 exec, exec, s[24:25]
                                        ; implicit-def: $vgpr60_vgpr61
                                        ; implicit-def: $vgpr32_vgpr33
                                        ; implicit-def: $agpr28_agpr29
                                        ; implicit-def: $agpr20
                                        ; implicit-def: $vgpr36_vgpr37
                                        ; implicit-def: $agpr22_agpr23
                                        ; implicit-def: $agpr18_agpr19
                                        ; implicit-def: $vgpr58
                                        ; implicit-def: $vgpr1
                                        ; implicit-def: $agpr26_agpr27
.LBB6_5727:
	s_andn2_saveexec_b64 s[22:23], s[30:31]
	s_cbranch_execz .LBB6_5900
; %bb.5728:
	v_pk_mov_b32 v[2:3], 0, 0
	v_accvgpr_write_b32 a25, v3
	s_mov_b64 s[26:27], 0
	v_cmp_ne_u64_e32 vcc, 0, v[32:33]
	v_accvgpr_write_b32 a24, v2
	s_and_saveexec_b64 s[24:25], vcc
	s_cbranch_execz .LBB6_5899
; %bb.5729:
	s_waitcnt vmcnt(0)
	v_accvgpr_read_b32 v0, a2
	v_cmp_ne_u32_sdwa s[30:31], v0, v46 src0_sel:WORD_0 src1_sel:DWORD
	v_and_b32_e32 v0, 63, v31
	v_cmp_eq_u32_e64 s[12:13], 0, v0
	v_ashrrev_i32_e32 v0, 31, v58
	v_lshrrev_b32_e32 v0, 26, v0
	v_add_u32_e32 v2, v58, v0
	v_and_b32_e32 v0, 0xffffffc0, v2
	v_ashrrev_i32_e32 v8, 6, v2
	v_sub_u32_e32 v0, v58, v0
	v_lshlrev_b32_e32 v2, 12, v8
	v_lshrrev_b32_e32 v10, 6, v46
	v_lshl_add_u32 v14, v0, 4, v2
	v_mov_b32_e32 v2, 0xfffff000
	v_lshl_add_u32 v2, v10, 12, v2
	s_movk_i32 s18, 0x1000
	v_ashrrev_i32_e32 v3, 31, v2
	v_add_co_u32_e64 v26, s[18:19], s18, v2
	v_cmp_gt_i32_e64 s[14:15], 1, v0
	v_cmp_lt_i32_e64 s[16:17], v0, v1
	v_accvgpr_write_b32 a5, v0
	v_addc_co_u32_e64 v27, s[18:19], 0, v3, s[18:19]
	v_lshlrev_b32_e32 v0, 10, v10
	v_add_u32_e32 v2, 0xfffffc00, v0
	s_movk_i32 s18, 0x400
	v_accvgpr_write_b32 a30, v0
	v_ashrrev_i32_e32 v3, 31, v2
	v_add_co_u32_e64 v0, s[18:19], s18, v2
	v_addc_co_u32_e64 v9, s[18:19], 0, v3, s[18:19]
	v_mov_b32_e32 v2, 0xfffff800
	v_lshl_add_u32 v2, v10, 11, v2
	s_movk_i32 s18, 0x800
	s_ashr_i32 s6, s70, 31
	v_accvgpr_write_b32 a31, v0
	v_ashrrev_i32_e32 v3, 31, v2
	v_add_co_u32_e64 v35, s[18:19], s18, v2
	s_waitcnt lgkmcnt(0)
	v_accvgpr_read_b32 v0, a28
	s_lshr_b32 s6, s6, 24
	v_addc_co_u32_e64 v48, s[18:19], 0, v3, s[18:19]
	v_accvgpr_read_b32 v1, a29
	v_pk_mov_b32 v[18:19], 0, 0
	s_add_i32 s70, s70, s6
	v_cmp_eq_u32_e32 vcc, 64, v46
	v_and_b32_e32 v16, 0xffffffc0, v46
	v_cmp_ne_u64_e64 s[18:19], 0, v[0:1]
	v_accvgpr_write_b32 a25, v19
	v_accvgpr_write_b32 a6, v32
	v_accvgpr_read_b32 v0, a26
	s_ashr_i32 s58, s70, 8
	v_cmp_ge_i32_e64 s[6:7], v58, v46
	v_cmp_ne_u32_e64 s[10:11], 64, v46
	v_mov_b32_e32 v13, 0
	v_ashrrev_i32_e32 v11, 31, v14
	v_ashrrev_i32_e32 v15, 31, v16
	s_movk_i32 s59, 0x270e
	v_mov_b32_e32 v28, 1
	s_xor_b64 s[34:35], vcc, -1
	v_accvgpr_write_b32 a24, v18
	v_accvgpr_write_b32 a7, v33
	v_accvgpr_read_b32 v1, a27
	s_trap 2
	s_branch .LBB6_5733
.LBB6_5730:                             ;   in Loop: Header=BB6_5733 Depth=1
	s_or_b64 exec, exec, vcc
	v_add_co_u32_e32 v40, vcc, 1, v40
	v_accvgpr_read_b32 v0, a18
	v_addc_co_u32_e32 v41, vcc, 0, v41, vcc
	v_accvgpr_read_b32 v1, a19
	flat_store_dwordx2 v[0:1], v[40:41]
.LBB6_5731:                             ;   in Loop: Header=BB6_5733 Depth=1
	s_or_b64 exec, exec, s[20:21]
.LBB6_5732:                             ;   in Loop: Header=BB6_5733 Depth=1
	s_or_b64 exec, exec, s[38:39]
	v_accvgpr_read_b32 v0, a26
	v_add_co_u32_e32 v18, vcc, v18, v0
	v_addc_co_u32_e32 v19, vcc, 0, v19, vcc
	v_cmp_ge_u64_e32 vcc, v[18:19], v[32:33]
	v_accvgpr_read_b32 v1, a27
	s_or_b64 s[26:27], vcc, s[26:27]
	s_andn2_b64 exec, exec, s[26:27]
	s_cbranch_execz .LBB6_5898
.LBB6_5733:                             ; =>This Loop Header: Depth=1
                                        ;     Child Loop BB6_5742 Depth 2
                                        ;     Child Loop BB6_5766 Depth 2
	;; [unrolled: 1-line block ×10, first 2 shown]
	v_sub_co_u32_e32 v2, vcc, v32, v18
	v_subb_co_u32_e32 v3, vcc, v33, v19, vcc
	v_cmp_lt_u64_e32 vcc, v[0:1], v[2:3]
	v_cndmask_b32_e64 v21, v3, 0, vcc
	v_cndmask_b32_e32 v20, v2, v0, vcc
	v_add_u32_e32 v2, 15, v20
	v_cmp_eq_u64_e32 vcc, 0, v[20:21]
	v_and_b32_e32 v2, 0x7ffffff0, v2
	s_or_b64 s[36:37], s[6:7], vcc
	v_max_i32_e32 v12, s58, v2
	s_xor_b64 s[20:21], s[36:37], -1
	v_mov_b32_e32 v4, 0
	s_and_saveexec_b64 s[38:39], s[20:21]
	s_cbranch_execz .LBB6_5851
; %bb.5734:                             ;   in Loop: Header=BB6_5733 Depth=1
	s_and_saveexec_b64 s[20:21], s[4:5]
	s_cbranch_execz .LBB6_5736
; %bb.5735:                             ;   in Loop: Header=BB6_5733 Depth=1
	s_trap 2
	ds_read_b64 v[2:3], v0
	s_waitcnt lgkmcnt(0)
	v_add_co_u32_e32 v2, vcc, v2, v60
	v_addc_co_u32_e32 v3, vcc, v3, v61, vcc
	v_add_co_u32_e32 v2, vcc, v2, v18
	v_addc_co_u32_e32 v3, vcc, v3, v19, vcc
	ds_write_b64 v0, v[2:3]
	v_mov_b32_e32 v2, v13
	v_mov_b32_e32 v3, v13
	ds_write_b64 v0, v[2:3]
.LBB6_5736:                             ;   in Loop: Header=BB6_5733 Depth=1
	s_or_b64 exec, exec, s[20:21]
	v_and_b32_e32 v2, 8, v59
	v_cmp_ne_u32_e32 vcc, 0, v2
	s_mov_b64 s[40:41], -1
	s_and_saveexec_b64 s[20:21], vcc
	s_cbranch_execz .LBB6_5748
; %bb.5737:                             ;   in Loop: Header=BB6_5733 Depth=1
	v_add_co_u32_e32 v4, vcc, 8, v36
	v_addc_co_u32_e32 v5, vcc, 0, v37, vcc
	v_add_co_u32_e32 v2, vcc, 1, v40
	v_addc_co_u32_e32 v3, vcc, 0, v41, vcc
	v_cmp_lt_u64_e32 vcc, v[4:5], v[2:3]
	v_mov_b32_e32 v4, 1
	s_and_saveexec_b64 s[40:41], vcc
	s_cbranch_execz .LBB6_5747
; %bb.5738:                             ;   in Loop: Header=BB6_5733 Depth=1
	s_mov_b64 s[42:43], 0
	v_mov_b32_e32 v4, 0
                                        ; implicit-def: $sgpr44_sgpr45
	s_branch .LBB6_5742
.LBB6_5739:                             ;   in Loop: Header=BB6_5742 Depth=2
	s_or_b64 exec, exec, s[52:53]
	v_mov_b32_e32 v5, 0
	s_orn2_b64 s[50:51], s[50:51], exec
.LBB6_5740:                             ;   in Loop: Header=BB6_5742 Depth=2
	s_or_b64 exec, exec, s[48:49]
	s_andn2_b64 vcc, s[44:45], exec
	s_and_b64 s[44:45], s[50:51], exec
	s_or_b64 s[44:45], vcc, s[44:45]
	v_mov_b32_e32 v4, v5
.LBB6_5741:                             ;   in Loop: Header=BB6_5742 Depth=2
	s_or_b64 exec, exec, s[46:47]
	s_waitcnt vmcnt(0) lgkmcnt(0)
	v_add_co_u32_e32 v6, vcc, 8, v36
	v_addc_co_u32_e32 v7, vcc, 0, v37, vcc
	v_cmp_ge_u64_e32 vcc, v[6:7], v[2:3]
	s_xor_b64 s[46:47], s[44:45], -1
	s_or_b64 vcc, s[46:47], vcc
	s_and_b64 vcc, exec, vcc
	s_or_b64 s[42:43], vcc, s[42:43]
	s_andn2_b64 exec, exec, s[42:43]
	s_cbranch_execz .LBB6_5746
.LBB6_5742:                             ;   Parent Loop BB6_5733 Depth=1
                                        ; =>  This Inner Loop Header: Depth=2
	v_accvgpr_read_b32 v0, a18
	v_accvgpr_read_b32 v1, a19
	s_sleep 1
	flat_load_dwordx2 v[36:37], v[0:1] glc
	v_and_b32_e32 v5, 64, v59
	v_cmp_eq_u32_e32 vcc, 0, v5
	s_andn2_b64 s[44:45], s[44:45], exec
	s_and_saveexec_b64 s[46:47], vcc
	s_cbranch_execz .LBB6_5741
; %bb.5743:                             ;   in Loop: Header=BB6_5742 Depth=2
	v_add_u32_e32 v5, 1, v4
	v_cmp_lt_i32_e32 vcc, s59, v4
	s_mov_b64 s[50:51], -1
	s_and_saveexec_b64 s[48:49], vcc
	s_cbranch_execz .LBB6_5740
; %bb.5744:                             ;   in Loop: Header=BB6_5742 Depth=2
	s_trap 2
	ds_read_b64 v[4:5], v0
	s_waitcnt vmcnt(0) lgkmcnt(0)
	flat_load_dword v4, v[4:5] glc
	s_waitcnt vmcnt(0) lgkmcnt(0)
	buffer_invl2
	buffer_wbinvl1_vol
	v_cmp_ne_u32_e32 vcc, 0, v4
	s_and_saveexec_b64 s[52:53], vcc
	s_cbranch_execz .LBB6_5739
; %bb.5745:                             ;   in Loop: Header=BB6_5742 Depth=2
	v_or_b32_e32 v59, 64, v59
	s_xor_b64 s[50:51], exec, -1
	ds_write_b32 v0, v4
	s_trap 2
	s_branch .LBB6_5739
.LBB6_5746:                             ;   in Loop: Header=BB6_5733 Depth=1
	s_or_b64 exec, exec, s[42:43]
	v_and_b32_e32 v4, 8, v59
.LBB6_5747:                             ;   in Loop: Header=BB6_5733 Depth=1
	s_or_b64 exec, exec, s[40:41]
	v_cmp_eq_u32_e32 vcc, 0, v4
	s_orn2_b64 s[40:41], vcc, exec
	;;#ASMSTART
	s_wakeup
	;;#ASMEND
.LBB6_5748:                             ;   in Loop: Header=BB6_5733 Depth=1
	s_or_b64 exec, exec, s[20:21]
	s_xor_b64 s[20:21], s[40:41], -1
	v_min_u32_e32 v12, v12, v20
	s_and_saveexec_b64 s[40:41], s[20:21]
	s_cbranch_execz .LBB6_5758
; %bb.5749:                             ;   in Loop: Header=BB6_5733 Depth=1
	v_and_b32_e32 v2, 0x100, v59
	v_cmp_ne_u32_e32 vcc, 0, v2
	v_and_b32_e32 v4, 7, v40
	s_mov_b64 s[20:21], -1
                                        ; implicit-def: $vgpr2_vgpr3
	s_and_saveexec_b64 s[42:43], vcc
	s_cbranch_execz .LBB6_5753
; %bb.5750:                             ;   in Loop: Header=BB6_5733 Depth=1
	v_mad_u64_u32 v[22:23], s[20:21], v4, 24, v[38:39]
	flat_load_dword v2, v[22:23]
	s_waitcnt vmcnt(0) lgkmcnt(0)
	v_cmp_ne_u32_e32 vcc, 1, v2
	v_cmp_eq_u32_e64 s[20:21], 1, v2
	flat_store_dwordx2 v[22:23], v[12:13] offset:8
                                        ; implicit-def: $vgpr2_vgpr3
	s_and_saveexec_b64 s[44:45], s[20:21]
	s_cbranch_execz .LBB6_5752
; %bb.5751:                             ;   in Loop: Header=BB6_5733 Depth=1
	flat_load_dword v2, v[22:23] offset:4 glc
	s_waitcnt vmcnt(0) lgkmcnt(0)
	v_ashrrev_i32_e32 v3, 31, v2
.LBB6_5752:                             ;   in Loop: Header=BB6_5733 Depth=1
	s_or_b64 exec, exec, s[44:45]
	s_orn2_b64 s[20:21], vcc, exec
.LBB6_5753:                             ;   in Loop: Header=BB6_5733 Depth=1
	s_or_b64 exec, exec, s[42:43]
	s_and_saveexec_b64 vcc, s[20:21]
; %bb.5754:                             ;   in Loop: Header=BB6_5733 Depth=1
	v_accvgpr_read_b32 v0, a20
	v_mad_i64_i32 v[2:3], s[20:21], v4, v0, 0
; %bb.5755:                             ;   in Loop: Header=BB6_5733 Depth=1
	s_or_b64 exec, exec, vcc
	v_accvgpr_read_b32 v0, a22
	v_accvgpr_read_b32 v1, a23
	v_add_co_u32_e32 v2, vcc, v0, v2
	v_addc_co_u32_e32 v3, vcc, v1, v3, vcc
	ds_write_b64 v0, v[2:3] offset:784
	v_and_b32_e32 v2, 0x2000, v59
	v_cmp_ne_u32_e32 vcc, 0, v2
	s_and_saveexec_b64 s[20:21], vcc
	s_cbranch_execz .LBB6_5757
; %bb.5756:                             ;   in Loop: Header=BB6_5733 Depth=1
	ds_read_b64 v[2:3], v0 offset:584
	s_waitcnt lgkmcnt(0)
	v_add_co_u32_e32 v2, vcc, 1, v2
	v_addc_co_u32_e32 v3, vcc, 0, v3, vcc
	ds_write_b64 v0, v[2:3] offset:584
.LBB6_5757:                             ;   in Loop: Header=BB6_5733 Depth=1
	s_or_b64 exec, exec, s[20:21]
	v_add_co_u32_e32 v40, vcc, 1, v40
	v_addc_co_u32_e32 v41, vcc, 0, v41, vcc
.LBB6_5758:                             ;   in Loop: Header=BB6_5733 Depth=1
	s_or_b64 exec, exec, s[40:41]
	s_and_saveexec_b64 s[20:21], s[10:11]
	s_cbranch_execz .LBB6_5777
; %bb.5759:                             ;   in Loop: Header=BB6_5733 Depth=1
	s_and_saveexec_b64 vcc, s[30:31]
	s_xor_b64 s[40:41], exec, vcc
	s_cbranch_execz .LBB6_5774
; %bb.5760:                             ;   in Loop: Header=BB6_5733 Depth=1
	s_and_saveexec_b64 s[42:43], s[12:13]
	s_cbranch_execz .LBB6_5773
; %bb.5761:                             ;   in Loop: Header=BB6_5733 Depth=1
	s_mov_b64 s[46:47], exec
	v_mbcnt_lo_u32_b32 v2, s46, 0
	v_mbcnt_hi_u32_b32 v2, s47, v2
	v_cmp_eq_u32_e32 vcc, 0, v2
	s_waitcnt vmcnt(0) lgkmcnt(0)
	buffer_wbinvl1_vol
	s_and_saveexec_b64 s[44:45], vcc
	s_cbranch_execz .LBB6_5763
; %bb.5762:                             ;   in Loop: Header=BB6_5733 Depth=1
	s_bcnt1_i32_b64 vcc_lo, s[46:47]
	v_mov_b32_e32 v2, vcc_lo
	v_mov_b32_e32 v3, v13
	ds_add_u64 v0, v[2:3]
	s_trap 2
.LBB6_5763:                             ;   in Loop: Header=BB6_5733 Depth=1
	s_or_b64 exec, exec, s[44:45]
	s_trap 2
	ds_read_b64 v[2:3], v0
	v_accvgpr_read_b32 v0, a24
	v_accvgpr_read_b32 v1, a25
	v_add_co_u32_e32 v0, vcc, v0, v10
	v_addc_co_u32_e32 v1, vcc, 0, v1, vcc
	v_accvgpr_write_b32 a25, v1
	v_accvgpr_write_b32 a24, v0
	s_waitcnt lgkmcnt(0)
	v_cmp_lt_u64_e32 vcc, v[2:3], v[0:1]
	s_and_saveexec_b64 s[44:45], vcc
	s_cbranch_execz .LBB6_5772
; %bb.5764:                             ;   in Loop: Header=BB6_5733 Depth=1
	s_mov_b32 s56, 0
	s_mov_b64 s[46:47], 0
                                        ; implicit-def: $sgpr48_sgpr49
                                        ; implicit-def: $sgpr50_sgpr51
	s_branch .LBB6_5766
.LBB6_5765:                             ;   in Loop: Header=BB6_5766 Depth=2
	s_or_b64 exec, exec, s[54:55]
	s_and_b64 vcc, exec, vcc
	s_or_b64 s[46:47], vcc, s[46:47]
	s_andn2_b64 vcc, s[48:49], exec
	s_and_b64 s[48:49], s[50:51], exec
	s_or_b64 s[48:49], vcc, s[48:49]
	s_andn2_b64 exec, exec, s[46:47]
	s_cbranch_execz .LBB6_5770
.LBB6_5766:                             ;   Parent Loop BB6_5733 Depth=1
                                        ; =>  This Inner Loop Header: Depth=2
	s_add_i32 s56, s56, 1
	s_cmpk_lg_i32 s56, 0x2710
	s_cselect_b64 s[52:53], -1, 0
	s_and_b64 vcc, exec, s[52:53]
                                        ; implicit-def: $sgpr54_sgpr55
	s_cbranch_vccnz .LBB6_5768
; %bb.5767:                             ;   in Loop: Header=BB6_5766 Depth=2
	s_trap 2
	ds_read_b64 v[2:3], v0
	s_andn2_b64 s[52:53], s[52:53], exec
	s_mov_b32 s56, 0
	s_mov_b64 s[54:55], -1
	s_waitcnt lgkmcnt(0)
	flat_load_dword v2, v[2:3] glc
	s_waitcnt vmcnt(0) lgkmcnt(0)
	buffer_invl2
	buffer_wbinvl1_vol
	v_cmp_eq_u32_e32 vcc, 0, v2
	s_and_b64 vcc, vcc, exec
	s_or_b64 s[52:53], s[52:53], vcc
.LBB6_5768:                             ;   in Loop: Header=BB6_5766 Depth=2
	s_andn2_b64 s[50:51], s[50:51], exec
	s_and_b64 s[54:55], s[54:55], exec
	s_mov_b64 vcc, -1
	s_or_b64 s[50:51], s[50:51], s[54:55]
	s_and_saveexec_b64 s[54:55], s[52:53]
	s_cbranch_execz .LBB6_5765
; %bb.5769:                             ;   in Loop: Header=BB6_5766 Depth=2
	s_sleep 1
	s_trap 2
	ds_read_b64 v[2:3], v0
	v_accvgpr_read_b32 v0, a24
	v_accvgpr_read_b32 v1, a25
	s_andn2_b64 s[50:51], s[50:51], exec
	s_waitcnt lgkmcnt(0)
	v_cmp_ge_u64_e32 vcc, v[2:3], v[0:1]
	s_orn2_b64 vcc, vcc, exec
	s_branch .LBB6_5765
.LBB6_5770:                             ;   in Loop: Header=BB6_5733 Depth=1
	s_or_b64 exec, exec, s[46:47]
	s_and_saveexec_b64 vcc, s[48:49]
	s_xor_b64 vcc, exec, vcc
	s_cbranch_execz .LBB6_5772
; %bb.5771:                             ;   in Loop: Header=BB6_5733 Depth=1
	ds_write_b32 v0, v28
	s_trap 2
.LBB6_5772:                             ;   in Loop: Header=BB6_5733 Depth=1
	s_or_b64 exec, exec, s[44:45]
	;;#ASMSTART
	s_wakeup
	;;#ASMEND
.LBB6_5773:                             ;   in Loop: Header=BB6_5733 Depth=1
	s_or_b64 exec, exec, s[42:43]
.LBB6_5774:                             ;   in Loop: Header=BB6_5733 Depth=1
	s_andn2_saveexec_b64 vcc, s[40:41]
	s_cbranch_execz .LBB6_5776
; %bb.5775:                             ;   in Loop: Header=BB6_5733 Depth=1
	s_waitcnt vmcnt(0) lgkmcnt(0)
	buffer_wbinvl1_vol
	s_barrier
.LBB6_5776:                             ;   in Loop: Header=BB6_5733 Depth=1
	s_or_b64 exec, exec, vcc
.LBB6_5777:                             ;   in Loop: Header=BB6_5733 Depth=1
	s_or_b64 exec, exec, s[20:21]
	s_trap 2
	ds_read_b32 v2, v0
	v_and_b32_e32 v3, 0x4000, v59
	v_cmp_ne_u32_e32 vcc, 0, v3
	s_and_b64 vcc, s[34:35], vcc
	s_and_saveexec_b64 s[20:21], vcc
	s_cbranch_execz .LBB6_5796
; %bb.5778:                             ;   in Loop: Header=BB6_5733 Depth=1
	s_and_saveexec_b64 vcc, s[30:31]
	s_xor_b64 s[40:41], exec, vcc
	s_cbranch_execz .LBB6_5793
; %bb.5779:                             ;   in Loop: Header=BB6_5733 Depth=1
	s_and_saveexec_b64 s[42:43], s[12:13]
	s_cbranch_execz .LBB6_5792
; %bb.5780:                             ;   in Loop: Header=BB6_5733 Depth=1
	s_mov_b64 s[46:47], exec
	v_mbcnt_lo_u32_b32 v3, s46, 0
	v_mbcnt_hi_u32_b32 v3, s47, v3
	v_cmp_eq_u32_e32 vcc, 0, v3
	s_waitcnt vmcnt(0) lgkmcnt(0)
	buffer_wbinvl1_vol
	s_and_saveexec_b64 s[44:45], vcc
	s_cbranch_execz .LBB6_5782
; %bb.5781:                             ;   in Loop: Header=BB6_5733 Depth=1
	s_bcnt1_i32_b64 vcc_lo, s[46:47]
	v_mov_b32_e32 v4, vcc_lo
	v_mov_b32_e32 v5, v13
	ds_add_u64 v0, v[4:5]
	s_trap 2
.LBB6_5782:                             ;   in Loop: Header=BB6_5733 Depth=1
	s_or_b64 exec, exec, s[44:45]
	s_trap 2
	ds_read_b64 v[4:5], v0
	v_accvgpr_read_b32 v0, a24
	v_accvgpr_read_b32 v1, a25
	v_add_co_u32_e32 v0, vcc, v0, v10
	v_addc_co_u32_e32 v1, vcc, 0, v1, vcc
	v_accvgpr_write_b32 a25, v1
	v_accvgpr_write_b32 a24, v0
	s_waitcnt lgkmcnt(0)
	v_cmp_lt_u64_e32 vcc, v[4:5], v[0:1]
	s_and_saveexec_b64 s[44:45], vcc
	s_cbranch_execz .LBB6_5791
; %bb.5783:                             ;   in Loop: Header=BB6_5733 Depth=1
	s_mov_b32 s56, 0
	s_mov_b64 s[46:47], 0
                                        ; implicit-def: $sgpr48_sgpr49
                                        ; implicit-def: $sgpr50_sgpr51
	s_branch .LBB6_5785
.LBB6_5784:                             ;   in Loop: Header=BB6_5785 Depth=2
	s_or_b64 exec, exec, s[54:55]
	s_and_b64 vcc, exec, vcc
	s_or_b64 s[46:47], vcc, s[46:47]
	s_andn2_b64 vcc, s[48:49], exec
	s_and_b64 s[48:49], s[50:51], exec
	s_or_b64 s[48:49], vcc, s[48:49]
	s_andn2_b64 exec, exec, s[46:47]
	s_cbranch_execz .LBB6_5789
.LBB6_5785:                             ;   Parent Loop BB6_5733 Depth=1
                                        ; =>  This Inner Loop Header: Depth=2
	s_add_i32 s56, s56, 1
	s_cmpk_lg_i32 s56, 0x2710
	s_cselect_b64 s[52:53], -1, 0
	s_and_b64 vcc, exec, s[52:53]
                                        ; implicit-def: $sgpr54_sgpr55
	s_cbranch_vccnz .LBB6_5787
; %bb.5786:                             ;   in Loop: Header=BB6_5785 Depth=2
	s_trap 2
	ds_read_b64 v[4:5], v0
	s_andn2_b64 s[52:53], s[52:53], exec
	s_mov_b32 s56, 0
	s_mov_b64 s[54:55], -1
	s_waitcnt lgkmcnt(0)
	flat_load_dword v3, v[4:5] glc
	s_waitcnt vmcnt(0) lgkmcnt(0)
	buffer_invl2
	buffer_wbinvl1_vol
	v_cmp_eq_u32_e32 vcc, 0, v3
	s_and_b64 vcc, vcc, exec
	s_or_b64 s[52:53], s[52:53], vcc
.LBB6_5787:                             ;   in Loop: Header=BB6_5785 Depth=2
	s_andn2_b64 s[50:51], s[50:51], exec
	s_and_b64 s[54:55], s[54:55], exec
	s_mov_b64 vcc, -1
	s_or_b64 s[50:51], s[50:51], s[54:55]
	s_and_saveexec_b64 s[54:55], s[52:53]
	s_cbranch_execz .LBB6_5784
; %bb.5788:                             ;   in Loop: Header=BB6_5785 Depth=2
	s_sleep 1
	s_trap 2
	ds_read_b64 v[4:5], v0
	v_accvgpr_read_b32 v0, a24
	v_accvgpr_read_b32 v1, a25
	s_andn2_b64 s[50:51], s[50:51], exec
	s_waitcnt lgkmcnt(0)
	v_cmp_ge_u64_e32 vcc, v[4:5], v[0:1]
	s_orn2_b64 vcc, vcc, exec
	s_branch .LBB6_5784
.LBB6_5789:                             ;   in Loop: Header=BB6_5733 Depth=1
	s_or_b64 exec, exec, s[46:47]
	s_and_saveexec_b64 vcc, s[48:49]
	s_xor_b64 vcc, exec, vcc
	s_cbranch_execz .LBB6_5791
; %bb.5790:                             ;   in Loop: Header=BB6_5733 Depth=1
	ds_write_b32 v0, v28
	s_trap 2
.LBB6_5791:                             ;   in Loop: Header=BB6_5733 Depth=1
	s_or_b64 exec, exec, s[44:45]
	;;#ASMSTART
	s_wakeup
	;;#ASMEND
.LBB6_5792:                             ;   in Loop: Header=BB6_5733 Depth=1
	s_or_b64 exec, exec, s[42:43]
.LBB6_5793:                             ;   in Loop: Header=BB6_5733 Depth=1
	s_andn2_saveexec_b64 vcc, s[40:41]
	s_cbranch_execz .LBB6_5795
; %bb.5794:                             ;   in Loop: Header=BB6_5733 Depth=1
	s_waitcnt vmcnt(0) lgkmcnt(0)
	buffer_wbinvl1_vol
	s_barrier
.LBB6_5795:                             ;   in Loop: Header=BB6_5733 Depth=1
	s_or_b64 exec, exec, vcc
.LBB6_5796:                             ;   in Loop: Header=BB6_5733 Depth=1
	s_or_b64 exec, exec, s[20:21]
	s_trap 2
	ds_read_b64 v[4:5], v0
	s_waitcnt lgkmcnt(0)
	v_readfirstlane_b32 s20, v4
	v_readfirstlane_b32 s21, v5
	s_cmp_eq_u64 s[20:21], 0
	s_cselect_b64 s[20:21], -1, 0
	s_or_b64 vcc, s[20:21], s[20:21]
	s_mov_b64 s[20:21], 0
	s_and_b64 vcc, exec, vcc
	s_cbranch_vccnz .LBB6_5825
; %bb.5797:                             ;   in Loop: Header=BB6_5733 Depth=1
	s_mov_b64 s[20:21], -1
	s_and_saveexec_b64 s[40:41], s[14:15]
	s_cbranch_execz .LBB6_5799
; %bb.5798:                             ;   in Loop: Header=BB6_5733 Depth=1
	ds_read_b32 v3, v0 offset:720
	s_waitcnt lgkmcnt(0)
	v_and_b32_e32 v3, 15, v3
	v_cmp_eq_u32_e32 vcc, 0, v3
	s_orn2_b64 s[20:21], vcc, exec
.LBB6_5799:                             ;   in Loop: Header=BB6_5733 Depth=1
	s_or_b64 exec, exec, s[40:41]
	s_and_saveexec_b64 s[40:41], s[16:17]
	s_cbranch_execz .LBB6_5801
; %bb.5800:                             ;   in Loop: Header=BB6_5733 Depth=1
	ds_read_b32 v3, v0 offset:784
	s_waitcnt lgkmcnt(0)
	v_and_b32_e32 v3, 15, v3
	v_cmp_eq_u32_e32 vcc, 0, v3
	s_and_b64 vcc, s[20:21], vcc
	s_andn2_b64 s[20:21], s[20:21], exec
	s_and_b64 vcc, vcc, exec
	s_or_b64 s[20:21], s[20:21], vcc
.LBB6_5801:                             ;   in Loop: Header=BB6_5733 Depth=1
	s_or_b64 exec, exec, s[40:41]
	v_cmp_eq_u32_e32 vcc, 0, v2
	s_xor_b64 s[20:21], s[20:21], -1
	v_cndmask_b32_e32 v4, 0, v12, vcc
	v_cndmask_b32_e64 v2, 0, 1, s[20:21]
	v_mov_b32_e32 v5, 0
	s_mov_b64 s[42:43], -1
	;;#ASMSTART
	;;#ASMEND
	v_cmp_ne_u32_e32 vcc, 0, v2
	v_mov_b32_e32 v21, v4
	v_mov_b32_e32 v23, v58
	v_mov_b32_e32 v22, v8
	s_cbranch_vccz .LBB6_5803
; %bb.5802:                             ;   in Loop: Header=BB6_5733 Depth=1
	s_and_saveexec_b64 s[20:21], s[42:43]
	s_cbranch_execnz .LBB6_5816
	s_branch .LBB6_5824
.LBB6_5803:                             ;   in Loop: Header=BB6_5733 Depth=1
	v_lshrrev_b32_e32 v2, 12, v4
	v_sub_u32_e32 v17, v2, v8
	v_cmp_lt_i32_e32 vcc, 0, v17
	s_and_saveexec_b64 s[20:21], vcc
	s_cbranch_execz .LBB6_5807
; %bb.5804:                             ;   in Loop: Header=BB6_5733 Depth=1
	s_trap 2
	ds_read_b64 v[2:3], v0
	v_accvgpr_write_b32 a14, v38
	v_accvgpr_write_b32 a15, v39
	;; [unrolled: 1-line block ×4, first 2 shown]
	s_mov_b64 s[40:41], 0
	s_waitcnt lgkmcnt(0)
	v_pk_mov_b32 v[22:23], v[2:3], v[2:3] op_sel:[0,1]
.LBB6_5805:                             ;   Parent Loop BB6_5733 Depth=1
                                        ; =>  This Inner Loop Header: Depth=2
	v_add_co_u32_e32 v6, vcc, v14, v22
	v_addc_co_u32_e32 v7, vcc, v11, v23, vcc
	global_load_dwordx4 v[50:53], v[6:7], off glc slc
	global_load_dwordx4 v[38:41], v[6:7], off offset:1024 glc slc
	global_load_dwordx4 v[42:45], v[6:7], off offset:2048 glc slc
	global_load_dwordx4 v[54:57], v[6:7], off offset:3072 glc slc
	v_add_co_u32_e32 v6, vcc, v14, v2
	v_addc_co_u32_e32 v7, vcc, v11, v3, vcc
	v_add_co_u32_e32 v22, vcc, v22, v26
	v_addc_co_u32_e32 v23, vcc, v23, v27, vcc
	v_add_co_u32_e32 v2, vcc, v2, v26
	v_sub_u32_e32 v17, v17, v10
	v_addc_co_u32_e32 v3, vcc, v3, v27, vcc
	v_cmp_gt_i32_e32 vcc, 1, v17
	s_or_b64 s[40:41], vcc, s[40:41]
	s_waitcnt vmcnt(0)
	global_store_dwordx4 v[6:7], v[50:53], off glc slc
	global_store_dwordx4 v[6:7], v[38:41], off offset:1024 glc slc
	global_store_dwordx4 v[6:7], v[42:45], off offset:2048 glc slc
	global_store_dwordx4 v[6:7], v[54:57], off offset:3072 glc slc
	s_andn2_b64 exec, exec, s[40:41]
	s_cbranch_execnz .LBB6_5805
; %bb.5806:                             ;   in Loop: Header=BB6_5733 Depth=1
	s_or_b64 exec, exec, s[40:41]
	v_accvgpr_read_b32 v33, a7
	v_accvgpr_read_b32 v41, a17
	;; [unrolled: 1-line block ×6, first 2 shown]
.LBB6_5807:                             ;   in Loop: Header=BB6_5733 Depth=1
	s_or_b64 exec, exec, s[20:21]
	v_and_b32_e32 v0, 0x3ffff000, v4
	v_cmp_ne_u32_e32 vcc, v0, v4
	s_mov_b64 s[42:43], 0
	v_mov_b32_e32 v5, 0
                                        ; implicit-def: $vgpr21
                                        ; implicit-def: $vgpr23
                                        ; implicit-def: $vgpr22
	s_and_saveexec_b64 s[40:41], vcc
	s_cbranch_execz .LBB6_5815
; %bb.5808:                             ;   in Loop: Header=BB6_5733 Depth=1
	v_lshlrev_b32_e32 v3, 6, v17
	v_accvgpr_read_b32 v1, a5
	v_sub_u32_e32 v3, v1, v3
	v_ashrrev_i32_e32 v5, 31, v3
	v_lshrrev_b32_e32 v5, 26, v5
	v_add_u32_e32 v5, v3, v5
	v_ashrrev_i32_e32 v6, 6, v5
	v_and_b32_e32 v5, 0xffffffc0, v5
	v_and_b32_e32 v2, 0xfff, v4
	v_sub_u32_e32 v24, v3, v5
	v_and_b32_e32 v7, 0xc00, v4
	v_lshlrev_b32_e32 v3, 4, v24
	v_sub_u32_e32 v30, v2, v7
	v_lshl_add_u32 v17, v6, 10, v3
	v_bfe_u32 v3, v4, 10, 2
	v_cmp_lt_i32_e32 vcc, 15, v30
	v_sub_u32_e32 v5, v2, v17
	v_addc_co_u32_e64 v2, s[20:21], 0, v3, vcc
	v_sub_u32_e32 v25, v2, v6
	v_cmp_lt_i32_e64 s[20:21], 15, v5
	s_mov_b64 s[42:43], exec
	s_and_b64 s[20:21], s[42:43], s[20:21]
	v_accvgpr_read_b32 v1, a31
	s_mov_b64 exec, s[20:21]
	s_cbranch_execz .LBB6_5812
; %bb.5809:                             ;   in Loop: Header=BB6_5733 Depth=1
	s_trap 2
	ds_read_b64 v[2:3], v0
	v_add_u32_e32 v22, v17, v0
	v_ashrrev_i32_e32 v17, 31, v22
	s_mov_b64 s[44:45], 0
	v_accvgpr_read_b32 v0, a30
.LBB6_5810:                             ;   Parent Loop BB6_5733 Depth=1
                                        ; =>  This Inner Loop Header: Depth=2
	s_waitcnt lgkmcnt(0)
	v_add_co_u32_e64 v6, s[20:21], v2, v22
	v_addc_co_u32_e64 v7, s[20:21], v3, v17, s[20:21]
	global_load_dwordx4 v[50:53], v[6:7], off glc slc
	v_add_co_u32_e64 v22, s[20:21], v22, v1
	v_sub_u32_e32 v5, v5, v0
	v_addc_co_u32_e64 v17, s[20:21], v17, v9, s[20:21]
	v_cmp_gt_i32_e64 s[20:21], 16, v5
	v_sub_u32_e32 v25, v25, v10
	s_or_b64 s[44:45], s[20:21], s[44:45]
	s_waitcnt vmcnt(0)
	global_store_dwordx4 v[6:7], v[50:53], off glc slc
	s_andn2_b64 exec, exec, s[44:45]
	s_cbranch_execnz .LBB6_5810
; %bb.5811:                             ;   in Loop: Header=BB6_5733 Depth=1
	s_or_b64 exec, exec, s[44:45]
.LBB6_5812:                             ;   in Loop: Header=BB6_5733 Depth=1
	s_or_b64 exec, exec, s[42:43]
	v_and_b32_e32 v2, 15, v4
	v_cndmask_b32_e32 v21, v30, v2, vcc
	v_cmp_ne_u32_e64 s[20:21], 0, v21
	s_mov_b64 s[42:43], 0
	v_mov_b32_e32 v5, 0
                                        ; implicit-def: $vgpr23
                                        ; implicit-def: $vgpr22
	s_and_saveexec_b64 s[44:45], s[20:21]
	s_cbranch_execz .LBB6_5814
; %bb.5813:                             ;   in Loop: Header=BB6_5733 Depth=1
	v_sub_u32_e32 v2, v30, v2
	v_and_b32_e32 v3, 0x3ffffc00, v4
	v_cndmask_b32_e32 v2, 0, v2, vcc
	v_cmp_lt_i32_e32 vcc, 0, v25
	v_add_u32_e32 v5, v2, v3
	v_cndmask_b32_e32 v2, 0, v10, vcc
	v_sub_u32_e32 v2, v2, v25
	v_lshl_add_u32 v23, v2, 6, v24
	v_ashrrev_i32_e32 v2, 31, v23
	v_lshrrev_b32_e32 v2, 26, v2
	v_add_u32_e32 v2, v23, v2
	s_mov_b64 s[42:43], exec
	v_ashrrev_i32_e32 v22, 6, v2
.LBB6_5814:                             ;   in Loop: Header=BB6_5733 Depth=1
	s_or_b64 exec, exec, s[44:45]
	s_and_b64 s[42:43], s[42:43], exec
.LBB6_5815:                             ;   in Loop: Header=BB6_5733 Depth=1
	s_or_b64 exec, exec, s[40:41]
	s_and_saveexec_b64 s[20:21], s[42:43]
	s_cbranch_execz .LBB6_5824
.LBB6_5816:                             ;   in Loop: Header=BB6_5733 Depth=1
	v_ashrrev_i32_e32 v2, 31, v21
	v_lshrrev_b32_e32 v2, 21, v2
	v_add_u32_e32 v2, v21, v2
	v_ashrrev_i32_e32 v52, 11, v2
	v_sub_u32_e32 v50, v52, v22
	v_ashrrev_i32_e32 v2, 31, v23
	v_cmp_lt_i32_e32 vcc, 0, v50
	v_lshrrev_b32_e32 v51, 26, v2
	s_and_saveexec_b64 s[40:41], vcc
	s_cbranch_execz .LBB6_5820
; %bb.5817:                             ;   in Loop: Header=BB6_5733 Depth=1
	s_trap 2
	ds_read_b64 v[2:3], v0
	v_add_u32_e32 v6, v23, v51
	v_and_b32_e32 v6, 0xffffffc0, v6
	v_sub_u32_e32 v6, v23, v6
	v_lshlrev_b32_e32 v7, 11, v22
	v_accvgpr_write_b32 a14, v38
	v_accvgpr_write_b32 a8, v60
	v_add3_u32 v22, v5, v6, v7
	v_accvgpr_write_b32 a33, v15
	v_accvgpr_write_b32 a32, v9
	;; [unrolled: 1-line block ×11, first 2 shown]
	v_ashrrev_i32_e32 v17, 31, v22
	s_mov_b64 s[42:43], 0
	s_waitcnt lgkmcnt(0)
	v_pk_mov_b32 v[24:25], v[2:3], v[2:3] op_sel:[0,1]
.LBB6_5818:                             ;   Parent Loop BB6_5733 Depth=1
                                        ; =>  This Inner Loop Header: Depth=2
	v_add_co_u32_e32 v6, vcc, v22, v24
	v_addc_co_u32_e32 v7, vcc, v17, v25, vcc
	flat_load_ubyte v8, v[6:7] glc slc
	flat_load_ubyte v9, v[6:7] offset:64 glc slc
	flat_load_ubyte v38, v[6:7] offset:128 glc slc
	flat_load_ubyte v39, v[6:7] offset:192 glc slc
	flat_load_ubyte v53, v[6:7] offset:256 glc slc
	flat_load_ubyte v54, v[6:7] offset:320 glc slc
	flat_load_ubyte v55, v[6:7] offset:384 glc slc
	flat_load_ubyte v40, v[6:7] offset:448 glc slc
	flat_load_ubyte v41, v[6:7] offset:512 glc slc
	flat_load_ubyte v42, v[6:7] offset:576 glc slc
	flat_load_ubyte v43, v[6:7] offset:640 glc slc
	flat_load_ubyte v44, v[6:7] offset:704 glc slc
	flat_load_ubyte v45, v[6:7] offset:768 glc slc
	flat_load_ubyte v46, v[6:7] offset:832 glc slc
	flat_load_ubyte v47, v[6:7] offset:896 glc slc
	flat_load_ubyte v56, v[6:7] offset:960 glc slc
	flat_load_ubyte v57, v[6:7] offset:1024 glc slc
	flat_load_ubyte v58, v[6:7] offset:1088 glc slc
	flat_load_ubyte v59, v[6:7] offset:1152 glc slc
	flat_load_ubyte v60, v[6:7] offset:1216 glc slc
	flat_load_ubyte v61, v[6:7] offset:1280 glc slc
	flat_load_ubyte v0, v[6:7] offset:1344 glc slc
	flat_load_ubyte v49, v[6:7] offset:1408 glc slc
	flat_load_ubyte v1, v[6:7] offset:1472 glc slc
	flat_load_ubyte v28, v[6:7] offset:1536 glc slc
	flat_load_ubyte v15, v[6:7] offset:1600 glc slc
	flat_load_ubyte v32, v[6:7] offset:1664 glc slc
	flat_load_ubyte v33, v[6:7] offset:1728 glc slc
	flat_load_ubyte v29, v[6:7] offset:1792 glc slc
	flat_load_ubyte v34, v[6:7] offset:1856 glc slc
	flat_load_ubyte v62, v[6:7] offset:1920 glc slc
	s_nop 0
	flat_load_ubyte v6, v[6:7] offset:1984 glc slc
	v_add_co_u32_e32 v30, vcc, v22, v2
	v_addc_co_u32_e32 v31, vcc, v17, v3, vcc
	v_add_co_u32_e32 v24, vcc, v24, v35
	v_addc_co_u32_e32 v25, vcc, v25, v48, vcc
	v_add_co_u32_e32 v2, vcc, v2, v35
	v_sub_u32_e32 v50, v50, v10
	v_addc_co_u32_e32 v3, vcc, v3, v48, vcc
	v_cmp_gt_i32_e32 vcc, 1, v50
	s_or_b64 s[42:43], vcc, s[42:43]
	s_waitcnt vmcnt(0) lgkmcnt(0)
	flat_store_byte v[30:31], v8 glc slc
	flat_store_byte v[30:31], v9 offset:64 glc slc
	flat_store_byte v[30:31], v38 offset:128 glc slc
	;; [unrolled: 1-line block ×31, first 2 shown]
	s_andn2_b64 exec, exec, s[42:43]
	s_cbranch_execnz .LBB6_5818
; %bb.5819:                             ;   in Loop: Header=BB6_5733 Depth=1
	s_or_b64 exec, exec, s[42:43]
	v_accvgpr_read_b32 v33, a7
	v_accvgpr_read_b32 v61, a9
	;; [unrolled: 1-line block ×15, first 2 shown]
	v_mov_b32_e32 v28, 1
.LBB6_5820:                             ;   in Loop: Header=BB6_5733 Depth=1
	s_or_b64 exec, exec, s[40:41]
	v_lshlrev_b32_e32 v2, 11, v52
	v_cmp_ne_u32_e32 vcc, v21, v2
	s_and_b64 exec, exec, vcc
	s_cbranch_execz .LBB6_5824
; %bb.5821:                             ;   in Loop: Header=BB6_5733 Depth=1
	v_add_u32_e32 v0, v23, v51
	v_and_b32_e32 v0, 0xffffffc0, v0
	v_sub_u32_e32 v0, v23, v0
	v_lshlrev_b32_e32 v1, 6, v50
	v_sub_u32_e32 v0, v0, v1
	v_add_u32_e32 v17, v2, v0
	v_sub_u32_e32 v21, v21, v17
	v_cmp_lt_i32_e32 vcc, 0, v21
	s_and_b64 exec, exec, vcc
	s_cbranch_execz .LBB6_5824
; %bb.5822:                             ;   in Loop: Header=BB6_5733 Depth=1
	s_trap 2
	ds_read_b64 v[2:3], v0
	v_add_u32_e32 v22, v17, v5
	v_ashrrev_i32_e32 v17, 31, v22
	s_mov_b64 s[40:41], 0
.LBB6_5823:                             ;   Parent Loop BB6_5733 Depth=1
                                        ; =>  This Inner Loop Header: Depth=2
	s_waitcnt lgkmcnt(0)
	v_add_co_u32_e32 v6, vcc, v2, v22
	v_addc_co_u32_e32 v7, vcc, v3, v17, vcc
	flat_load_ubyte v0, v[6:7] glc slc
	v_add_co_u32_e32 v22, vcc, v22, v16
	v_sub_u32_e32 v21, v21, v16
	v_addc_co_u32_e32 v17, vcc, v17, v15, vcc
	v_cmp_gt_i32_e32 vcc, 1, v21
	s_or_b64 s[40:41], vcc, s[40:41]
	s_waitcnt vmcnt(0) lgkmcnt(0)
	flat_store_byte v[6:7], v0 glc slc
	s_andn2_b64 exec, exec, s[40:41]
	s_cbranch_execnz .LBB6_5823
.LBB6_5824:                             ;   in Loop: Header=BB6_5733 Depth=1
	s_or_b64 exec, exec, s[20:21]
	v_cmp_ne_u32_e64 s[20:21], 0, v4
.LBB6_5825:                             ;   in Loop: Header=BB6_5733 Depth=1
	s_and_saveexec_b64 s[40:41], s[10:11]
	s_cbranch_execz .LBB6_5844
; %bb.5826:                             ;   in Loop: Header=BB6_5733 Depth=1
	s_and_saveexec_b64 vcc, s[30:31]
	s_xor_b64 s[42:43], exec, vcc
	s_cbranch_execz .LBB6_5841
; %bb.5827:                             ;   in Loop: Header=BB6_5733 Depth=1
	s_and_saveexec_b64 s[44:45], s[12:13]
	s_cbranch_execz .LBB6_5840
; %bb.5828:                             ;   in Loop: Header=BB6_5733 Depth=1
	s_mov_b64 s[48:49], exec
	v_mbcnt_lo_u32_b32 v0, s48, 0
	v_mbcnt_hi_u32_b32 v0, s49, v0
	v_cmp_eq_u32_e32 vcc, 0, v0
	s_waitcnt vmcnt(0) lgkmcnt(0)
	buffer_wbinvl1_vol
	s_and_saveexec_b64 s[46:47], vcc
	s_cbranch_execz .LBB6_5830
; %bb.5829:                             ;   in Loop: Header=BB6_5733 Depth=1
	s_bcnt1_i32_b64 vcc_lo, s[48:49]
	v_mov_b32_e32 v2, vcc_lo
	v_mov_b32_e32 v3, v13
	ds_add_u64 v0, v[2:3]
	s_trap 2
.LBB6_5830:                             ;   in Loop: Header=BB6_5733 Depth=1
	s_or_b64 exec, exec, s[46:47]
	s_trap 2
	ds_read_b64 v[2:3], v0
	v_accvgpr_read_b32 v0, a24
	v_accvgpr_read_b32 v1, a25
	v_add_co_u32_e32 v0, vcc, v0, v10
	v_addc_co_u32_e32 v1, vcc, 0, v1, vcc
	v_accvgpr_write_b32 a25, v1
	v_accvgpr_write_b32 a24, v0
	s_waitcnt lgkmcnt(0)
	v_cmp_lt_u64_e32 vcc, v[2:3], v[0:1]
	s_and_saveexec_b64 s[46:47], vcc
	s_cbranch_execz .LBB6_5839
; %bb.5831:                             ;   in Loop: Header=BB6_5733 Depth=1
	s_mov_b32 s60, 0
	s_mov_b64 s[48:49], 0
                                        ; implicit-def: $sgpr50_sgpr51
                                        ; implicit-def: $sgpr52_sgpr53
	s_branch .LBB6_5833
.LBB6_5832:                             ;   in Loop: Header=BB6_5833 Depth=2
	s_or_b64 exec, exec, s[56:57]
	s_and_b64 vcc, exec, vcc
	s_or_b64 s[48:49], vcc, s[48:49]
	s_andn2_b64 vcc, s[50:51], exec
	s_and_b64 s[50:51], s[52:53], exec
	s_or_b64 s[50:51], vcc, s[50:51]
	s_andn2_b64 exec, exec, s[48:49]
	s_cbranch_execz .LBB6_5837
.LBB6_5833:                             ;   Parent Loop BB6_5733 Depth=1
                                        ; =>  This Inner Loop Header: Depth=2
	s_add_i32 s60, s60, 1
	s_cmpk_lg_i32 s60, 0x2710
	s_cselect_b64 s[54:55], -1, 0
	s_and_b64 vcc, exec, s[54:55]
                                        ; implicit-def: $sgpr56_sgpr57
	s_cbranch_vccnz .LBB6_5835
; %bb.5834:                             ;   in Loop: Header=BB6_5833 Depth=2
	s_trap 2
	ds_read_b64 v[2:3], v0
	s_andn2_b64 s[54:55], s[54:55], exec
	s_mov_b32 s60, 0
	s_mov_b64 s[56:57], -1
	s_waitcnt lgkmcnt(0)
	flat_load_dword v0, v[2:3] glc
	s_waitcnt vmcnt(0) lgkmcnt(0)
	buffer_invl2
	buffer_wbinvl1_vol
	v_cmp_eq_u32_e32 vcc, 0, v0
	s_and_b64 vcc, vcc, exec
	s_or_b64 s[54:55], s[54:55], vcc
.LBB6_5835:                             ;   in Loop: Header=BB6_5833 Depth=2
	s_andn2_b64 s[52:53], s[52:53], exec
	s_and_b64 s[56:57], s[56:57], exec
	s_mov_b64 vcc, -1
	s_or_b64 s[52:53], s[52:53], s[56:57]
	s_and_saveexec_b64 s[56:57], s[54:55]
	s_cbranch_execz .LBB6_5832
; %bb.5836:                             ;   in Loop: Header=BB6_5833 Depth=2
	s_sleep 1
	s_trap 2
	ds_read_b64 v[2:3], v0
	v_accvgpr_read_b32 v0, a24
	v_accvgpr_read_b32 v1, a25
	s_andn2_b64 s[52:53], s[52:53], exec
	s_waitcnt lgkmcnt(0)
	v_cmp_ge_u64_e32 vcc, v[2:3], v[0:1]
	s_orn2_b64 vcc, vcc, exec
	s_branch .LBB6_5832
.LBB6_5837:                             ;   in Loop: Header=BB6_5733 Depth=1
	s_or_b64 exec, exec, s[48:49]
	s_and_saveexec_b64 vcc, s[50:51]
	s_xor_b64 vcc, exec, vcc
	s_cbranch_execz .LBB6_5839
; %bb.5838:                             ;   in Loop: Header=BB6_5733 Depth=1
	ds_write_b32 v0, v28
	s_trap 2
.LBB6_5839:                             ;   in Loop: Header=BB6_5733 Depth=1
	s_or_b64 exec, exec, s[46:47]
	;;#ASMSTART
	s_wakeup
	;;#ASMEND
.LBB6_5840:                             ;   in Loop: Header=BB6_5733 Depth=1
	s_or_b64 exec, exec, s[44:45]
.LBB6_5841:                             ;   in Loop: Header=BB6_5733 Depth=1
	s_andn2_saveexec_b64 vcc, s[42:43]
	s_cbranch_execz .LBB6_5843
; %bb.5842:                             ;   in Loop: Header=BB6_5733 Depth=1
	s_waitcnt vmcnt(0) lgkmcnt(0)
	buffer_wbinvl1_vol
	s_barrier
.LBB6_5843:                             ;   in Loop: Header=BB6_5733 Depth=1
	s_or_b64 exec, exec, vcc
.LBB6_5844:                             ;   in Loop: Header=BB6_5733 Depth=1
	s_or_b64 exec, exec, s[40:41]
	v_and_b32_e32 v2, 16, v59
	v_cmp_ne_u32_e32 vcc, 0, v2
	s_and_b64 vcc, vcc, s[20:21]
	s_and_saveexec_b64 s[20:21], vcc
	s_cbranch_execz .LBB6_5846
; %bb.5845:                             ;   in Loop: Header=BB6_5733 Depth=1
	s_waitcnt vmcnt(0) lgkmcnt(0)
	buffer_wbinvl1_vol
.LBB6_5846:                             ;   in Loop: Header=BB6_5733 Depth=1
	s_or_b64 exec, exec, s[20:21]
	v_cmp_ne_u32_e32 vcc, 0, v2
	s_and_saveexec_b64 s[20:21], vcc
	s_cbranch_execz .LBB6_5850
; %bb.5847:                             ;   in Loop: Header=BB6_5733 Depth=1
	s_and_saveexec_b64 vcc, s[18:19]
	s_cbranch_execz .LBB6_5849
; %bb.5848:                             ;   in Loop: Header=BB6_5733 Depth=1
	v_accvgpr_read_b32 v0, a28
	v_accvgpr_read_b32 v1, a29
	flat_store_dword v[0:1], v28
.LBB6_5849:                             ;   in Loop: Header=BB6_5733 Depth=1
	s_or_b64 exec, exec, vcc
	v_add_co_u32_e32 v40, vcc, 1, v40
	v_accvgpr_read_b32 v0, a18
	v_addc_co_u32_e32 v41, vcc, 0, v41, vcc
	v_accvgpr_read_b32 v1, a19
	flat_store_dwordx2 v[0:1], v[40:41]
.LBB6_5850:                             ;   in Loop: Header=BB6_5733 Depth=1
	s_or_b64 exec, exec, s[20:21]
	v_mov_b32_e32 v4, v12
.LBB6_5851:                             ;   in Loop: Header=BB6_5733 Depth=1
	s_or_b64 exec, exec, s[38:39]
	s_and_saveexec_b64 s[38:39], s[36:37]
	s_cbranch_execz .LBB6_5732
; %bb.5852:                             ;   in Loop: Header=BB6_5733 Depth=1
	v_and_b32_e32 v0, 8, v59
	v_cmp_ne_u32_e32 vcc, 0, v0
	s_mov_b64 s[36:37], -1
	s_and_saveexec_b64 s[20:21], vcc
	s_cbranch_execz .LBB6_5864
; %bb.5853:                             ;   in Loop: Header=BB6_5733 Depth=1
	v_add_co_u32_e32 v6, vcc, 8, v36
	v_addc_co_u32_e32 v7, vcc, 0, v37, vcc
	v_add_co_u32_e32 v2, vcc, 1, v40
	v_addc_co_u32_e32 v3, vcc, 0, v41, vcc
	v_cmp_lt_u64_e32 vcc, v[6:7], v[2:3]
	v_mov_b32_e32 v5, 1
	s_and_saveexec_b64 s[36:37], vcc
	s_cbranch_execz .LBB6_5863
; %bb.5854:                             ;   in Loop: Header=BB6_5733 Depth=1
	s_mov_b64 s[40:41], 0
	v_mov_b32_e32 v5, 0
                                        ; implicit-def: $sgpr42_sgpr43
	s_branch .LBB6_5858
.LBB6_5855:                             ;   in Loop: Header=BB6_5858 Depth=2
	s_or_b64 exec, exec, s[50:51]
	v_mov_b32_e32 v17, 0
	s_orn2_b64 s[48:49], s[48:49], exec
.LBB6_5856:                             ;   in Loop: Header=BB6_5858 Depth=2
	s_or_b64 exec, exec, s[46:47]
	s_andn2_b64 vcc, s[42:43], exec
	s_and_b64 s[42:43], s[48:49], exec
	s_or_b64 s[42:43], vcc, s[42:43]
	v_mov_b32_e32 v5, v17
.LBB6_5857:                             ;   in Loop: Header=BB6_5858 Depth=2
	s_or_b64 exec, exec, s[44:45]
	s_waitcnt vmcnt(0) lgkmcnt(0)
	v_add_co_u32_e32 v6, vcc, 8, v36
	v_addc_co_u32_e32 v7, vcc, 0, v37, vcc
	v_cmp_ge_u64_e32 vcc, v[6:7], v[2:3]
	s_xor_b64 s[44:45], s[42:43], -1
	s_or_b64 vcc, s[44:45], vcc
	s_and_b64 vcc, exec, vcc
	s_or_b64 s[40:41], vcc, s[40:41]
	s_andn2_b64 exec, exec, s[40:41]
	s_cbranch_execz .LBB6_5862
.LBB6_5858:                             ;   Parent Loop BB6_5733 Depth=1
                                        ; =>  This Inner Loop Header: Depth=2
	v_accvgpr_read_b32 v0, a18
	v_accvgpr_read_b32 v1, a19
	s_sleep 1
	flat_load_dwordx2 v[36:37], v[0:1] glc
	v_and_b32_e32 v0, 64, v59
	v_cmp_eq_u32_e32 vcc, 0, v0
	s_andn2_b64 s[42:43], s[42:43], exec
	s_and_saveexec_b64 s[44:45], vcc
	s_cbranch_execz .LBB6_5857
; %bb.5859:                             ;   in Loop: Header=BB6_5858 Depth=2
	v_add_u32_e32 v17, 1, v5
	v_cmp_lt_i32_e32 vcc, s59, v5
	s_mov_b64 s[48:49], -1
	s_and_saveexec_b64 s[46:47], vcc
	s_cbranch_execz .LBB6_5856
; %bb.5860:                             ;   in Loop: Header=BB6_5858 Depth=2
	s_trap 2
	ds_read_b64 v[6:7], v0
	s_waitcnt vmcnt(0) lgkmcnt(0)
	flat_load_dword v5, v[6:7] glc
	s_waitcnt vmcnt(0) lgkmcnt(0)
	buffer_invl2
	buffer_wbinvl1_vol
	v_cmp_ne_u32_e32 vcc, 0, v5
	s_and_saveexec_b64 s[50:51], vcc
	s_cbranch_execz .LBB6_5855
; %bb.5861:                             ;   in Loop: Header=BB6_5858 Depth=2
	v_or_b32_e32 v59, 64, v59
	s_xor_b64 s[48:49], exec, -1
	ds_write_b32 v0, v5
	s_trap 2
	s_branch .LBB6_5855
.LBB6_5862:                             ;   in Loop: Header=BB6_5733 Depth=1
	s_or_b64 exec, exec, s[40:41]
	v_and_b32_e32 v5, 8, v59
.LBB6_5863:                             ;   in Loop: Header=BB6_5733 Depth=1
	s_or_b64 exec, exec, s[36:37]
	v_cmp_eq_u32_e32 vcc, 0, v5
	s_orn2_b64 s[36:37], vcc, exec
	;;#ASMSTART
	s_wakeup
	;;#ASMEND
.LBB6_5864:                             ;   in Loop: Header=BB6_5733 Depth=1
	s_or_b64 exec, exec, s[20:21]
	v_sub_u32_e32 v0, v20, v4
	s_xor_b64 s[20:21], s[36:37], -1
	v_min_i32_e32 v2, v12, v0
	s_and_saveexec_b64 s[36:37], s[20:21]
	s_cbranch_execz .LBB6_5874
; %bb.5865:                             ;   in Loop: Header=BB6_5733 Depth=1
	v_and_b32_e32 v0, 0x100, v59
	v_cmp_ne_u32_e32 vcc, 0, v0
	v_and_b32_e32 v4, 7, v40
	s_mov_b64 s[20:21], -1
                                        ; implicit-def: $vgpr20_vgpr21
	s_and_saveexec_b64 s[40:41], vcc
	s_cbranch_execz .LBB6_5869
; %bb.5866:                             ;   in Loop: Header=BB6_5733 Depth=1
	v_mad_u64_u32 v[22:23], s[20:21], v4, 24, v[38:39]
	flat_load_dword v0, v[22:23]
	v_ashrrev_i32_e32 v3, 31, v2
	flat_store_dwordx2 v[22:23], v[2:3] offset:8
                                        ; implicit-def: $vgpr20_vgpr21
	s_waitcnt vmcnt(0) lgkmcnt(0)
	v_cmp_ne_u32_e32 vcc, 1, v0
	v_cmp_eq_u32_e64 s[20:21], 1, v0
	s_and_saveexec_b64 s[42:43], s[20:21]
	s_cbranch_execz .LBB6_5868
; %bb.5867:                             ;   in Loop: Header=BB6_5733 Depth=1
	flat_load_dword v20, v[22:23] offset:4 glc
	s_waitcnt vmcnt(0) lgkmcnt(0)
	v_ashrrev_i32_e32 v21, 31, v20
.LBB6_5868:                             ;   in Loop: Header=BB6_5733 Depth=1
	s_or_b64 exec, exec, s[42:43]
	s_orn2_b64 s[20:21], vcc, exec
.LBB6_5869:                             ;   in Loop: Header=BB6_5733 Depth=1
	s_or_b64 exec, exec, s[40:41]
	s_and_saveexec_b64 vcc, s[20:21]
; %bb.5870:                             ;   in Loop: Header=BB6_5733 Depth=1
	v_accvgpr_read_b32 v0, a20
	v_mad_i64_i32 v[20:21], s[20:21], v4, v0, 0
; %bb.5871:                             ;   in Loop: Header=BB6_5733 Depth=1
	s_or_b64 exec, exec, vcc
	v_accvgpr_read_b32 v0, a22
	v_accvgpr_read_b32 v1, a23
	v_add_co_u32_e32 v4, vcc, v0, v20
	v_addc_co_u32_e32 v5, vcc, v1, v21, vcc
	ds_write_b64 v0, v[4:5] offset:784
	v_and_b32_e32 v0, 0x2000, v59
	v_cmp_ne_u32_e32 vcc, 0, v0
	s_and_saveexec_b64 s[20:21], vcc
	s_cbranch_execz .LBB6_5873
; %bb.5872:                             ;   in Loop: Header=BB6_5733 Depth=1
	ds_read_b64 v[4:5], v0 offset:584
	s_waitcnt lgkmcnt(0)
	v_add_co_u32_e32 v4, vcc, 1, v4
	v_addc_co_u32_e32 v5, vcc, 0, v5, vcc
	ds_write_b64 v0, v[4:5] offset:584
.LBB6_5873:                             ;   in Loop: Header=BB6_5733 Depth=1
	s_or_b64 exec, exec, s[20:21]
	v_add_co_u32_e32 v40, vcc, 1, v40
	v_addc_co_u32_e32 v41, vcc, 0, v41, vcc
.LBB6_5874:                             ;   in Loop: Header=BB6_5733 Depth=1
	s_or_b64 exec, exec, s[36:37]
	s_and_saveexec_b64 s[20:21], s[10:11]
	s_cbranch_execz .LBB6_5893
; %bb.5875:                             ;   in Loop: Header=BB6_5733 Depth=1
	s_and_saveexec_b64 vcc, s[30:31]
	s_xor_b64 s[36:37], exec, vcc
	s_cbranch_execz .LBB6_5890
; %bb.5876:                             ;   in Loop: Header=BB6_5733 Depth=1
	s_and_saveexec_b64 s[40:41], s[12:13]
	s_cbranch_execz .LBB6_5889
; %bb.5877:                             ;   in Loop: Header=BB6_5733 Depth=1
	s_mov_b64 s[44:45], exec
	v_mbcnt_lo_u32_b32 v0, s44, 0
	v_mbcnt_hi_u32_b32 v0, s45, v0
	v_cmp_eq_u32_e32 vcc, 0, v0
	s_waitcnt vmcnt(0) lgkmcnt(0)
	buffer_wbinvl1_vol
	s_and_saveexec_b64 s[42:43], vcc
	s_cbranch_execz .LBB6_5879
; %bb.5878:                             ;   in Loop: Header=BB6_5733 Depth=1
	s_bcnt1_i32_b64 vcc_lo, s[44:45]
	v_mov_b32_e32 v12, vcc_lo
	ds_add_u64 v0, v[12:13]
	s_trap 2
.LBB6_5879:                             ;   in Loop: Header=BB6_5733 Depth=1
	s_or_b64 exec, exec, s[42:43]
	s_trap 2
	ds_read_b64 v[4:5], v0
	v_accvgpr_read_b32 v0, a24
	v_accvgpr_read_b32 v1, a25
	v_add_co_u32_e32 v0, vcc, v0, v10
	v_addc_co_u32_e32 v1, vcc, 0, v1, vcc
	v_accvgpr_write_b32 a25, v1
	v_accvgpr_write_b32 a24, v0
	s_waitcnt lgkmcnt(0)
	v_cmp_lt_u64_e32 vcc, v[4:5], v[0:1]
	s_and_saveexec_b64 s[42:43], vcc
	s_cbranch_execz .LBB6_5888
; %bb.5880:                             ;   in Loop: Header=BB6_5733 Depth=1
	s_mov_b32 s54, 0
	s_mov_b64 s[44:45], 0
                                        ; implicit-def: $sgpr46_sgpr47
                                        ; implicit-def: $sgpr48_sgpr49
	s_branch .LBB6_5882
.LBB6_5881:                             ;   in Loop: Header=BB6_5882 Depth=2
	s_or_b64 exec, exec, s[52:53]
	s_and_b64 vcc, exec, vcc
	s_or_b64 s[44:45], vcc, s[44:45]
	s_andn2_b64 vcc, s[46:47], exec
	s_and_b64 s[46:47], s[48:49], exec
	s_or_b64 s[46:47], vcc, s[46:47]
	s_andn2_b64 exec, exec, s[44:45]
	s_cbranch_execz .LBB6_5886
.LBB6_5882:                             ;   Parent Loop BB6_5733 Depth=1
                                        ; =>  This Inner Loop Header: Depth=2
	s_add_i32 s54, s54, 1
	s_cmpk_lg_i32 s54, 0x2710
	s_cselect_b64 s[50:51], -1, 0
	s_and_b64 vcc, exec, s[50:51]
                                        ; implicit-def: $sgpr52_sgpr53
	s_cbranch_vccnz .LBB6_5884
; %bb.5883:                             ;   in Loop: Header=BB6_5882 Depth=2
	s_trap 2
	ds_read_b64 v[4:5], v0
	s_andn2_b64 s[50:51], s[50:51], exec
	s_mov_b32 s54, 0
	s_mov_b64 s[52:53], -1
	s_waitcnt lgkmcnt(0)
	flat_load_dword v0, v[4:5] glc
	s_waitcnt vmcnt(0) lgkmcnt(0)
	buffer_invl2
	buffer_wbinvl1_vol
	v_cmp_eq_u32_e32 vcc, 0, v0
	s_and_b64 vcc, vcc, exec
	s_or_b64 s[50:51], s[50:51], vcc
.LBB6_5884:                             ;   in Loop: Header=BB6_5882 Depth=2
	s_andn2_b64 s[48:49], s[48:49], exec
	s_and_b64 s[52:53], s[52:53], exec
	s_mov_b64 vcc, -1
	s_or_b64 s[48:49], s[48:49], s[52:53]
	s_and_saveexec_b64 s[52:53], s[50:51]
	s_cbranch_execz .LBB6_5881
; %bb.5885:                             ;   in Loop: Header=BB6_5882 Depth=2
	s_sleep 1
	s_trap 2
	ds_read_b64 v[4:5], v0
	v_accvgpr_read_b32 v0, a24
	v_accvgpr_read_b32 v1, a25
	s_andn2_b64 s[48:49], s[48:49], exec
	s_waitcnt lgkmcnt(0)
	v_cmp_ge_u64_e32 vcc, v[4:5], v[0:1]
	s_orn2_b64 vcc, vcc, exec
	s_branch .LBB6_5881
.LBB6_5886:                             ;   in Loop: Header=BB6_5733 Depth=1
	s_or_b64 exec, exec, s[44:45]
	s_and_saveexec_b64 vcc, s[46:47]
	s_xor_b64 vcc, exec, vcc
	s_cbranch_execz .LBB6_5888
; %bb.5887:                             ;   in Loop: Header=BB6_5733 Depth=1
	ds_write_b32 v0, v28
	s_trap 2
.LBB6_5888:                             ;   in Loop: Header=BB6_5733 Depth=1
	s_or_b64 exec, exec, s[42:43]
	;;#ASMSTART
	s_wakeup
	;;#ASMEND
.LBB6_5889:                             ;   in Loop: Header=BB6_5733 Depth=1
	s_or_b64 exec, exec, s[40:41]
.LBB6_5890:                             ;   in Loop: Header=BB6_5733 Depth=1
	s_andn2_saveexec_b64 vcc, s[36:37]
	s_cbranch_execz .LBB6_5892
; %bb.5891:                             ;   in Loop: Header=BB6_5733 Depth=1
	s_waitcnt vmcnt(0) lgkmcnt(0)
	buffer_wbinvl1_vol
	s_barrier
.LBB6_5892:                             ;   in Loop: Header=BB6_5733 Depth=1
	s_or_b64 exec, exec, vcc
.LBB6_5893:                             ;   in Loop: Header=BB6_5733 Depth=1
	s_or_b64 exec, exec, s[20:21]
	s_trap 2
	ds_read_b32 v0, v0
	v_cmp_lt_i32_e32 vcc, 0, v2
	v_and_b32_e32 v2, 16, v59
	s_waitcnt lgkmcnt(0)
	v_readfirstlane_b32 s20, v0
	s_cmp_eq_u32 s20, 0
	s_cselect_b64 s[20:21], -1, 0
	s_and_b64 s[20:21], vcc, s[20:21]
	v_cmp_ne_u32_e32 vcc, 0, v2
	s_and_b64 vcc, vcc, s[20:21]
	s_and_saveexec_b64 s[20:21], vcc
	s_cbranch_execz .LBB6_5895
; %bb.5894:                             ;   in Loop: Header=BB6_5733 Depth=1
	s_waitcnt vmcnt(0)
	buffer_wbinvl1_vol
.LBB6_5895:                             ;   in Loop: Header=BB6_5733 Depth=1
	s_or_b64 exec, exec, s[20:21]
	v_cmp_ne_u32_e32 vcc, 0, v2
	s_and_saveexec_b64 s[20:21], vcc
	s_cbranch_execz .LBB6_5731
; %bb.5896:                             ;   in Loop: Header=BB6_5733 Depth=1
	s_and_saveexec_b64 vcc, s[18:19]
	s_cbranch_execz .LBB6_5730
; %bb.5897:                             ;   in Loop: Header=BB6_5733 Depth=1
	v_accvgpr_read_b32 v0, a28
	v_accvgpr_read_b32 v1, a29
	flat_store_dword v[0:1], v28
	s_branch .LBB6_5730
.LBB6_5898:
	s_or_b64 exec, exec, s[26:27]
.LBB6_5899:
	s_or_b64 exec, exec, s[24:25]
.LBB6_5900:
	s_or_b64 exec, exec, s[22:23]
	v_and_b32_e32 v0, 0x800, v59
	v_cmp_eq_u32_e32 vcc, 0, v0
	s_and_saveexec_b64 s[4:5], vcc
	s_cbranch_execz .LBB6_5935
; %bb.5901:
	v_and_b32_e32 v0, 48, v59
	v_cmp_ne_u32_e32 vcc, 0, v0
	s_and_saveexec_b64 s[6:7], vcc
	s_cbranch_execz .LBB6_5903
; %bb.5902:
	v_accvgpr_read_b32 v0, a12
	v_accvgpr_read_b32 v1, a13
	s_waitcnt vmcnt(0) lgkmcnt(0)
	flat_store_dwordx2 v[0:1], v[40:41] offset:104
.LBB6_5903:
	s_or_b64 exec, exec, s[6:7]
	s_movk_i32 s6, 0x88
	v_and_b32_e32 v0, 0x88, v59
	v_cmp_eq_u32_e32 vcc, s6, v0
	s_and_saveexec_b64 s[6:7], vcc
	s_cbranch_execz .LBB6_5915
; %bb.5904:
	s_waitcnt vmcnt(0) lgkmcnt(0)
	v_add_u32_e32 v0, -1, v40
	v_and_b32_e32 v0, 7, v0
	v_mad_u64_u32 v[0:1], s[10:11], v0, 24, v[38:39]
	v_add_co_u32_e32 v2, vcc, 8, v0
	v_addc_co_u32_e32 v3, vcc, 0, v1, vcc
	s_mov_b64 s[10:11], 0
	v_mov_b32_e32 v0, 0
	s_movk_i32 s24, 0x270e
                                        ; implicit-def: $sgpr12_sgpr13
	s_branch .LBB6_5909
.LBB6_5905:                             ;   in Loop: Header=BB6_5909 Depth=1
	s_or_b64 exec, exec, s[22:23]
	v_mov_b32_e32 v1, 0
	s_orn2_b64 s[20:21], s[20:21], exec
.LBB6_5906:                             ;   in Loop: Header=BB6_5909 Depth=1
	s_or_b64 exec, exec, s[18:19]
	s_and_b64 s[18:19], s[20:21], exec
	v_mov_b32_e32 v0, v1
.LBB6_5907:                             ;   in Loop: Header=BB6_5909 Depth=1
	s_or_b64 exec, exec, s[16:17]
	s_xor_b64 s[16:17], s[18:19], -1
	s_andn2_b64 s[12:13], s[12:13], exec
	s_and_b64 s[16:17], s[16:17], exec
	s_or_b64 s[12:13], s[12:13], s[16:17]
.LBB6_5908:                             ;   in Loop: Header=BB6_5909 Depth=1
	s_or_b64 exec, exec, s[14:15]
	s_and_b64 s[14:15], exec, s[12:13]
	s_or_b64 s[10:11], s[14:15], s[10:11]
	s_andn2_b64 exec, exec, s[10:11]
	s_cbranch_execz .LBB6_5914
.LBB6_5909:                             ; =>This Inner Loop Header: Depth=1
	flat_load_dwordx2 v[4:5], v[2:3] glc
	s_waitcnt vmcnt(0)
	s_or_b64 s[12:13], s[12:13], exec
	s_waitcnt lgkmcnt(0)
	v_cmp_ne_u64_e32 vcc, -1, v[4:5]
	s_and_saveexec_b64 s[14:15], vcc
	s_cbranch_execz .LBB6_5908
; %bb.5910:                             ;   in Loop: Header=BB6_5909 Depth=1
	v_and_b32_e32 v1, 64, v59
	v_cmp_eq_u32_e32 vcc, 0, v1
	s_mov_b64 s[18:19], 0
	s_and_saveexec_b64 s[16:17], vcc
	s_cbranch_execz .LBB6_5907
; %bb.5911:                             ;   in Loop: Header=BB6_5909 Depth=1
	v_add_u32_e32 v1, 1, v0
	v_cmp_lt_i32_e32 vcc, s24, v0
	s_mov_b64 s[20:21], -1
	s_and_saveexec_b64 s[18:19], vcc
	s_cbranch_execz .LBB6_5906
; %bb.5912:                             ;   in Loop: Header=BB6_5909 Depth=1
	s_trap 2
	ds_read_b64 v[0:1], v0
	s_waitcnt lgkmcnt(0)
	flat_load_dword v0, v[0:1] glc
	s_waitcnt vmcnt(0) lgkmcnt(0)
	buffer_invl2
	buffer_wbinvl1_vol
	v_cmp_ne_u32_e32 vcc, 0, v0
	s_and_saveexec_b64 s[22:23], vcc
	s_cbranch_execz .LBB6_5905
; %bb.5913:                             ;   in Loop: Header=BB6_5909 Depth=1
	v_or_b32_e32 v59, 64, v59
	s_xor_b64 s[20:21], exec, -1
	ds_write_b32 v0, v0
	s_trap 2
	s_branch .LBB6_5905
.LBB6_5914:
	s_or_b64 exec, exec, s[10:11]
.LBB6_5915:
	s_or_b64 exec, exec, s[6:7]
	v_and_b32_e32 v0, 0x2000, v59
	v_cmp_ne_u32_e32 vcc, 0, v0
	s_and_saveexec_b64 s[6:7], vcc
	s_cbranch_execz .LBB6_5917
; %bb.5916:
	s_trap 2
	ds_read_b64 v[0:1], v0
	v_accvgpr_read_b32 v2, a10
	v_accvgpr_read_b32 v3, a11
	s_waitcnt lgkmcnt(0)
	flat_store_dwordx2 v[2:3], v[0:1] offset:16
.LBB6_5917:
	s_or_b64 exec, exec, s[6:7]
	v_cmp_ne_u32_e32 vcc, 64, v46
	s_and_b64 exec, exec, vcc
	s_cbranch_execz .LBB6_5935
; %bb.5918:
	s_waitcnt vmcnt(0)
	v_accvgpr_read_b32 v0, a2
	v_cmp_ne_u32_sdwa s[6:7], v0, v46 src0_sel:WORD_0 src1_sel:DWORD
	s_and_saveexec_b64 s[10:11], s[6:7]
	s_xor_b64 s[6:7], exec, s[10:11]
	s_cbranch_execz .LBB6_5933
; %bb.5919:
	v_and_b32_e32 v0, 63, v31
	v_cmp_eq_u32_e32 vcc, 0, v0
	s_and_saveexec_b64 s[10:11], vcc
	s_cbranch_execz .LBB6_5932
; %bb.5920:
	s_mov_b64 s[14:15], exec
	v_mbcnt_lo_u32_b32 v0, s14, 0
	v_mbcnt_hi_u32_b32 v0, s15, v0
	v_cmp_eq_u32_e32 vcc, 0, v0
	s_waitcnt lgkmcnt(0)
	buffer_wbinvl1_vol
	s_and_saveexec_b64 s[12:13], vcc
	s_cbranch_execz .LBB6_5922
; %bb.5921:
	s_bcnt1_i32_b64 s14, s[14:15]
	v_mov_b32_e32 v0, s14
	v_mov_b32_e32 v1, 0
	ds_add_u64 v0, v[0:1]
	s_trap 2
.LBB6_5922:
	s_or_b64 exec, exec, s[12:13]
	v_ashrrev_i32_e32 v0, 31, v46
	v_lshrrev_b32_e32 v0, 26, v0
	v_add_u32_e32 v0, v46, v0
	v_ashrrev_i32_e32 v0, 6, v0
	s_trap 2
	ds_read_b64 v[2:3], v0
	v_accvgpr_read_b32 v4, a24
	v_ashrrev_i32_e32 v1, 31, v0
	v_accvgpr_read_b32 v5, a25
	v_add_co_u32_e32 v0, vcc, v4, v0
	v_addc_co_u32_e32 v1, vcc, v5, v1, vcc
	s_waitcnt lgkmcnt(0)
	v_cmp_lt_u64_e32 vcc, v[2:3], v[0:1]
	s_and_saveexec_b64 s[12:13], vcc
	s_cbranch_execz .LBB6_5931
; %bb.5923:
	s_mov_b32 s26, 0
	s_mov_b64 s[14:15], 0
                                        ; implicit-def: $sgpr16_sgpr17
                                        ; implicit-def: $sgpr18_sgpr19
	s_branch .LBB6_5925
.LBB6_5924:                             ;   in Loop: Header=BB6_5925 Depth=1
	s_or_b64 exec, exec, s[24:25]
	s_and_b64 s[20:21], exec, s[22:23]
	s_or_b64 s[14:15], s[20:21], s[14:15]
	s_andn2_b64 s[16:17], s[16:17], exec
	s_and_b64 s[20:21], s[18:19], exec
	s_or_b64 s[16:17], s[16:17], s[20:21]
	s_andn2_b64 exec, exec, s[14:15]
	s_cbranch_execz .LBB6_5929
.LBB6_5925:                             ; =>This Inner Loop Header: Depth=1
	s_add_i32 s26, s26, 1
	s_cmpk_lg_i32 s26, 0x2710
	s_cselect_b64 s[20:21], -1, 0
	s_and_b64 vcc, exec, s[20:21]
                                        ; implicit-def: $sgpr24_sgpr25
	s_cbranch_vccnz .LBB6_5927
; %bb.5926:                             ;   in Loop: Header=BB6_5925 Depth=1
	s_trap 2
	ds_read_b64 v[2:3], v0
	s_andn2_b64 s[20:21], s[20:21], exec
	s_mov_b32 s26, 0
	s_mov_b64 s[24:25], -1
	s_waitcnt lgkmcnt(0)
	flat_load_dword v2, v[2:3] glc
	s_waitcnt vmcnt(0) lgkmcnt(0)
	buffer_invl2
	buffer_wbinvl1_vol
	v_cmp_eq_u32_e32 vcc, 0, v2
	s_and_b64 s[22:23], vcc, exec
	s_or_b64 s[20:21], s[20:21], s[22:23]
.LBB6_5927:                             ;   in Loop: Header=BB6_5925 Depth=1
	s_andn2_b64 s[18:19], s[18:19], exec
	s_and_b64 s[24:25], s[24:25], exec
	s_mov_b64 s[22:23], -1
	s_or_b64 s[18:19], s[18:19], s[24:25]
	s_and_saveexec_b64 s[24:25], s[20:21]
	s_cbranch_execz .LBB6_5924
; %bb.5928:                             ;   in Loop: Header=BB6_5925 Depth=1
	s_sleep 1
	s_trap 2
	ds_read_b64 v[2:3], v0
	s_andn2_b64 s[18:19], s[18:19], exec
	s_waitcnt lgkmcnt(0)
	v_cmp_ge_u64_e32 vcc, v[2:3], v[0:1]
	s_orn2_b64 s[22:23], vcc, exec
	s_branch .LBB6_5924
.LBB6_5929:
	s_or_b64 exec, exec, s[14:15]
	s_and_saveexec_b64 s[14:15], s[16:17]
	s_xor_b64 s[14:15], exec, s[14:15]
	s_cbranch_execz .LBB6_5931
; %bb.5930:
	v_mov_b32_e32 v0, 1
	ds_write_b32 v0, v0
	s_trap 2
.LBB6_5931:
	s_or_b64 exec, exec, s[12:13]
	;;#ASMSTART
	s_wakeup
	;;#ASMEND
.LBB6_5932:
	s_or_b64 exec, exec, s[10:11]
.LBB6_5933:
	s_andn2_saveexec_b64 s[6:7], s[6:7]
	s_cbranch_execz .LBB6_5935
; %bb.5934:
	s_waitcnt lgkmcnt(0)
	buffer_wbinvl1_vol
	s_barrier
.LBB6_5935:
	s_or_b64 exec, exec, s[4:5]
.LBB6_5936:
	s_andn2_saveexec_b64 s[26:27], s[28:29]
	s_cbranch_execz .LBB6_5938
; %bb.5937:
	s_getpc_b64 s[4:5]
	s_add_u32 s4, s4, __PRETTY_FUNCTION__._ZN10PrimitivesI14__hip_fp8_e4m310FuncMinMaxIS0_E12FanSymmetricILi1EELi0E11ProtoSimpleILi1ELi1ELi0ELi4ELi0ELi0EELi0ELb0ELi0ELi0ELi0EEC2EiiPKiS9_PKvPvmhhhP15ncclDevWorkCollP14ncclDevWorkP2pii@rel32@lo+4
	s_addc_u32 s5, s5, __PRETTY_FUNCTION__._ZN10PrimitivesI14__hip_fp8_e4m310FuncMinMaxIS0_E12FanSymmetricILi1EELi0E11ProtoSimpleILi1ELi1ELi0ELi4ELi0ELi0EELi0ELb0ELi0ELi0ELi0EEC2EiiPKiS9_PKvPvmhhhP15ncclDevWorkCollP14ncclDevWorkP2pii@rel32@hi+12
	v_mov_b32_e32 v0, s4
	v_mov_b32_e32 v1, s5
	s_getpc_b64 s[6:7]
	s_add_u32 s6, s6, __assert_fail@rel32@lo+4
	s_addc_u32 s7, s7, __assert_fail@rel32@hi+12
	s_swappc_b64 s[30:31], s[6:7]
	; divergent unreachable
.LBB6_5938:
	s_or_b64 exec, exec, s[26:27]
	buffer_load_dword a40, off, s[0:3], s33 ; 4-byte Folded Reload
	buffer_load_dword a39, off, s[0:3], s33 offset:4 ; 4-byte Folded Reload
	buffer_load_dword a38, off, s[0:3], s33 offset:8 ; 4-byte Folded Reload
	;; [unrolled: 1-line block ×21, first 2 shown]
	s_waitcnt lgkmcnt(0)
	buffer_load_dword v41, off, s[0:3], s33 offset:88 ; 4-byte Folded Reload
	buffer_load_dword v40, off, s[0:3], s33 offset:92 ; 4-byte Folded Reload
	v_readlane_b32 s30, v63, 48
	v_readlane_b32 s31, v63, 49
	;; [unrolled: 1-line block ×51, first 2 shown]
	s_or_saveexec_b64 s[6:7], -1
	buffer_load_dword v63, off, s[0:3], s33 offset:96 ; 4-byte Folded Reload
	s_mov_b64 exec, s[6:7]
	s_addk_i32 s32, 0xe400
	s_mov_b32 s33, s4
	s_waitcnt vmcnt(0)
	s_setpc_b64 s[30:31]
.Lfunc_end6:
	.size	_ZN12_GLOBAL__N_17runRingI14__hip_fp8_e4m310FuncMinMaxIS1_E11ProtoSimpleILi1ELi1ELi0ELi4ELi0ELi0EELi0ELi4ELi0EEEviiP15ncclDevWorkColl, .Lfunc_end6-_ZN12_GLOBAL__N_17runRingI14__hip_fp8_e4m310FuncMinMaxIS1_E11ProtoSimpleILi1ELi1ELi0ELi4ELi0ELi0EELi0ELi4ELi0EEEviiP15ncclDevWorkColl
                                        ; -- End function
	.section	.AMDGPU.csdata,"",@progbits
; Function info:
; codeLenInByte = 165868
; NumSgprs: 88
; NumVgprs: 64
; NumAgprs: 41
; TotalNumVgprs: 105
; ScratchSize: 176
; MemoryBound: 1
	.text
	.p2align	2                               ; -- Begin function _Z50ncclDevFunc_Reduce_RING_SIMPLE_MinMax_f8e4m3_0_0_4v
	.type	_Z50ncclDevFunc_Reduce_RING_SIMPLE_MinMax_f8e4m3_0_0_4v,@function
_Z50ncclDevFunc_Reduce_RING_SIMPLE_MinMax_f8e4m3_0_0_4v: ; @_Z50ncclDevFunc_Reduce_RING_SIMPLE_MinMax_f8e4m3_0_0_4v
; %bb.0:
	s_waitcnt vmcnt(0) expcnt(0) lgkmcnt(0)
	s_mov_b32 s4, s33
	s_mov_b32 s33, s32
	s_or_saveexec_b64 s[6:7], -1
	buffer_store_dword v43, off, s[0:3], s33 offset:16 ; 4-byte Folded Spill
	s_mov_b64 exec, s[6:7]
	v_writelane_b32 v43, s4, 60
	s_addk_i32 s32, 0x800
	buffer_store_dword v40, off, s[0:3], s33 offset:12 ; 4-byte Folded Spill
	buffer_store_dword v41, off, s[0:3], s33 offset:8 ; 4-byte Folded Spill
	;; [unrolled: 1-line block ×3, first 2 shown]
	buffer_store_dword v63, off, s[0:3], s33 ; 4-byte Folded Spill
	v_writelane_b32 v43, s34, 0
	v_writelane_b32 v43, s35, 1
	;; [unrolled: 1-line block ×60, first 2 shown]
	s_trap 2
	ds_read_b32 v0, v0
	v_mov_b32_e32 v40, v31
	v_and_b32_e32 v41, 0x3ff, v40
	s_mov_b32 s86, s12
	s_mov_b64 s[84:85], s[8:9]
	s_waitcnt lgkmcnt(0)
	v_cmp_lt_i32_e32 vcc, v41, v0
	s_and_saveexec_b64 s[4:5], vcc
	s_cbranch_execz .LBB7_5
; %bb.1:
	s_load_dword s6, s[84:85], 0x0
	v_mov_b32_e32 v1, 0
	s_mov_b32 s10, 0
	v_mov_b32_e32 v4, v41
                                        ; implicit-def: $vgpr2
	s_waitcnt lgkmcnt(0)
	s_cmp_lt_u32 s86, s6
	s_cselect_b32 s6, 12, 18
	s_add_u32 s6, s84, s6
	s_addc_u32 s7, s85, 0
	global_load_ushort v1, v1, s[6:7]
	s_trap 2
	ds_read_b32 v3, v0
	s_mov_b64 s[6:7], 0
	s_waitcnt vmcnt(0) lgkmcnt(0)
	v_mul_lo_u32 v3, v3, v1
	s_branch .LBB7_3
.LBB7_2:                                ;   in Loop: Header=BB7_3 Depth=1
	s_or_b64 exec, exec, s[8:9]
	v_add_u32_e32 v4, v4, v1
	v_cmp_ge_i32_e32 vcc, v4, v0
	s_or_b64 s[6:7], vcc, s[6:7]
	v_add_u32_e32 v2, v2, v3
	s_andn2_b64 exec, exec, s[6:7]
	s_cbranch_execz .LBB7_5
.LBB7_3:                                ; =>This Inner Loop Header: Depth=1
	ds_read_b32 v5, v2
	s_waitcnt lgkmcnt(0)
	v_and_b32_e32 v5, 0x1000000, v5
	v_cmp_ne_u32_e32 vcc, 0, v5
	s_and_saveexec_b64 s[8:9], vcc
	s_cbranch_execz .LBB7_2
; %bb.4:                                ;   in Loop: Header=BB7_3 Depth=1
	ds_read_b64 v[6:7], v2 offset:104
	s_waitcnt lgkmcnt(0)
	flat_load_ubyte v5, v[6:7]
	v_mov_b32_e32 v7, s10
	s_waitcnt vmcnt(0) lgkmcnt(0)
	v_and_b32_e32 v6, 0xffff, v5
	ds_write_b64 v2, v[6:7] offset:104
	s_branch .LBB7_2
.LBB7_5:
	s_or_b64 exec, exec, s[4:5]
	s_waitcnt lgkmcnt(0)
	s_barrier
	s_trap 2
	ds_read_b32 v0, v0
	s_waitcnt lgkmcnt(0)
	v_cmp_gt_i32_e32 vcc, 1, v0
	s_cbranch_vccnz .LBB7_13
; %bb.6:
	s_mov_b32 s87, 0
	s_mov_b64 s[88:89], src_shared_base
	v_mov_b32_e32 v42, 6
	s_branch .LBB7_8
.LBB7_7:                                ;   in Loop: Header=BB7_8 Depth=1
	s_or_b64 exec, exec, s[90:91]
	s_trap 2
	ds_read_b32 v0, v0
	s_add_i32 s87, s87, 1
	s_waitcnt lgkmcnt(0)
	v_cmp_lt_i32_e32 vcc, s87, v0
	s_cbranch_vccz .LBB7_13
.LBB7_8:                                ; =>This Inner Loop Header: Depth=1
	s_trap 2
	ds_read_b32 v0, v0
	s_cmp_eq_u32 s87, 0
	s_cbranch_scc1 .LBB7_11
; %bb.9:                                ;   in Loop: Header=BB7_8 Depth=1
	s_trap 2
	s_waitcnt lgkmcnt(0)
	ds_read_b32 v1, v0
	s_waitcnt lgkmcnt(0)
	v_xor_b32_e32 v1, v1, v0
	v_and_b32_e32 v1, 0xff0000, v1
	v_cmp_eq_u32_e32 vcc, 0, v1
	s_cbranch_vccnz .LBB7_11
; %bb.10:                               ;   in Loop: Header=BB7_8 Depth=1
	s_barrier
	ds_read_b32 v0, v0
.LBB7_11:                               ;   in Loop: Header=BB7_8 Depth=1
	s_waitcnt lgkmcnt(0)
	v_lshlrev_b32_sdwa v1, v42, v0 dst_sel:DWORD dst_unused:UNUSED_PAD src0_sel:DWORD src1_sel:BYTE_2
	v_cmp_lt_u32_e32 vcc, v41, v1
	s_and_saveexec_b64 s[90:91], vcc
	s_cbranch_execz .LBB7_7
; %bb.12:                               ;   in Loop: Header=BB7_8 Depth=1
	s_mov_b64 s[8:9], s[84:85]
	s_mov_b32 s12, s86
	v_mov_b32_e32 v31, v40
	v_mov_b32_e32 v0, v41
	;; [unrolled: 1-line block ×3, first 2 shown]
	s_getpc_b64 s[4:5]
	s_add_u32 s4, s4, _ZN12_GLOBAL__N_17runRingI14__hip_fp8_e4m310FuncMinMaxIS1_E11ProtoSimpleILi1ELi1ELi0ELi4ELi0ELi0EELi0ELi4ELi0EEEviiP15ncclDevWorkColl@rel32@lo+4
	s_addc_u32 s5, s5, _ZN12_GLOBAL__N_17runRingI14__hip_fp8_e4m310FuncMinMaxIS1_E11ProtoSimpleILi1ELi1ELi0ELi4ELi0ELi0EELi0ELi4ELi0EEEviiP15ncclDevWorkColl@rel32@hi+12
	s_swappc_b64 s[30:31], s[4:5]
	s_branch .LBB7_7
.LBB7_13:
	buffer_load_dword v63, off, s[0:3], s33 ; 4-byte Folded Reload
	buffer_load_dword v42, off, s[0:3], s33 offset:4 ; 4-byte Folded Reload
	buffer_load_dword v41, off, s[0:3], s33 offset:8 ; 4-byte Folded Reload
	;; [unrolled: 1-line block ×3, first 2 shown]
	v_readlane_b32 s30, v43, 58
	v_readlane_b32 s31, v43, 59
	;; [unrolled: 1-line block ×61, first 2 shown]
	s_or_saveexec_b64 s[6:7], -1
	buffer_load_dword v43, off, s[0:3], s33 offset:16 ; 4-byte Folded Reload
	s_mov_b64 exec, s[6:7]
	s_addk_i32 s32, 0xf800
	s_mov_b32 s33, s4
	s_waitcnt vmcnt(0)
	s_setpc_b64 s[30:31]
.Lfunc_end7:
	.size	_Z50ncclDevFunc_Reduce_RING_SIMPLE_MinMax_f8e4m3_0_0_4v, .Lfunc_end7-_Z50ncclDevFunc_Reduce_RING_SIMPLE_MinMax_f8e4m3_0_0_4v
                                        ; -- End function
	.section	.AMDGPU.csdata,"",@progbits
; Function info:
; codeLenInByte = 1568
; NumSgprs: 96
; NumVgprs: 64
; NumAgprs: 41
; TotalNumVgprs: 105
; ScratchSize: 208
; MemoryBound: 0
	.text
	.p2alignl 6, 3212836864
	.fill 256, 4, 3212836864
	.type	__const.__assert_fail.fmt,@object ; @__const.__assert_fail.fmt
	.section	.rodata.str1.16,"aMS",@progbits,1
	.p2align	4, 0x0
__const.__assert_fail.fmt:
	.asciz	"%s:%u: %s: Device-side assertion `%s' failed.\n"
	.size	__const.__assert_fail.fmt, 47

	.type	.str.1,@object                  ; @.str.1
	.section	.rodata.str1.1,"aMS",@progbits,1
.str.1:
	.asciz	"2*(nrecv+nsend) <= nthreads"
	.size	.str.1, 28

	.type	.str.2,@object                  ; @.str.2
.str.2:
	.asciz	"/root/src/amdgpu-assembly/repos/ROCm__rccl/hipify/src/device/prims_simple.h"
	.size	.str.2, 76

	.type	__PRETTY_FUNCTION__._ZN10PrimitivesI14__hip_fp8_e4m310FuncMinMaxIS0_E12FanSymmetricILi1EELi0E11ProtoSimpleILi1ELi1ELi0ELi1ELi0ELi0EELi0ELb0ELi0ELi0ELi0EEC2EiiPKiS9_PKvPvmhhhP15ncclDevWorkCollP14ncclDevWorkP2pii,@object ; @__PRETTY_FUNCTION__._ZN10PrimitivesI14__hip_fp8_e4m310FuncMinMaxIS0_E12FanSymmetricILi1EELi0E11ProtoSimpleILi1ELi1ELi0ELi1ELi0ELi0EELi0ELb0ELi0ELi0ELi0EEC2EiiPKiS9_PKvPvmhhhP15ncclDevWorkCollP14ncclDevWorkP2pii
__PRETTY_FUNCTION__._ZN10PrimitivesI14__hip_fp8_e4m310FuncMinMaxIS0_E12FanSymmetricILi1EELi0E11ProtoSimpleILi1ELi1ELi0ELi1ELi0ELi0EELi0ELb0ELi0ELi0ELi0EEC2EiiPKiS9_PKvPvmhhhP15ncclDevWorkCollP14ncclDevWorkP2pii:
	.asciz	"Primitives<__hip_fp8_e4m3, FuncMinMax<__hip_fp8_e4m3>, FanSymmetric<1>, 0, ProtoSimple<1, 1, 0, 1>, 0>::Primitives(int, int, const int *, const int *, const void *, void *, uint64_t, uint8_t, uint8_t, uint8_t, struct ncclDevWorkColl *, struct ncclDevWorkP2p *, int, int) [T = __hip_fp8_e4m3, RedOp = FuncMinMax<__hip_fp8_e4m3>, Fan = FanSymmetric<1>, Direct = 0, Proto = ProtoSimple<1, 1, 0, 1>, P2p = 0, isNetOffload = false, Metadata = 0, Pipeline = 0, useAcc = 0]"
	.size	__PRETTY_FUNCTION__._ZN10PrimitivesI14__hip_fp8_e4m310FuncMinMaxIS0_E12FanSymmetricILi1EELi0E11ProtoSimpleILi1ELi1ELi0ELi1ELi0ELi0EELi0ELb0ELi0ELi0ELi0EEC2EiiPKiS9_PKvPvmhhhP15ncclDevWorkCollP14ncclDevWorkP2pii, 467

	.type	__PRETTY_FUNCTION__._ZN10PrimitivesI14__hip_fp8_e4m310FuncMinMaxIS0_E12FanSymmetricILi1EELi0E11ProtoSimpleILi1ELi1ELi0ELi2ELi0ELi0EELi0ELb0ELi0ELi0ELi0EEC2EiiPKiS9_PKvPvmhhhP15ncclDevWorkCollP14ncclDevWorkP2pii,@object ; @__PRETTY_FUNCTION__._ZN10PrimitivesI14__hip_fp8_e4m310FuncMinMaxIS0_E12FanSymmetricILi1EELi0E11ProtoSimpleILi1ELi1ELi0ELi2ELi0ELi0EELi0ELb0ELi0ELi0ELi0EEC2EiiPKiS9_PKvPvmhhhP15ncclDevWorkCollP14ncclDevWorkP2pii
__PRETTY_FUNCTION__._ZN10PrimitivesI14__hip_fp8_e4m310FuncMinMaxIS0_E12FanSymmetricILi1EELi0E11ProtoSimpleILi1ELi1ELi0ELi2ELi0ELi0EELi0ELb0ELi0ELi0ELi0EEC2EiiPKiS9_PKvPvmhhhP15ncclDevWorkCollP14ncclDevWorkP2pii:
	.asciz	"Primitives<__hip_fp8_e4m3, FuncMinMax<__hip_fp8_e4m3>, FanSymmetric<1>, 0, ProtoSimple<1, 1, 0, 2>, 0>::Primitives(int, int, const int *, const int *, const void *, void *, uint64_t, uint8_t, uint8_t, uint8_t, struct ncclDevWorkColl *, struct ncclDevWorkP2p *, int, int) [T = __hip_fp8_e4m3, RedOp = FuncMinMax<__hip_fp8_e4m3>, Fan = FanSymmetric<1>, Direct = 0, Proto = ProtoSimple<1, 1, 0, 2>, P2p = 0, isNetOffload = false, Metadata = 0, Pipeline = 0, useAcc = 0]"
	.size	__PRETTY_FUNCTION__._ZN10PrimitivesI14__hip_fp8_e4m310FuncMinMaxIS0_E12FanSymmetricILi1EELi0E11ProtoSimpleILi1ELi1ELi0ELi2ELi0ELi0EELi0ELb0ELi0ELi0ELi0EEC2EiiPKiS9_PKvPvmhhhP15ncclDevWorkCollP14ncclDevWorkP2pii, 467

	.type	__PRETTY_FUNCTION__._ZN10PrimitivesI14__hip_fp8_e4m310FuncMinMaxIS0_E12FanSymmetricILi1EELi0E11ProtoSimpleILi1ELi1ELi0ELi4ELi0ELi0EELi0ELb0ELi0ELi0ELi0EEC2EiiPKiS9_PKvPvmhhhP15ncclDevWorkCollP14ncclDevWorkP2pii,@object ; @__PRETTY_FUNCTION__._ZN10PrimitivesI14__hip_fp8_e4m310FuncMinMaxIS0_E12FanSymmetricILi1EELi0E11ProtoSimpleILi1ELi1ELi0ELi4ELi0ELi0EELi0ELb0ELi0ELi0ELi0EEC2EiiPKiS9_PKvPvmhhhP15ncclDevWorkCollP14ncclDevWorkP2pii
__PRETTY_FUNCTION__._ZN10PrimitivesI14__hip_fp8_e4m310FuncMinMaxIS0_E12FanSymmetricILi1EELi0E11ProtoSimpleILi1ELi1ELi0ELi4ELi0ELi0EELi0ELb0ELi0ELi0ELi0EEC2EiiPKiS9_PKvPvmhhhP15ncclDevWorkCollP14ncclDevWorkP2pii:
	.asciz	"Primitives<__hip_fp8_e4m3, FuncMinMax<__hip_fp8_e4m3>, FanSymmetric<1>, 0, ProtoSimple<1, 1, 0, 4>, 0>::Primitives(int, int, const int *, const int *, const void *, void *, uint64_t, uint8_t, uint8_t, uint8_t, struct ncclDevWorkColl *, struct ncclDevWorkP2p *, int, int) [T = __hip_fp8_e4m3, RedOp = FuncMinMax<__hip_fp8_e4m3>, Fan = FanSymmetric<1>, Direct = 0, Proto = ProtoSimple<1, 1, 0, 4>, P2p = 0, isNetOffload = false, Metadata = 0, Pipeline = 0, useAcc = 0]"
	.size	__PRETTY_FUNCTION__._ZN10PrimitivesI14__hip_fp8_e4m310FuncMinMaxIS0_E12FanSymmetricILi1EELi0E11ProtoSimpleILi1ELi1ELi0ELi4ELi0ELi0EELi0ELb0ELi0ELi0ELi0EEC2EiiPKiS9_PKvPvmhhhP15ncclDevWorkCollP14ncclDevWorkP2pii, 467

	.type	__hip_cuid_eac5a8dbc7d77d9e,@object ; @__hip_cuid_eac5a8dbc7d77d9e
	.section	.bss,"aw",@nobits
	.globl	__hip_cuid_eac5a8dbc7d77d9e
__hip_cuid_eac5a8dbc7d77d9e:
	.byte	0                               ; 0x0
	.size	__hip_cuid_eac5a8dbc7d77d9e, 1

	.ident	"AMD clang version 19.0.0git (https://github.com/RadeonOpenCompute/llvm-project roc-6.4.0 25133 c7fe45cf4b819c5991fe208aaa96edf142730f1d)"
	.section	".note.GNU-stack","",@progbits
	.addrsig
	.addrsig_sym _Z50ncclDevFunc_Reduce_RING_SIMPLE_MinMax_f8e4m3_0_0_1v
	.addrsig_sym _Z50ncclDevFunc_Reduce_RING_SIMPLE_MinMax_f8e4m3_0_0_2v
	.addrsig_sym _Z50ncclDevFunc_Reduce_RING_SIMPLE_MinMax_f8e4m3_0_0_4v
	.addrsig_sym ncclShmem
	.addrsig_sym __hip_cuid_eac5a8dbc7d77d9e
	.amdgpu_metadata
---
amdhsa.kernels:  []
amdhsa.target:   amdgcn-amd-amdhsa--gfx90a
amdhsa.version:
  - 1
  - 2
...

	.end_amdgpu_metadata
